;; amdgpu-corpus repo=ROCm/rccl kind=compiled arch=gfx1250 opt=O3
	.amdgcn_target "amdgcn-amd-amdhsa--gfx1250"
	.amdhsa_code_object_version 6
	.text
	.p2align	2                               ; -- Begin function __ockl_fprintf_append_string_n
	.type	__ockl_fprintf_append_string_n,@function
__ockl_fprintf_append_string_n:         ; @__ockl_fprintf_append_string_n
; %bb.0:
	s_wait_loadcnt_dscnt 0x0
	s_wait_kmcnt 0x0
	v_or_b32_e32 v2, 2, v0
	v_cmp_eq_u32_e32 vcc_lo, 0, v6
	v_mbcnt_lo_u32_b32 v30, -1, 0
	s_get_pc_i64 s[0:1]
	s_add_nc_u64 s[0:1], s[0:1], .str.3@rel64+4
	s_mov_b32 s6, 0
	s_cmp_lg_u64 s[0:1], 0
	v_cndmask_b32_e32 v3, v2, v0, vcc_lo
	s_cbranch_scc0 .LBB0_113
; %bb.1:
	s_load_b64 s[2:3], s[8:9], 0x50
	s_delay_alu instid0(VALU_DEP_1) | instskip(SKIP_3) | instid1(VALU_DEP_4)
	v_dual_mov_b32 v7, 0 :: v_dual_bitop2_b32 v0, -3, v3 bitop3:0x40
	v_mov_b64_e32 v[8:9], 0x100000002
	v_mov_b64_e32 v[32:33], s[0:1]
	v_and_b32_e32 v2, 2, v3
	v_mov_b64_e32 v[10:11], v[0:1]
	s_mov_b32 s7, 0
	s_branch .LBB0_3
.LBB0_2:                                ;   in Loop: Header=BB0_3 Depth=1
	s_or_b32 exec_lo, exec_lo, s10
	v_sub_nc_u64_e32 v[4:5], v[4:5], v[34:35]
	v_add_nc_u64_e32 v[32:33], v[32:33], v[34:35]
	s_delay_alu instid0(VALU_DEP_2) | instskip(SKIP_1) | instid1(SALU_CYCLE_1)
	v_cmp_eq_u64_e32 vcc_lo, 0, v[4:5]
	s_or_b32 s7, vcc_lo, s7
	s_and_not1_b32 exec_lo, exec_lo, s7
	s_cbranch_execz .LBB0_85
.LBB0_3:                                ; =>This Loop Header: Depth=1
                                        ;     Child Loop BB0_6 Depth 2
                                        ;     Child Loop BB0_14 Depth 2
	;; [unrolled: 1-line block ×11, first 2 shown]
	v_min_u64 v[34:35], v[4:5], 56
	s_delay_alu instid0(VALU_DEP_3)
	v_add_nc_u64_e32 v[16:17], 8, v[32:33]
	s_mov_b32 s0, exec_lo
	v_cmpx_gt_u64_e32 8, v[4:5]
	s_xor_b32 s4, exec_lo, s0
	s_cbranch_execz .LBB0_9
; %bb.4:                                ;   in Loop: Header=BB0_3 Depth=1
	s_wait_loadcnt 0x0
	v_mov_b64_e32 v[12:13], 0
	s_mov_b32 s5, exec_lo
	v_cmpx_ne_u64_e32 0, v[4:5]
	s_cbranch_execz .LBB0_8
; %bb.5:                                ;   in Loop: Header=BB0_3 Depth=1
	v_mov_b64_e32 v[12:13], 0
	v_mov_b64_e32 v[14:15], v[32:33]
	v_lshlrev_b32_e32 v0, 3, v34
	s_mov_b64 s[0:1], 0
	s_mov_b32 s10, 0
.LBB0_6:                                ;   Parent Loop BB0_3 Depth=1
                                        ; =>  This Inner Loop Header: Depth=2
	global_load_u8 v6, v[14:15], off
	v_mov_b32_e32 v17, s6
	s_wait_xcnt 0x0
	v_add_nc_u64_e32 v[14:15], 1, v[14:15]
	s_wait_loadcnt 0x0
	v_and_b32_e32 v16, 0xffff, v6
	s_delay_alu instid0(VALU_DEP_1) | instskip(SKIP_1) | instid1(SALU_CYCLE_1)
	v_lshlrev_b64_e32 v[16:17], s0, v[16:17]
	s_add_nc_u64 s[0:1], s[0:1], 8
	v_cmp_eq_u32_e32 vcc_lo, s0, v0
	s_delay_alu instid0(VALU_DEP_2) | instskip(NEXT) | instid1(VALU_DEP_3)
	v_or_b32_e32 v13, v17, v13
	v_or_b32_e32 v12, v16, v12
	s_or_b32 s10, vcc_lo, s10
	s_delay_alu instid0(SALU_CYCLE_1)
	s_and_not1_b32 exec_lo, exec_lo, s10
	s_cbranch_execnz .LBB0_6
; %bb.7:                                ;   in Loop: Header=BB0_3 Depth=1
	s_or_b32 exec_lo, exec_lo, s10
.LBB0_8:                                ;   in Loop: Header=BB0_3 Depth=1
	s_delay_alu instid0(SALU_CYCLE_1)
	s_or_b32 exec_lo, exec_lo, s5
	v_mov_b64_e32 v[16:17], v[32:33]
.LBB0_9:                                ;   in Loop: Header=BB0_3 Depth=1
	s_or_saveexec_b32 s0, s4
	v_mov_b32_e32 v0, 0
	s_xor_b32 exec_lo, exec_lo, s0
	s_cbranch_execz .LBB0_11
; %bb.10:                               ;   in Loop: Header=BB0_3 Depth=1
	s_wait_loadcnt 0x0
	global_load_b64 v[12:13], v[32:33], off
	v_add_nc_u32_e32 v0, -8, v34
.LBB0_11:                               ;   in Loop: Header=BB0_3 Depth=1
	s_wait_xcnt 0x0
	s_or_b32 exec_lo, exec_lo, s0
	v_add_nc_u64_e32 v[18:19], 8, v[16:17]
                                        ; implicit-def: $vgpr14_vgpr15
	s_mov_b32 s0, exec_lo
	v_cmpx_gt_u32_e32 8, v0
	s_xor_b32 s10, exec_lo, s0
	s_cbranch_execz .LBB0_17
; %bb.12:                               ;   in Loop: Header=BB0_3 Depth=1
	v_mov_b64_e32 v[14:15], 0
	s_mov_b32 s11, exec_lo
	v_cmpx_ne_u32_e32 0, v0
	s_cbranch_execz .LBB0_16
; %bb.13:                               ;   in Loop: Header=BB0_3 Depth=1
	v_mov_b64_e32 v[14:15], 0
	s_mov_b64 s[0:1], 0
	s_mov_b32 s12, 0
	s_mov_b64 s[4:5], 0
.LBB0_14:                               ;   Parent Loop BB0_3 Depth=1
                                        ; =>  This Inner Loop Header: Depth=2
	s_delay_alu instid0(SALU_CYCLE_1) | instskip(SKIP_1) | instid1(SALU_CYCLE_1)
	v_add_nc_u64_e32 v[18:19], s[4:5], v[16:17]
	s_add_nc_u64 s[4:5], s[4:5], 1
	v_cmp_eq_u32_e32 vcc_lo, s4, v0
	global_load_u8 v6, v[18:19], off
	s_wait_xcnt 0x0
	v_mov_b32_e32 v19, s6
	s_or_b32 s12, vcc_lo, s12
	s_wait_loadcnt 0x0
	v_and_b32_e32 v18, 0xffff, v6
	s_delay_alu instid0(VALU_DEP_1) | instskip(SKIP_1) | instid1(VALU_DEP_1)
	v_lshlrev_b64_e32 v[18:19], s0, v[18:19]
	s_add_nc_u64 s[0:1], s[0:1], 8
	v_or_b32_e32 v15, v19, v15
	s_delay_alu instid0(VALU_DEP_2)
	v_or_b32_e32 v14, v18, v14
	s_and_not1_b32 exec_lo, exec_lo, s12
	s_cbranch_execnz .LBB0_14
; %bb.15:                               ;   in Loop: Header=BB0_3 Depth=1
	s_or_b32 exec_lo, exec_lo, s12
.LBB0_16:                               ;   in Loop: Header=BB0_3 Depth=1
	s_delay_alu instid0(SALU_CYCLE_1)
	s_or_b32 exec_lo, exec_lo, s11
	v_mov_b64_e32 v[18:19], v[16:17]
                                        ; implicit-def: $vgpr0
.LBB0_17:                               ;   in Loop: Header=BB0_3 Depth=1
	s_or_saveexec_b32 s0, s10
	v_mov_b32_e32 v6, 0
	s_xor_b32 exec_lo, exec_lo, s0
	s_cbranch_execz .LBB0_19
; %bb.18:                               ;   in Loop: Header=BB0_3 Depth=1
	global_load_b64 v[14:15], v[16:17], off
	v_add_nc_u32_e32 v6, -8, v0
.LBB0_19:                               ;   in Loop: Header=BB0_3 Depth=1
	s_wait_xcnt 0x0
	s_or_b32 exec_lo, exec_lo, s0
	v_add_nc_u64_e32 v[20:21], 8, v[18:19]
	s_mov_b32 s0, exec_lo
	v_cmpx_gt_u32_e32 8, v6
	s_xor_b32 s10, exec_lo, s0
	s_cbranch_execz .LBB0_25
; %bb.20:                               ;   in Loop: Header=BB0_3 Depth=1
	v_mov_b64_e32 v[16:17], 0
	s_mov_b32 s11, exec_lo
	v_cmpx_ne_u32_e32 0, v6
	s_cbranch_execz .LBB0_24
; %bb.21:                               ;   in Loop: Header=BB0_3 Depth=1
	v_mov_b64_e32 v[16:17], 0
	s_mov_b64 s[0:1], 0
	s_mov_b32 s12, 0
	s_mov_b64 s[4:5], 0
.LBB0_22:                               ;   Parent Loop BB0_3 Depth=1
                                        ; =>  This Inner Loop Header: Depth=2
	s_delay_alu instid0(SALU_CYCLE_1) | instskip(SKIP_1) | instid1(SALU_CYCLE_1)
	v_add_nc_u64_e32 v[20:21], s[4:5], v[18:19]
	s_add_nc_u64 s[4:5], s[4:5], 1
	v_cmp_eq_u32_e32 vcc_lo, s4, v6
	global_load_u8 v0, v[20:21], off
	s_wait_xcnt 0x0
	v_mov_b32_e32 v21, s6
	s_or_b32 s12, vcc_lo, s12
	s_wait_loadcnt 0x0
	v_and_b32_e32 v20, 0xffff, v0
	s_delay_alu instid0(VALU_DEP_1) | instskip(SKIP_1) | instid1(VALU_DEP_1)
	v_lshlrev_b64_e32 v[20:21], s0, v[20:21]
	s_add_nc_u64 s[0:1], s[0:1], 8
	v_or_b32_e32 v17, v21, v17
	s_delay_alu instid0(VALU_DEP_2)
	v_or_b32_e32 v16, v20, v16
	s_and_not1_b32 exec_lo, exec_lo, s12
	s_cbranch_execnz .LBB0_22
; %bb.23:                               ;   in Loop: Header=BB0_3 Depth=1
	s_or_b32 exec_lo, exec_lo, s12
.LBB0_24:                               ;   in Loop: Header=BB0_3 Depth=1
	s_delay_alu instid0(SALU_CYCLE_1)
	s_or_b32 exec_lo, exec_lo, s11
	v_mov_b64_e32 v[20:21], v[18:19]
                                        ; implicit-def: $vgpr6
.LBB0_25:                               ;   in Loop: Header=BB0_3 Depth=1
	s_or_saveexec_b32 s0, s10
	v_mov_b32_e32 v0, 0
	s_xor_b32 exec_lo, exec_lo, s0
	s_cbranch_execz .LBB0_27
; %bb.26:                               ;   in Loop: Header=BB0_3 Depth=1
	global_load_b64 v[16:17], v[18:19], off
	v_add_nc_u32_e32 v0, -8, v6
.LBB0_27:                               ;   in Loop: Header=BB0_3 Depth=1
	s_wait_xcnt 0x0
	s_or_b32 exec_lo, exec_lo, s0
	v_add_nc_u64_e32 v[22:23], 8, v[20:21]
                                        ; implicit-def: $vgpr18_vgpr19
	s_mov_b32 s0, exec_lo
	v_cmpx_gt_u32_e32 8, v0
	s_xor_b32 s10, exec_lo, s0
	s_cbranch_execz .LBB0_33
; %bb.28:                               ;   in Loop: Header=BB0_3 Depth=1
	v_mov_b64_e32 v[18:19], 0
	s_mov_b32 s11, exec_lo
	v_cmpx_ne_u32_e32 0, v0
	s_cbranch_execz .LBB0_32
; %bb.29:                               ;   in Loop: Header=BB0_3 Depth=1
	v_mov_b64_e32 v[18:19], 0
	s_mov_b64 s[0:1], 0
	s_mov_b32 s12, 0
	s_mov_b64 s[4:5], 0
.LBB0_30:                               ;   Parent Loop BB0_3 Depth=1
                                        ; =>  This Inner Loop Header: Depth=2
	s_delay_alu instid0(SALU_CYCLE_1) | instskip(SKIP_1) | instid1(SALU_CYCLE_1)
	v_add_nc_u64_e32 v[22:23], s[4:5], v[20:21]
	s_add_nc_u64 s[4:5], s[4:5], 1
	v_cmp_eq_u32_e32 vcc_lo, s4, v0
	global_load_u8 v6, v[22:23], off
	s_wait_xcnt 0x0
	v_mov_b32_e32 v23, s6
	s_or_b32 s12, vcc_lo, s12
	s_wait_loadcnt 0x0
	v_and_b32_e32 v22, 0xffff, v6
	s_delay_alu instid0(VALU_DEP_1) | instskip(SKIP_1) | instid1(VALU_DEP_1)
	v_lshlrev_b64_e32 v[22:23], s0, v[22:23]
	s_add_nc_u64 s[0:1], s[0:1], 8
	v_or_b32_e32 v19, v23, v19
	s_delay_alu instid0(VALU_DEP_2)
	v_or_b32_e32 v18, v22, v18
	s_and_not1_b32 exec_lo, exec_lo, s12
	s_cbranch_execnz .LBB0_30
; %bb.31:                               ;   in Loop: Header=BB0_3 Depth=1
	s_or_b32 exec_lo, exec_lo, s12
.LBB0_32:                               ;   in Loop: Header=BB0_3 Depth=1
	s_delay_alu instid0(SALU_CYCLE_1)
	s_or_b32 exec_lo, exec_lo, s11
	v_mov_b64_e32 v[22:23], v[20:21]
                                        ; implicit-def: $vgpr0
.LBB0_33:                               ;   in Loop: Header=BB0_3 Depth=1
	s_or_saveexec_b32 s0, s10
	v_mov_b32_e32 v6, 0
	s_xor_b32 exec_lo, exec_lo, s0
	s_cbranch_execz .LBB0_35
; %bb.34:                               ;   in Loop: Header=BB0_3 Depth=1
	global_load_b64 v[18:19], v[20:21], off
	v_add_nc_u32_e32 v6, -8, v0
.LBB0_35:                               ;   in Loop: Header=BB0_3 Depth=1
	s_wait_xcnt 0x0
	s_or_b32 exec_lo, exec_lo, s0
	v_add_nc_u64_e32 v[24:25], 8, v[22:23]
	s_mov_b32 s0, exec_lo
	v_cmpx_gt_u32_e32 8, v6
	s_xor_b32 s10, exec_lo, s0
	s_cbranch_execz .LBB0_41
; %bb.36:                               ;   in Loop: Header=BB0_3 Depth=1
	v_mov_b64_e32 v[20:21], 0
	s_mov_b32 s11, exec_lo
	v_cmpx_ne_u32_e32 0, v6
	s_cbranch_execz .LBB0_40
; %bb.37:                               ;   in Loop: Header=BB0_3 Depth=1
	v_mov_b64_e32 v[20:21], 0
	s_mov_b64 s[0:1], 0
	s_mov_b32 s12, 0
	s_mov_b64 s[4:5], 0
.LBB0_38:                               ;   Parent Loop BB0_3 Depth=1
                                        ; =>  This Inner Loop Header: Depth=2
	s_delay_alu instid0(SALU_CYCLE_1) | instskip(SKIP_1) | instid1(SALU_CYCLE_1)
	v_add_nc_u64_e32 v[24:25], s[4:5], v[22:23]
	s_add_nc_u64 s[4:5], s[4:5], 1
	v_cmp_eq_u32_e32 vcc_lo, s4, v6
	global_load_u8 v0, v[24:25], off
	s_wait_xcnt 0x0
	v_mov_b32_e32 v25, s6
	s_or_b32 s12, vcc_lo, s12
	s_wait_loadcnt 0x0
	v_and_b32_e32 v24, 0xffff, v0
	s_delay_alu instid0(VALU_DEP_1) | instskip(SKIP_1) | instid1(VALU_DEP_1)
	v_lshlrev_b64_e32 v[24:25], s0, v[24:25]
	s_add_nc_u64 s[0:1], s[0:1], 8
	v_or_b32_e32 v21, v25, v21
	s_delay_alu instid0(VALU_DEP_2)
	v_or_b32_e32 v20, v24, v20
	s_and_not1_b32 exec_lo, exec_lo, s12
	s_cbranch_execnz .LBB0_38
; %bb.39:                               ;   in Loop: Header=BB0_3 Depth=1
	s_or_b32 exec_lo, exec_lo, s12
.LBB0_40:                               ;   in Loop: Header=BB0_3 Depth=1
	s_delay_alu instid0(SALU_CYCLE_1)
	s_or_b32 exec_lo, exec_lo, s11
	v_mov_b64_e32 v[24:25], v[22:23]
                                        ; implicit-def: $vgpr6
.LBB0_41:                               ;   in Loop: Header=BB0_3 Depth=1
	s_or_saveexec_b32 s0, s10
	v_mov_b32_e32 v0, 0
	s_xor_b32 exec_lo, exec_lo, s0
	s_cbranch_execz .LBB0_43
; %bb.42:                               ;   in Loop: Header=BB0_3 Depth=1
	global_load_b64 v[20:21], v[22:23], off
	v_add_nc_u32_e32 v0, -8, v6
.LBB0_43:                               ;   in Loop: Header=BB0_3 Depth=1
	s_wait_xcnt 0x0
	s_or_b32 exec_lo, exec_lo, s0
	v_add_nc_u64_e32 v[26:27], 8, v[24:25]
                                        ; implicit-def: $vgpr22_vgpr23
	s_mov_b32 s0, exec_lo
	v_cmpx_gt_u32_e32 8, v0
	s_xor_b32 s10, exec_lo, s0
	s_cbranch_execz .LBB0_49
; %bb.44:                               ;   in Loop: Header=BB0_3 Depth=1
	v_mov_b64_e32 v[22:23], 0
	s_mov_b32 s11, exec_lo
	v_cmpx_ne_u32_e32 0, v0
	s_cbranch_execz .LBB0_48
; %bb.45:                               ;   in Loop: Header=BB0_3 Depth=1
	v_mov_b64_e32 v[22:23], 0
	s_mov_b64 s[0:1], 0
	s_mov_b32 s12, 0
	s_mov_b64 s[4:5], 0
.LBB0_46:                               ;   Parent Loop BB0_3 Depth=1
                                        ; =>  This Inner Loop Header: Depth=2
	s_delay_alu instid0(SALU_CYCLE_1) | instskip(SKIP_1) | instid1(SALU_CYCLE_1)
	v_add_nc_u64_e32 v[26:27], s[4:5], v[24:25]
	s_add_nc_u64 s[4:5], s[4:5], 1
	v_cmp_eq_u32_e32 vcc_lo, s4, v0
	global_load_u8 v6, v[26:27], off
	s_wait_xcnt 0x0
	v_mov_b32_e32 v27, s6
	s_or_b32 s12, vcc_lo, s12
	s_wait_loadcnt 0x0
	v_and_b32_e32 v26, 0xffff, v6
	s_delay_alu instid0(VALU_DEP_1) | instskip(SKIP_1) | instid1(VALU_DEP_1)
	v_lshlrev_b64_e32 v[26:27], s0, v[26:27]
	s_add_nc_u64 s[0:1], s[0:1], 8
	v_or_b32_e32 v23, v27, v23
	s_delay_alu instid0(VALU_DEP_2)
	v_or_b32_e32 v22, v26, v22
	s_and_not1_b32 exec_lo, exec_lo, s12
	s_cbranch_execnz .LBB0_46
; %bb.47:                               ;   in Loop: Header=BB0_3 Depth=1
	s_or_b32 exec_lo, exec_lo, s12
.LBB0_48:                               ;   in Loop: Header=BB0_3 Depth=1
	s_delay_alu instid0(SALU_CYCLE_1)
	s_or_b32 exec_lo, exec_lo, s11
	v_mov_b64_e32 v[26:27], v[24:25]
                                        ; implicit-def: $vgpr0
.LBB0_49:                               ;   in Loop: Header=BB0_3 Depth=1
	s_or_saveexec_b32 s0, s10
	v_mov_b32_e32 v6, 0
	s_xor_b32 exec_lo, exec_lo, s0
	s_cbranch_execz .LBB0_51
; %bb.50:                               ;   in Loop: Header=BB0_3 Depth=1
	global_load_b64 v[22:23], v[24:25], off
	v_add_nc_u32_e32 v6, -8, v0
.LBB0_51:                               ;   in Loop: Header=BB0_3 Depth=1
	s_wait_xcnt 0x0
	s_or_b32 exec_lo, exec_lo, s0
	s_delay_alu instid0(SALU_CYCLE_1) | instskip(NEXT) | instid1(VALU_DEP_1)
	s_mov_b32 s0, exec_lo
	v_cmpx_gt_u32_e32 8, v6
	s_xor_b32 s4, exec_lo, s0
	s_cbranch_execz .LBB0_57
; %bb.52:                               ;   in Loop: Header=BB0_3 Depth=1
	v_mov_b64_e32 v[24:25], 0
	s_mov_b32 s5, exec_lo
	v_cmpx_ne_u32_e32 0, v6
	s_cbranch_execz .LBB0_56
; %bb.53:                               ;   in Loop: Header=BB0_3 Depth=1
	v_mov_b64_e32 v[24:25], 0
	s_mov_b64 s[0:1], 0
	s_mov_b32 s10, 0
.LBB0_54:                               ;   Parent Loop BB0_3 Depth=1
                                        ; =>  This Inner Loop Header: Depth=2
	global_load_u8 v0, v[26:27], off
	v_dual_mov_b32 v29, s6 :: v_dual_add_nc_u32 v6, -1, v6
	s_wait_xcnt 0x0
	v_add_nc_u64_e32 v[26:27], 1, v[26:27]
	s_delay_alu instid0(VALU_DEP_2) | instskip(SKIP_3) | instid1(VALU_DEP_1)
	v_cmp_eq_u32_e32 vcc_lo, 0, v6
	s_or_b32 s10, vcc_lo, s10
	s_wait_loadcnt 0x0
	v_and_b32_e32 v28, 0xffff, v0
	v_lshlrev_b64_e32 v[28:29], s0, v[28:29]
	s_add_nc_u64 s[0:1], s[0:1], 8
	s_delay_alu instid0(VALU_DEP_1) | instskip(NEXT) | instid1(VALU_DEP_2)
	v_or_b32_e32 v25, v29, v25
	v_or_b32_e32 v24, v28, v24
	s_and_not1_b32 exec_lo, exec_lo, s10
	s_cbranch_execnz .LBB0_54
; %bb.55:                               ;   in Loop: Header=BB0_3 Depth=1
	s_or_b32 exec_lo, exec_lo, s10
.LBB0_56:                               ;   in Loop: Header=BB0_3 Depth=1
	s_delay_alu instid0(SALU_CYCLE_1)
	s_or_b32 exec_lo, exec_lo, s5
                                        ; implicit-def: $vgpr26_vgpr27
.LBB0_57:                               ;   in Loop: Header=BB0_3 Depth=1
	s_and_not1_saveexec_b32 s0, s4
	s_cbranch_execz .LBB0_59
; %bb.58:                               ;   in Loop: Header=BB0_3 Depth=1
	global_load_b64 v[24:25], v[26:27], off
.LBB0_59:                               ;   in Loop: Header=BB0_3 Depth=1
	s_wait_xcnt 0x0
	s_or_b32 exec_lo, exec_lo, s0
	v_readfirstlane_b32 s0, v30
	v_mov_b64_e32 v[36:37], 0
	s_delay_alu instid0(VALU_DEP_2)
	v_cmp_eq_u32_e64 s0, s0, v30
	s_and_saveexec_b32 s1, s0
	s_cbranch_execz .LBB0_65
; %bb.60:                               ;   in Loop: Header=BB0_3 Depth=1
	s_wait_kmcnt 0x0
	global_load_b64 v[28:29], v7, s[2:3] offset:24 scope:SCOPE_SYS
	s_wait_loadcnt 0x0
	global_inv scope:SCOPE_SYS
	s_clause 0x1
	global_load_b64 v[26:27], v7, s[2:3] offset:40
	global_load_b64 v[36:37], v7, s[2:3]
	s_mov_b32 s4, exec_lo
	s_wait_loadcnt 0x1
	v_and_b32_e32 v26, v26, v28
	v_and_b32_e32 v27, v27, v29
	s_delay_alu instid0(VALU_DEP_1) | instskip(SKIP_1) | instid1(VALU_DEP_1)
	v_mul_u64_e32 v[26:27], 24, v[26:27]
	s_wait_loadcnt 0x0
	v_add_nc_u64_e32 v[26:27], v[36:37], v[26:27]
	global_load_b64 v[26:27], v[26:27], off scope:SCOPE_SYS
	s_wait_xcnt 0x0
	s_wait_loadcnt 0x0
	global_atomic_cmpswap_b64 v[36:37], v7, v[26:29], s[2:3] offset:24 th:TH_ATOMIC_RETURN scope:SCOPE_SYS
	s_wait_loadcnt 0x0
	global_inv scope:SCOPE_SYS
	s_wait_xcnt 0x0
	v_cmpx_ne_u64_e64 v[36:37], v[28:29]
	s_cbranch_execz .LBB0_64
; %bb.61:                               ;   in Loop: Header=BB0_3 Depth=1
	s_mov_b32 s5, 0
.LBB0_62:                               ;   Parent Loop BB0_3 Depth=1
                                        ; =>  This Inner Loop Header: Depth=2
	s_sleep 1
	s_clause 0x1
	global_load_b64 v[26:27], v7, s[2:3] offset:40
	global_load_b64 v[38:39], v7, s[2:3]
	v_mov_b64_e32 v[28:29], v[36:37]
	s_wait_loadcnt 0x1
	s_delay_alu instid0(VALU_DEP_1) | instskip(SKIP_1) | instid1(VALU_DEP_1)
	v_and_b32_e32 v0, v26, v28
	s_wait_loadcnt 0x0
	v_mad_nc_u64_u32 v[36:37], v0, 24, v[38:39]
	s_delay_alu instid0(VALU_DEP_3) | instskip(NEXT) | instid1(VALU_DEP_1)
	v_and_b32_e32 v0, v27, v29
	v_mad_u32 v37, v0, 24, v37
	global_load_b64 v[26:27], v[36:37], off scope:SCOPE_SYS
	s_wait_xcnt 0x0
	s_wait_loadcnt 0x0
	global_atomic_cmpswap_b64 v[36:37], v7, v[26:29], s[2:3] offset:24 th:TH_ATOMIC_RETURN scope:SCOPE_SYS
	s_wait_loadcnt 0x0
	global_inv scope:SCOPE_SYS
	v_cmp_eq_u64_e32 vcc_lo, v[36:37], v[28:29]
	s_or_b32 s5, vcc_lo, s5
	s_wait_xcnt 0x0
	s_and_not1_b32 exec_lo, exec_lo, s5
	s_cbranch_execnz .LBB0_62
; %bb.63:                               ;   in Loop: Header=BB0_3 Depth=1
	s_or_b32 exec_lo, exec_lo, s5
.LBB0_64:                               ;   in Loop: Header=BB0_3 Depth=1
	s_delay_alu instid0(SALU_CYCLE_1)
	s_or_b32 exec_lo, exec_lo, s4
.LBB0_65:                               ;   in Loop: Header=BB0_3 Depth=1
	s_delay_alu instid0(SALU_CYCLE_1)
	s_or_b32 exec_lo, exec_lo, s1
	s_wait_kmcnt 0x0
	s_clause 0x1
	global_load_b64 v[38:39], v7, s[2:3] offset:40
	global_load_b128 v[26:29], v7, s[2:3]
	v_readfirstlane_b32 s4, v36
	v_readfirstlane_b32 s5, v37
	s_mov_b32 s1, exec_lo
	s_wait_loadcnt 0x1
	v_and_b32_e32 v38, s4, v38
	v_and_b32_e32 v39, s5, v39
	s_delay_alu instid0(VALU_DEP_1) | instskip(SKIP_1) | instid1(VALU_DEP_1)
	v_mul_u64_e32 v[36:37], 24, v[38:39]
	s_wait_loadcnt 0x0
	v_add_nc_u64_e32 v[36:37], v[26:27], v[36:37]
	s_wait_xcnt 0x0
	s_and_saveexec_b32 s10, s0
	s_cbranch_execz .LBB0_67
; %bb.66:                               ;   in Loop: Header=BB0_3 Depth=1
	v_mov_b32_e32 v6, s1
	global_store_b128 v[36:37], v[6:9], off offset:8
.LBB0_67:                               ;   in Loop: Header=BB0_3 Depth=1
	s_wait_xcnt 0x0
	s_or_b32 exec_lo, exec_lo, s10
	v_cmp_gt_u64_e32 vcc_lo, 57, v[4:5]
	v_lshlrev_b64_e32 v[38:39], 12, v[38:39]
	v_and_b32_e32 v6, 0xffffff1f, v10
	v_lshl_add_u32 v10, v34, 2, 28
	v_cndmask_b32_e32 v0, 0, v2, vcc_lo
	s_delay_alu instid0(VALU_DEP_4) | instskip(NEXT) | instid1(VALU_DEP_2)
	v_add_nc_u64_e32 v[28:29], v[28:29], v[38:39]
	v_dual_lshlrev_b32 v6, 6, v30 :: v_dual_bitop2_b32 v0, v6, v0 bitop3:0x54
	s_delay_alu instid0(VALU_DEP_2) | instskip(NEXT) | instid1(VALU_DEP_3)
	v_readfirstlane_b32 s10, v28
	v_readfirstlane_b32 s11, v29
	s_delay_alu instid0(VALU_DEP_3)
	v_and_or_b32 v10, 0x1e0, v10, v0
	s_clause 0x3
	global_store_b128 v6, v[10:13], s[10:11]
	global_store_b128 v6, v[14:17], s[10:11] offset:16
	global_store_b128 v6, v[18:21], s[10:11] offset:32
	;; [unrolled: 1-line block ×3, first 2 shown]
	s_wait_xcnt 0x0
	s_and_saveexec_b32 s1, s0
	s_cbranch_execz .LBB0_75
; %bb.68:                               ;   in Loop: Header=BB0_3 Depth=1
	s_clause 0x1
	global_load_b64 v[18:19], v7, s[2:3] offset:32 scope:SCOPE_SYS
	global_load_b64 v[10:11], v7, s[2:3] offset:40
	s_mov_b32 s10, exec_lo
	v_dual_mov_b32 v16, s4 :: v_dual_mov_b32 v17, s5
	s_wait_loadcnt 0x0
	v_and_b32_e32 v11, s5, v11
	v_and_b32_e32 v10, s4, v10
	s_delay_alu instid0(VALU_DEP_1) | instskip(NEXT) | instid1(VALU_DEP_1)
	v_mul_u64_e32 v[10:11], 24, v[10:11]
	v_add_nc_u64_e32 v[14:15], v[26:27], v[10:11]
	global_store_b64 v[14:15], v[18:19], off
	global_wb scope:SCOPE_SYS
	s_wait_storecnt 0x0
	s_wait_xcnt 0x0
	global_atomic_cmpswap_b64 v[12:13], v7, v[16:19], s[2:3] offset:32 th:TH_ATOMIC_RETURN scope:SCOPE_SYS
	s_wait_loadcnt 0x0
	v_cmpx_ne_u64_e64 v[12:13], v[18:19]
	s_cbranch_execz .LBB0_71
; %bb.69:                               ;   in Loop: Header=BB0_3 Depth=1
	s_mov_b32 s11, 0
.LBB0_70:                               ;   Parent Loop BB0_3 Depth=1
                                        ; =>  This Inner Loop Header: Depth=2
	v_dual_mov_b32 v10, s4 :: v_dual_mov_b32 v11, s5
	s_sleep 1
	global_store_b64 v[14:15], v[12:13], off
	global_wb scope:SCOPE_SYS
	s_wait_storecnt 0x0
	s_wait_xcnt 0x0
	global_atomic_cmpswap_b64 v[10:11], v7, v[10:13], s[2:3] offset:32 th:TH_ATOMIC_RETURN scope:SCOPE_SYS
	s_wait_loadcnt 0x0
	v_cmp_eq_u64_e32 vcc_lo, v[10:11], v[12:13]
	v_mov_b64_e32 v[12:13], v[10:11]
	s_or_b32 s11, vcc_lo, s11
	s_delay_alu instid0(SALU_CYCLE_1)
	s_and_not1_b32 exec_lo, exec_lo, s11
	s_cbranch_execnz .LBB0_70
.LBB0_71:                               ;   in Loop: Header=BB0_3 Depth=1
	s_or_b32 exec_lo, exec_lo, s10
	global_load_b64 v[10:11], v7, s[2:3] offset:16
	s_mov_b32 s11, exec_lo
	s_mov_b32 s10, exec_lo
	v_mbcnt_lo_u32_b32 v0, s11, 0
	s_wait_xcnt 0x0
	s_delay_alu instid0(VALU_DEP_1)
	v_cmpx_eq_u32_e32 0, v0
	s_cbranch_execz .LBB0_73
; %bb.72:                               ;   in Loop: Header=BB0_3 Depth=1
	s_bcnt1_i32_b32 s11, s11
	s_delay_alu instid0(SALU_CYCLE_1)
	v_dual_mov_b32 v13, v7 :: v_dual_mov_b32 v12, s11
	global_wb scope:SCOPE_SYS
	s_wait_loadcnt 0x0
	s_wait_storecnt 0x0
	global_atomic_add_u64 v[10:11], v[12:13], off offset:8 scope:SCOPE_SYS
.LBB0_73:                               ;   in Loop: Header=BB0_3 Depth=1
	s_wait_xcnt 0x0
	s_or_b32 exec_lo, exec_lo, s10
	s_wait_loadcnt 0x0
	global_load_b64 v[12:13], v[10:11], off offset:16
	s_wait_loadcnt 0x0
	v_cmp_eq_u64_e32 vcc_lo, 0, v[12:13]
	s_cbranch_vccnz .LBB0_75
; %bb.74:                               ;   in Loop: Header=BB0_3 Depth=1
	global_load_b32 v10, v[10:11], off offset:24
	s_wait_xcnt 0x0
	v_mov_b32_e32 v11, v7
	s_wait_loadcnt 0x0
	v_readfirstlane_b32 s10, v10
	global_wb scope:SCOPE_SYS
	s_wait_storecnt 0x0
	global_store_b64 v[12:13], v[10:11], off scope:SCOPE_SYS
	s_and_b32 m0, s10, 0xffffff
	s_sendmsg sendmsg(MSG_INTERRUPT)
.LBB0_75:                               ;   in Loop: Header=BB0_3 Depth=1
	s_wait_xcnt 0x0
	s_or_b32 exec_lo, exec_lo, s1
	v_add_nc_u64_e32 v[10:11], v[28:29], v[6:7]
	s_branch .LBB0_79
.LBB0_76:                               ;   in Loop: Header=BB0_79 Depth=2
	s_wait_xcnt 0x0
	s_or_b32 exec_lo, exec_lo, s1
	s_delay_alu instid0(VALU_DEP_1)
	v_readfirstlane_b32 s1, v0
	s_cmp_eq_u32 s1, 0
	s_cbranch_scc1 .LBB0_78
; %bb.77:                               ;   in Loop: Header=BB0_79 Depth=2
	s_sleep 1
	s_cbranch_execnz .LBB0_79
	s_branch .LBB0_81
.LBB0_78:                               ;   in Loop: Header=BB0_3 Depth=1
	s_branch .LBB0_81
.LBB0_79:                               ;   Parent Loop BB0_3 Depth=1
                                        ; =>  This Inner Loop Header: Depth=2
	v_mov_b32_e32 v0, 1
	s_and_saveexec_b32 s1, s0
	s_cbranch_execz .LBB0_76
; %bb.80:                               ;   in Loop: Header=BB0_79 Depth=2
	global_load_b32 v0, v[36:37], off offset:20 scope:SCOPE_SYS
	s_wait_loadcnt 0x0
	global_inv scope:SCOPE_SYS
	v_and_b32_e32 v0, 1, v0
	s_branch .LBB0_76
.LBB0_81:                               ;   in Loop: Header=BB0_3 Depth=1
	global_load_b128 v[10:13], v[10:11], off
	s_wait_xcnt 0x0
	s_and_saveexec_b32 s10, s0
	s_cbranch_execz .LBB0_2
; %bb.82:                               ;   in Loop: Header=BB0_3 Depth=1
	s_wait_loadcnt 0x0
	s_clause 0x2
	global_load_b64 v[12:13], v7, s[2:3] offset:40
	global_load_b64 v[20:21], v7, s[2:3] offset:24 scope:SCOPE_SYS
	global_load_b64 v[14:15], v7, s[2:3]
	s_wait_loadcnt 0x2
	v_readfirstlane_b32 s12, v12
	v_readfirstlane_b32 s13, v13
	s_add_nc_u64 s[0:1], s[12:13], 1
	s_delay_alu instid0(SALU_CYCLE_1) | instskip(NEXT) | instid1(SALU_CYCLE_1)
	s_add_nc_u64 s[4:5], s[0:1], s[4:5]
	s_cmp_eq_u64 s[4:5], 0
	s_cselect_b32 s1, s1, s5
	s_cselect_b32 s0, s0, s4
	s_delay_alu instid0(SALU_CYCLE_1) | instskip(SKIP_1) | instid1(SALU_CYCLE_1)
	v_dual_mov_b32 v19, s1 :: v_dual_mov_b32 v18, s0
	s_and_b64 s[4:5], s[0:1], s[12:13]
	s_mul_u64 s[4:5], s[4:5], 24
	s_wait_loadcnt 0x0
	v_add_nc_u64_e32 v[16:17], s[4:5], v[14:15]
	global_store_b64 v[16:17], v[20:21], off
	global_wb scope:SCOPE_SYS
	s_wait_storecnt 0x0
	s_wait_xcnt 0x0
	global_atomic_cmpswap_b64 v[14:15], v7, v[18:21], s[2:3] offset:24 th:TH_ATOMIC_RETURN scope:SCOPE_SYS
	s_wait_loadcnt 0x0
	v_cmp_ne_u64_e32 vcc_lo, v[14:15], v[20:21]
	s_and_b32 exec_lo, exec_lo, vcc_lo
	s_cbranch_execz .LBB0_2
; %bb.83:                               ;   in Loop: Header=BB0_3 Depth=1
	s_mov_b32 s4, 0
.LBB0_84:                               ;   Parent Loop BB0_3 Depth=1
                                        ; =>  This Inner Loop Header: Depth=2
	v_dual_mov_b32 v12, s0 :: v_dual_mov_b32 v13, s1
	s_sleep 1
	global_store_b64 v[16:17], v[14:15], off
	global_wb scope:SCOPE_SYS
	s_wait_storecnt 0x0
	s_wait_xcnt 0x0
	global_atomic_cmpswap_b64 v[12:13], v7, v[12:15], s[2:3] offset:24 th:TH_ATOMIC_RETURN scope:SCOPE_SYS
	s_wait_loadcnt 0x0
	v_cmp_eq_u64_e32 vcc_lo, v[12:13], v[14:15]
	v_mov_b64_e32 v[14:15], v[12:13]
	s_or_b32 s4, vcc_lo, s4
	s_delay_alu instid0(SALU_CYCLE_1)
	s_and_not1_b32 exec_lo, exec_lo, s4
	s_cbranch_execnz .LBB0_84
	s_branch .LBB0_2
.LBB0_85:
	s_or_b32 exec_lo, exec_lo, s7
	s_branch .LBB0_114
.LBB0_86:
	s_load_b64 s[2:3], s[8:9], 0x50
	v_readfirstlane_b32 s0, v30
	v_mov_b64_e32 v[8:9], 0
	s_delay_alu instid0(VALU_DEP_2)
	v_cmp_eq_u32_e64 s0, s0, v30
	s_and_saveexec_b32 s1, s0
	s_cbranch_execz .LBB0_92
; %bb.87:
	v_mov_b32_e32 v0, 0
	s_mov_b32 s4, exec_lo
	s_wait_kmcnt 0x0
	global_load_b64 v[6:7], v0, s[2:3] offset:24 scope:SCOPE_SYS
	s_wait_loadcnt 0x0
	global_inv scope:SCOPE_SYS
	s_clause 0x1
	global_load_b64 v[4:5], v0, s[2:3] offset:40
	global_load_b64 v[8:9], v0, s[2:3]
	s_wait_loadcnt 0x1
	v_and_b32_e32 v4, v4, v6
	v_and_b32_e32 v5, v5, v7
	s_delay_alu instid0(VALU_DEP_1) | instskip(SKIP_1) | instid1(VALU_DEP_1)
	v_mul_u64_e32 v[4:5], 24, v[4:5]
	s_wait_loadcnt 0x0
	v_add_nc_u64_e32 v[4:5], v[8:9], v[4:5]
	global_load_b64 v[4:5], v[4:5], off scope:SCOPE_SYS
	s_wait_xcnt 0x0
	s_wait_loadcnt 0x0
	global_atomic_cmpswap_b64 v[8:9], v0, v[4:7], s[2:3] offset:24 th:TH_ATOMIC_RETURN scope:SCOPE_SYS
	s_wait_loadcnt 0x0
	global_inv scope:SCOPE_SYS
	s_wait_xcnt 0x0
	v_cmpx_ne_u64_e64 v[8:9], v[6:7]
	s_cbranch_execz .LBB0_91
; %bb.88:
	s_mov_b32 s5, 0
.LBB0_89:                               ; =>This Inner Loop Header: Depth=1
	s_sleep 1
	s_clause 0x1
	global_load_b64 v[4:5], v0, s[2:3] offset:40
	global_load_b64 v[10:11], v0, s[2:3]
	v_mov_b64_e32 v[6:7], v[8:9]
	s_wait_loadcnt 0x1
	s_delay_alu instid0(VALU_DEP_1) | instskip(SKIP_1) | instid1(VALU_DEP_1)
	v_and_b32_e32 v2, v4, v6
	s_wait_loadcnt 0x0
	v_mad_nc_u64_u32 v[8:9], v2, 24, v[10:11]
	s_delay_alu instid0(VALU_DEP_3) | instskip(NEXT) | instid1(VALU_DEP_1)
	v_and_b32_e32 v2, v5, v7
	v_mad_u32 v9, v2, 24, v9
	global_load_b64 v[4:5], v[8:9], off scope:SCOPE_SYS
	s_wait_xcnt 0x0
	s_wait_loadcnt 0x0
	global_atomic_cmpswap_b64 v[8:9], v0, v[4:7], s[2:3] offset:24 th:TH_ATOMIC_RETURN scope:SCOPE_SYS
	s_wait_loadcnt 0x0
	global_inv scope:SCOPE_SYS
	v_cmp_eq_u64_e32 vcc_lo, v[8:9], v[6:7]
	s_or_b32 s5, vcc_lo, s5
	s_wait_xcnt 0x0
	s_and_not1_b32 exec_lo, exec_lo, s5
	s_cbranch_execnz .LBB0_89
; %bb.90:
	s_or_b32 exec_lo, exec_lo, s5
.LBB0_91:
	s_delay_alu instid0(SALU_CYCLE_1)
	s_or_b32 exec_lo, exec_lo, s4
.LBB0_92:
	s_delay_alu instid0(SALU_CYCLE_1)
	s_or_b32 exec_lo, exec_lo, s1
	v_readfirstlane_b32 s4, v8
	v_mov_b32_e32 v2, 0
	v_readfirstlane_b32 s5, v9
	s_mov_b32 s1, exec_lo
	s_wait_loadcnt 0x0
	s_wait_kmcnt 0x0
	s_clause 0x1
	global_load_b64 v[10:11], v2, s[2:3] offset:40
	global_load_b128 v[4:7], v2, s[2:3]
	s_wait_loadcnt 0x1
	v_and_b32_e32 v10, s4, v10
	v_and_b32_e32 v11, s5, v11
	s_delay_alu instid0(VALU_DEP_1) | instskip(SKIP_1) | instid1(VALU_DEP_1)
	v_mul_u64_e32 v[8:9], 24, v[10:11]
	s_wait_loadcnt 0x0
	v_add_nc_u64_e32 v[8:9], v[4:5], v[8:9]
	s_wait_xcnt 0x0
	s_and_saveexec_b32 s6, s0
	s_cbranch_execz .LBB0_94
; %bb.93:
	v_mov_b64_e32 v[14:15], 0x100000002
	v_dual_mov_b32 v12, s1 :: v_dual_mov_b32 v13, v2
	global_store_b128 v[8:9], v[12:15], off offset:8
.LBB0_94:
	s_wait_xcnt 0x0
	s_or_b32 exec_lo, exec_lo, s6
	v_lshlrev_b64_e32 v[10:11], 12, v[10:11]
	s_mov_b32 s8, 0
	v_and_or_b32 v0, 0xffffff1f, v3, 32
	s_mov_b32 s10, s8
	s_mov_b32 s11, s8
	;; [unrolled: 1-line block ×3, first 2 shown]
	v_dual_mov_b32 v3, v2 :: v_dual_lshlrev_b32 v14, 6, v30
	v_add_nc_u64_e32 v[6:7], v[6:7], v[10:11]
	v_mov_b64_e32 v[12:13], s[10:11]
	v_mov_b64_e32 v[10:11], s[8:9]
	s_delay_alu instid0(VALU_DEP_3) | instskip(NEXT) | instid1(VALU_DEP_4)
	v_readfirstlane_b32 s6, v6
	v_readfirstlane_b32 s7, v7
	s_clause 0x3
	global_store_b128 v14, v[0:3], s[6:7]
	global_store_b128 v14, v[10:13], s[6:7] offset:16
	global_store_b128 v14, v[10:13], s[6:7] offset:32
	;; [unrolled: 1-line block ×3, first 2 shown]
	s_wait_xcnt 0x0
	s_and_saveexec_b32 s1, s0
	s_cbranch_execz .LBB0_102
; %bb.95:
	v_dual_mov_b32 v6, 0 :: v_dual_mov_b32 v11, s5
	s_mov_b32 s6, exec_lo
	s_clause 0x1
	global_load_b64 v[12:13], v6, s[2:3] offset:32 scope:SCOPE_SYS
	global_load_b64 v[0:1], v6, s[2:3] offset:40
	s_wait_loadcnt 0x0
	v_dual_mov_b32 v10, s4 :: v_dual_bitop2_b32 v1, s5, v1 bitop3:0x40
	v_and_b32_e32 v0, s4, v0
	s_delay_alu instid0(VALU_DEP_1) | instskip(NEXT) | instid1(VALU_DEP_1)
	v_mul_u64_e32 v[0:1], 24, v[0:1]
	v_add_nc_u64_e32 v[4:5], v[4:5], v[0:1]
	global_store_b64 v[4:5], v[12:13], off
	global_wb scope:SCOPE_SYS
	s_wait_storecnt 0x0
	s_wait_xcnt 0x0
	global_atomic_cmpswap_b64 v[2:3], v6, v[10:13], s[2:3] offset:32 th:TH_ATOMIC_RETURN scope:SCOPE_SYS
	s_wait_loadcnt 0x0
	v_cmpx_ne_u64_e64 v[2:3], v[12:13]
	s_cbranch_execz .LBB0_98
; %bb.96:
	s_mov_b32 s7, 0
.LBB0_97:                               ; =>This Inner Loop Header: Depth=1
	v_dual_mov_b32 v0, s4 :: v_dual_mov_b32 v1, s5
	s_sleep 1
	global_store_b64 v[4:5], v[2:3], off
	global_wb scope:SCOPE_SYS
	s_wait_storecnt 0x0
	s_wait_xcnt 0x0
	global_atomic_cmpswap_b64 v[0:1], v6, v[0:3], s[2:3] offset:32 th:TH_ATOMIC_RETURN scope:SCOPE_SYS
	s_wait_loadcnt 0x0
	v_cmp_eq_u64_e32 vcc_lo, v[0:1], v[2:3]
	v_mov_b64_e32 v[2:3], v[0:1]
	s_or_b32 s7, vcc_lo, s7
	s_delay_alu instid0(SALU_CYCLE_1)
	s_and_not1_b32 exec_lo, exec_lo, s7
	s_cbranch_execnz .LBB0_97
.LBB0_98:
	s_or_b32 exec_lo, exec_lo, s6
	v_mov_b32_e32 v3, 0
	s_mov_b32 s7, exec_lo
	s_mov_b32 s6, exec_lo
	v_mbcnt_lo_u32_b32 v2, s7, 0
	global_load_b64 v[0:1], v3, s[2:3] offset:16
	s_wait_xcnt 0x0
	v_cmpx_eq_u32_e32 0, v2
	s_cbranch_execz .LBB0_100
; %bb.99:
	s_bcnt1_i32_b32 s7, s7
	s_delay_alu instid0(SALU_CYCLE_1)
	v_mov_b32_e32 v2, s7
	global_wb scope:SCOPE_SYS
	s_wait_loadcnt 0x0
	s_wait_storecnt 0x0
	global_atomic_add_u64 v[0:1], v[2:3], off offset:8 scope:SCOPE_SYS
.LBB0_100:
	s_wait_xcnt 0x0
	s_or_b32 exec_lo, exec_lo, s6
	s_wait_loadcnt 0x0
	global_load_b64 v[2:3], v[0:1], off offset:16
	s_wait_loadcnt 0x0
	v_cmp_eq_u64_e32 vcc_lo, 0, v[2:3]
	s_cbranch_vccnz .LBB0_102
; %bb.101:
	global_load_b32 v0, v[0:1], off offset:24
	s_wait_xcnt 0x0
	v_mov_b32_e32 v1, 0
	s_wait_loadcnt 0x0
	v_readfirstlane_b32 s6, v0
	global_wb scope:SCOPE_SYS
	s_wait_storecnt 0x0
	global_store_b64 v[2:3], v[0:1], off scope:SCOPE_SYS
	s_and_b32 m0, s6, 0xffffff
	s_sendmsg sendmsg(MSG_INTERRUPT)
.LBB0_102:
	s_wait_xcnt 0x0
	s_or_b32 exec_lo, exec_lo, s1
	s_branch .LBB0_106
.LBB0_103:                              ;   in Loop: Header=BB0_106 Depth=1
	s_wait_xcnt 0x0
	s_or_b32 exec_lo, exec_lo, s1
	s_delay_alu instid0(VALU_DEP_1)
	v_readfirstlane_b32 s1, v0
	s_cmp_eq_u32 s1, 0
	s_cbranch_scc1 .LBB0_105
; %bb.104:                              ;   in Loop: Header=BB0_106 Depth=1
	s_sleep 1
	s_cbranch_execnz .LBB0_106
	s_branch .LBB0_108
.LBB0_105:
	s_branch .LBB0_108
.LBB0_106:                              ; =>This Inner Loop Header: Depth=1
	v_mov_b32_e32 v0, 1
	s_and_saveexec_b32 s1, s0
	s_cbranch_execz .LBB0_103
; %bb.107:                              ;   in Loop: Header=BB0_106 Depth=1
	global_load_b32 v0, v[8:9], off offset:20 scope:SCOPE_SYS
	s_wait_loadcnt 0x0
	global_inv scope:SCOPE_SYS
	v_and_b32_e32 v0, 1, v0
	s_branch .LBB0_103
.LBB0_108:
	s_and_saveexec_b32 s6, s0
	s_cbranch_execz .LBB0_112
; %bb.109:
	v_mov_b32_e32 v6, 0
	s_clause 0x2
	global_load_b64 v[0:1], v6, s[2:3] offset:40
	global_load_b64 v[10:11], v6, s[2:3] offset:24 scope:SCOPE_SYS
	global_load_b64 v[2:3], v6, s[2:3]
	s_wait_loadcnt 0x2
	v_readfirstlane_b32 s8, v0
	v_readfirstlane_b32 s9, v1
	s_add_nc_u64 s[0:1], s[8:9], 1
	s_delay_alu instid0(SALU_CYCLE_1) | instskip(NEXT) | instid1(SALU_CYCLE_1)
	s_add_nc_u64 s[4:5], s[0:1], s[4:5]
	s_cmp_eq_u64 s[4:5], 0
	s_cselect_b32 s1, s1, s5
	s_cselect_b32 s0, s0, s4
	v_mov_b32_e32 v9, s1
	s_and_b64 s[4:5], s[0:1], s[8:9]
	v_mov_b32_e32 v8, s0
	s_mul_u64 s[4:5], s[4:5], 24
	s_wait_loadcnt 0x0
	v_add_nc_u64_e32 v[4:5], s[4:5], v[2:3]
	global_store_b64 v[4:5], v[10:11], off
	global_wb scope:SCOPE_SYS
	s_wait_storecnt 0x0
	s_wait_xcnt 0x0
	global_atomic_cmpswap_b64 v[2:3], v6, v[8:11], s[2:3] offset:24 th:TH_ATOMIC_RETURN scope:SCOPE_SYS
	s_wait_loadcnt 0x0
	v_cmp_ne_u64_e32 vcc_lo, v[2:3], v[10:11]
	s_and_b32 exec_lo, exec_lo, vcc_lo
	s_cbranch_execz .LBB0_112
; %bb.110:
	s_mov_b32 s4, 0
.LBB0_111:                              ; =>This Inner Loop Header: Depth=1
	v_dual_mov_b32 v0, s0 :: v_dual_mov_b32 v1, s1
	s_sleep 1
	global_store_b64 v[4:5], v[2:3], off
	global_wb scope:SCOPE_SYS
	s_wait_storecnt 0x0
	s_wait_xcnt 0x0
	global_atomic_cmpswap_b64 v[0:1], v6, v[0:3], s[2:3] offset:24 th:TH_ATOMIC_RETURN scope:SCOPE_SYS
	s_wait_loadcnt 0x0
	v_cmp_eq_u64_e32 vcc_lo, v[0:1], v[2:3]
	v_mov_b64_e32 v[2:3], v[0:1]
	s_or_b32 s4, vcc_lo, s4
	s_delay_alu instid0(SALU_CYCLE_1)
	s_and_not1_b32 exec_lo, exec_lo, s4
	s_cbranch_execnz .LBB0_111
.LBB0_112:
	s_or_b32 exec_lo, exec_lo, s6
	s_wait_loadcnt 0x0
	s_wait_kmcnt 0x0
	s_set_pc_i64 s[30:31]
.LBB0_113:
	s_cbranch_execnz .LBB0_86
.LBB0_114:
	s_wait_loadcnt 0x0
	s_wait_kmcnt 0x0
	s_set_pc_i64 s[30:31]
.Lfunc_end0:
	.size	__ockl_fprintf_append_string_n, .Lfunc_end0-__ockl_fprintf_append_string_n
                                        ; -- End function
	.set .L__ockl_fprintf_append_string_n.num_vgpr, 40
	.set .L__ockl_fprintf_append_string_n.num_agpr, 0
	.set .L__ockl_fprintf_append_string_n.numbered_sgpr, 32
	.set .L__ockl_fprintf_append_string_n.num_named_barrier, 0
	.set .L__ockl_fprintf_append_string_n.private_seg_size, 0
	.set .L__ockl_fprintf_append_string_n.uses_vcc, 1
	.set .L__ockl_fprintf_append_string_n.uses_flat_scratch, 0
	.set .L__ockl_fprintf_append_string_n.has_dyn_sized_stack, 0
	.set .L__ockl_fprintf_append_string_n.has_recursion, 0
	.set .L__ockl_fprintf_append_string_n.has_indirect_call, 0
	.section	.AMDGPU.csdata,"",@progbits
; Function info:
; codeLenInByte = 4324
; TotalNumSgprs: 34
; NumVgprs: 40
; ScratchSize: 0
; MemoryBound: 0
	.text
	.p2align	2                               ; -- Begin function __assert_fail
	.type	__assert_fail,@function
__assert_fail:                          ; @__assert_fail
; %bb.0:
	s_wait_loadcnt_dscnt 0x0
	s_wait_kmcnt 0x0
	s_mov_b32 s20, s33
	s_mov_b32 s33, s32
	s_or_saveexec_b32 s0, -1
	scratch_store_b32 off, v40, s33 offset:48 ; 4-byte Folded Spill
	s_wait_xcnt 0x0
	s_mov_b32 exec_lo, s0
	v_writelane_b32 v40, s30, 0
	s_add_co_i32 s32, s32, 64
	v_writelane_b32 v40, s31, 1
	v_mov_b32_e32 v8, 0
	s_get_pc_i64 s[0:1]
	s_add_nc_u64 s[0:1], s[0:1], __const.__assert_fail.fmt@rel64+35
	v_dual_mov_b32 v5, v1 :: v_dual_mov_b32 v4, v0
	s_get_pc_i64 s[10:11]
	s_add_nc_u64 s[10:11], s[10:11], __const.__assert_fail.fmt@rel64+20
	global_load_b128 v[0:3], v8, s[0:1]
	s_wait_xcnt 0x0
	s_get_pc_i64 s[0:1]
	s_add_nc_u64 s[0:1], s[0:1], __const.__assert_fail.fmt@rel64+4
	s_clause 0x1
	s_load_b128 s[4:7], s[0:1], 0x0
	s_load_b128 s[12:15], s[10:11], 0x0
	s_load_b64 s[2:3], s[8:9], 0x50
	v_mbcnt_lo_u32_b32 v48, -1, 0
	v_mov_b64_e32 v[6:7], 0
	s_wait_xcnt 0x0
	s_delay_alu instid0(VALU_DEP_2) | instskip(NEXT) | instid1(VALU_DEP_1)
	v_readfirstlane_b32 s0, v48
	v_cmp_eq_u32_e64 s0, s0, v48
	s_wait_kmcnt 0x0
	v_mov_b64_e32 v[12:13], s[6:7]
	v_mov_b64_e32 v[10:11], s[4:5]
	;; [unrolled: 1-line block ×4, first 2 shown]
	s_clause 0x1
	scratch_store_b128 off, v[10:13], s33
	scratch_store_b128 off, v[14:17], s33 offset:16
	s_wait_loadcnt 0x0
	scratch_store_b128 off, v[0:3], s33 offset:31
	s_wait_xcnt 0x0
	s_and_saveexec_b32 s1, s0
	s_cbranch_execz .LBB1_6
; %bb.1:
	global_load_b64 v[2:3], v8, s[2:3] offset:24 scope:SCOPE_SYS
	s_wait_loadcnt 0x0
	global_inv scope:SCOPE_SYS
	s_clause 0x1
	global_load_b64 v[0:1], v8, s[2:3] offset:40
	global_load_b64 v[6:7], v8, s[2:3]
	s_mov_b32 s4, exec_lo
	s_wait_loadcnt 0x1
	v_and_b32_e32 v0, v0, v2
	v_and_b32_e32 v1, v1, v3
	s_delay_alu instid0(VALU_DEP_1) | instskip(SKIP_1) | instid1(VALU_DEP_1)
	v_mul_u64_e32 v[0:1], 24, v[0:1]
	s_wait_loadcnt 0x0
	v_add_nc_u64_e32 v[0:1], v[6:7], v[0:1]
	global_load_b64 v[0:1], v[0:1], off scope:SCOPE_SYS
	s_wait_xcnt 0x0
	s_wait_loadcnt 0x0
	global_atomic_cmpswap_b64 v[6:7], v8, v[0:3], s[2:3] offset:24 th:TH_ATOMIC_RETURN scope:SCOPE_SYS
	s_wait_loadcnt 0x0
	global_inv scope:SCOPE_SYS
	s_wait_xcnt 0x0
	v_cmpx_ne_u64_e64 v[6:7], v[2:3]
	s_cbranch_execz .LBB1_5
; %bb.2:
	v_mov_b32_e32 v0, 0
	s_mov_b32 s5, 0
.LBB1_3:                                ; =>This Inner Loop Header: Depth=1
	s_sleep 1
	s_clause 0x1
	global_load_b64 v[2:3], v0, s[2:3] offset:40
	global_load_b64 v[10:11], v0, s[2:3]
	v_mov_b64_e32 v[12:13], v[6:7]
	s_wait_loadcnt 0x1
	s_delay_alu instid0(VALU_DEP_1) | instskip(SKIP_1) | instid1(VALU_DEP_1)
	v_and_b32_e32 v1, v2, v12
	s_wait_loadcnt 0x0
	v_mad_nc_u64_u32 v[6:7], v1, 24, v[10:11]
	s_delay_alu instid0(VALU_DEP_3) | instskip(NEXT) | instid1(VALU_DEP_1)
	v_and_b32_e32 v1, v3, v13
	v_mad_u32 v7, v1, 24, v7
	global_load_b64 v[10:11], v[6:7], off scope:SCOPE_SYS
	s_wait_xcnt 0x0
	s_wait_loadcnt 0x0
	global_atomic_cmpswap_b64 v[6:7], v0, v[10:13], s[2:3] offset:24 th:TH_ATOMIC_RETURN scope:SCOPE_SYS
	s_wait_loadcnt 0x0
	global_inv scope:SCOPE_SYS
	v_cmp_eq_u64_e32 vcc_lo, v[6:7], v[12:13]
	s_or_b32 s5, vcc_lo, s5
	s_wait_xcnt 0x0
	s_and_not1_b32 exec_lo, exec_lo, s5
	s_cbranch_execnz .LBB1_3
; %bb.4:
	s_or_b32 exec_lo, exec_lo, s5
.LBB1_5:
	s_delay_alu instid0(SALU_CYCLE_1)
	s_or_b32 exec_lo, exec_lo, s4
.LBB1_6:
	s_delay_alu instid0(SALU_CYCLE_1)
	s_or_b32 exec_lo, exec_lo, s1
	s_clause 0x1
	global_load_b64 v[10:11], v8, s[2:3] offset:40
	global_load_b128 v[0:3], v8, s[2:3]
	v_readfirstlane_b32 s4, v6
	v_readfirstlane_b32 s5, v7
	s_mov_b32 s1, exec_lo
	s_wait_loadcnt 0x1
	s_wait_xcnt 0x0
	v_and_b32_e32 v8, s4, v10
	v_and_b32_e32 v9, s5, v11
	s_delay_alu instid0(VALU_DEP_1) | instskip(SKIP_1) | instid1(VALU_DEP_1)
	v_mul_u64_e32 v[6:7], 24, v[8:9]
	s_wait_loadcnt 0x0
	v_add_nc_u64_e32 v[6:7], v[0:1], v[6:7]
	s_and_saveexec_b32 s6, s0
	s_cbranch_execz .LBB1_8
; %bb.7:
	v_mov_b64_e32 v[12:13], 0x100000002
	v_dual_mov_b32 v10, s1 :: v_dual_mov_b32 v11, 0
	global_store_b128 v[6:7], v[10:13], off offset:8
.LBB1_8:
	s_wait_xcnt 0x0
	s_or_b32 exec_lo, exec_lo, s6
	v_lshlrev_b64_e32 v[8:9], 12, v[8:9]
	s_mov_b32 s12, 0
	v_dual_mov_b32 v31, 0 :: v_dual_lshlrev_b32 v30, 6, v48
	s_mov_b32 s14, s12
	s_mov_b32 s15, s12
	;; [unrolled: 1-line block ×3, first 2 shown]
	s_delay_alu instid0(VALU_DEP_2)
	v_add_nc_u64_e32 v[8:9], v[2:3], v[8:9]
	v_mov_b64_e32 v[16:17], s[14:15]
	v_mov_b64_e32 v[14:15], s[12:13]
	v_dual_mov_b32 v10, 33 :: v_dual_mov_b32 v12, 1
	v_dual_mov_b32 v11, v31 :: v_dual_mov_b32 v13, v31
	v_readfirstlane_b32 s6, v8
	v_readfirstlane_b32 s7, v9
	s_clause 0x3
	global_store_b128 v30, v[10:13], s[6:7]
	global_store_b128 v30, v[14:17], s[6:7] offset:16
	global_store_b128 v30, v[14:17], s[6:7] offset:32
	;; [unrolled: 1-line block ×3, first 2 shown]
	s_wait_xcnt 0x0
	s_and_saveexec_b32 s1, s0
	s_cbranch_execz .LBB1_16
; %bb.9:
	s_clause 0x1
	global_load_b64 v[14:15], v31, s[2:3] offset:32 scope:SCOPE_SYS
	global_load_b64 v[2:3], v31, s[2:3] offset:40
	s_mov_b32 s6, exec_lo
	v_dual_mov_b32 v12, s4 :: v_dual_mov_b32 v13, s5
	s_wait_loadcnt 0x0
	v_and_b32_e32 v3, s5, v3
	v_and_b32_e32 v2, s4, v2
	s_delay_alu instid0(VALU_DEP_1) | instskip(NEXT) | instid1(VALU_DEP_1)
	v_mul_u64_e32 v[2:3], 24, v[2:3]
	v_add_nc_u64_e32 v[10:11], v[0:1], v[2:3]
	global_store_b64 v[10:11], v[14:15], off
	global_wb scope:SCOPE_SYS
	s_wait_storecnt 0x0
	s_wait_xcnt 0x0
	global_atomic_cmpswap_b64 v[2:3], v31, v[12:15], s[2:3] offset:32 th:TH_ATOMIC_RETURN scope:SCOPE_SYS
	s_wait_loadcnt 0x0
	v_cmpx_ne_u64_e64 v[2:3], v[14:15]
	s_cbranch_execz .LBB1_12
; %bb.10:
	v_mov_b32_e32 v12, 0
	s_mov_b32 s7, 0
.LBB1_11:                               ; =>This Inner Loop Header: Depth=1
	v_dual_mov_b32 v0, s4 :: v_dual_mov_b32 v1, s5
	s_sleep 1
	global_store_b64 v[10:11], v[2:3], off
	global_wb scope:SCOPE_SYS
	s_wait_storecnt 0x0
	s_wait_xcnt 0x0
	global_atomic_cmpswap_b64 v[0:1], v12, v[0:3], s[2:3] offset:32 th:TH_ATOMIC_RETURN scope:SCOPE_SYS
	s_wait_loadcnt 0x0
	v_cmp_eq_u64_e32 vcc_lo, v[0:1], v[2:3]
	v_mov_b64_e32 v[2:3], v[0:1]
	s_or_b32 s7, vcc_lo, s7
	s_delay_alu instid0(SALU_CYCLE_1)
	s_and_not1_b32 exec_lo, exec_lo, s7
	s_cbranch_execnz .LBB1_11
.LBB1_12:
	s_or_b32 exec_lo, exec_lo, s6
	v_mov_b32_e32 v3, 0
	s_mov_b32 s7, exec_lo
	s_mov_b32 s6, exec_lo
	v_mbcnt_lo_u32_b32 v2, s7, 0
	global_load_b64 v[0:1], v3, s[2:3] offset:16
	s_wait_xcnt 0x0
	v_cmpx_eq_u32_e32 0, v2
	s_cbranch_execz .LBB1_14
; %bb.13:
	s_bcnt1_i32_b32 s7, s7
	s_delay_alu instid0(SALU_CYCLE_1)
	v_mov_b32_e32 v2, s7
	global_wb scope:SCOPE_SYS
	s_wait_loadcnt 0x0
	s_wait_storecnt 0x0
	global_atomic_add_u64 v[0:1], v[2:3], off offset:8 scope:SCOPE_SYS
.LBB1_14:
	s_wait_xcnt 0x0
	s_or_b32 exec_lo, exec_lo, s6
	s_wait_loadcnt 0x0
	global_load_b64 v[2:3], v[0:1], off offset:16
	s_wait_loadcnt 0x0
	v_cmp_eq_u64_e32 vcc_lo, 0, v[2:3]
	s_cbranch_vccnz .LBB1_16
; %bb.15:
	global_load_b32 v0, v[0:1], off offset:24
	s_wait_xcnt 0x0
	v_mov_b32_e32 v1, 0
	s_wait_loadcnt 0x0
	v_readfirstlane_b32 s6, v0
	global_wb scope:SCOPE_SYS
	s_wait_storecnt 0x0
	global_store_b64 v[2:3], v[0:1], off scope:SCOPE_SYS
	s_and_b32 m0, s6, 0xffffff
	s_sendmsg sendmsg(MSG_INTERRUPT)
.LBB1_16:
	s_wait_xcnt 0x0
	s_or_b32 exec_lo, exec_lo, s1
	v_add_nc_u64_e32 v[0:1], v[8:9], v[30:31]
	s_branch .LBB1_20
.LBB1_17:                               ;   in Loop: Header=BB1_20 Depth=1
	s_wait_xcnt 0x0
	s_or_b32 exec_lo, exec_lo, s1
	s_delay_alu instid0(VALU_DEP_1)
	v_readfirstlane_b32 s1, v2
	s_cmp_eq_u32 s1, 0
	s_cbranch_scc1 .LBB1_19
; %bb.18:                               ;   in Loop: Header=BB1_20 Depth=1
	s_sleep 1
	s_cbranch_execnz .LBB1_20
	s_branch .LBB1_22
.LBB1_19:
	s_branch .LBB1_22
.LBB1_20:                               ; =>This Inner Loop Header: Depth=1
	v_mov_b32_e32 v2, 1
	s_and_saveexec_b32 s1, s0
	s_cbranch_execz .LBB1_17
; %bb.21:                               ;   in Loop: Header=BB1_20 Depth=1
	global_load_b32 v2, v[6:7], off offset:20 scope:SCOPE_SYS
	s_wait_loadcnt 0x0
	global_inv scope:SCOPE_SYS
	v_and_b32_e32 v2, 1, v2
	s_branch .LBB1_17
.LBB1_22:
	global_load_b64 v[6:7], v[0:1], off
	s_wait_xcnt 0x0
	s_and_saveexec_b32 s6, s0
	s_cbranch_execz .LBB1_26
; %bb.23:
	v_mov_b32_e32 v10, 0
	s_clause 0x2
	global_load_b64 v[0:1], v10, s[2:3] offset:40
	global_load_b64 v[14:15], v10, s[2:3] offset:24 scope:SCOPE_SYS
	global_load_b64 v[2:3], v10, s[2:3]
	s_wait_loadcnt 0x2
	v_readfirstlane_b32 s10, v0
	v_readfirstlane_b32 s11, v1
	s_add_nc_u64 s[0:1], s[10:11], 1
	s_delay_alu instid0(SALU_CYCLE_1) | instskip(NEXT) | instid1(SALU_CYCLE_1)
	s_add_nc_u64 s[4:5], s[0:1], s[4:5]
	s_cmp_eq_u64 s[4:5], 0
	s_cselect_b32 s1, s1, s5
	s_cselect_b32 s0, s0, s4
	v_mov_b32_e32 v13, s1
	s_and_b64 s[4:5], s[0:1], s[10:11]
	v_mov_b32_e32 v12, s0
	s_mul_u64 s[4:5], s[4:5], 24
	s_wait_loadcnt 0x0
	v_add_nc_u64_e32 v[8:9], s[4:5], v[2:3]
	global_store_b64 v[8:9], v[14:15], off
	global_wb scope:SCOPE_SYS
	s_wait_storecnt 0x0
	s_wait_xcnt 0x0
	global_atomic_cmpswap_b64 v[2:3], v10, v[12:15], s[2:3] offset:24 th:TH_ATOMIC_RETURN scope:SCOPE_SYS
	s_wait_loadcnt 0x0
	v_cmp_ne_u64_e32 vcc_lo, v[2:3], v[14:15]
	s_and_b32 exec_lo, exec_lo, vcc_lo
	s_cbranch_execz .LBB1_26
; %bb.24:
	s_mov_b32 s4, 0
.LBB1_25:                               ; =>This Inner Loop Header: Depth=1
	v_dual_mov_b32 v0, s0 :: v_dual_mov_b32 v1, s1
	s_sleep 1
	global_store_b64 v[8:9], v[2:3], off
	global_wb scope:SCOPE_SYS
	s_wait_storecnt 0x0
	s_wait_xcnt 0x0
	global_atomic_cmpswap_b64 v[0:1], v10, v[0:3], s[2:3] offset:24 th:TH_ATOMIC_RETURN scope:SCOPE_SYS
	s_wait_loadcnt 0x0
	v_cmp_eq_u64_e32 vcc_lo, v[0:1], v[2:3]
	v_mov_b64_e32 v[2:3], v[0:1]
	s_or_b32 s4, vcc_lo, s4
	s_delay_alu instid0(SALU_CYCLE_1)
	s_and_not1_b32 exec_lo, exec_lo, s4
	s_cbranch_execnz .LBB1_25
.LBB1_26:
	s_or_b32 exec_lo, exec_lo, s6
	s_mov_b32 s1, s33
	s_mov_b32 s0, 0
.LBB1_27:                               ; =>This Inner Loop Header: Depth=1
	scratch_load_u8 v0, off, s1
	s_wait_xcnt 0x0
	s_add_co_i32 s1, s1, 1
	s_wait_loadcnt 0x0
	v_cmp_eq_u16_e32 vcc_lo, 0, v0
	v_mov_b32_e32 v0, s1
	s_or_b32 s0, vcc_lo, s0
	s_delay_alu instid0(SALU_CYCLE_1)
	s_and_not1_b32 exec_lo, exec_lo, s0
	s_cbranch_execnz .LBB1_27
; %bb.28:
	s_or_b32 exec_lo, exec_lo, s0
	s_cmp_lg_u32 s33, -1
	s_cbranch_scc0 .LBB1_113
; %bb.29:
	s_mov_b64 s[0:1], src_flat_scratch_base_lo
	v_mov_b64_e32 v[10:11], 0x100000002
	v_dual_add_nc_u32 v0, s0, v0 :: v_dual_bitop2_b32 v28, 2, v6 bitop3:0x40
	s_add_co_i32 s0, s33, s0
	v_dual_mov_b32 v31, 0 :: v_dual_mov_b32 v29, s33
	s_delay_alu instid0(VALU_DEP_2) | instskip(SKIP_3) | instid1(VALU_DEP_2)
	v_subrev_nc_u32_e32 v32, s0, v0
	v_dual_mov_b32 v1, v7 :: v_dual_bitop2_b32 v0, -3, v6 bitop3:0x40
	s_mov_b32 s7, 0
	s_mov_b32 s6, 0
	v_ashrrev_i32_e32 v33, 31, v32
	s_branch .LBB1_31
.LBB1_30:                               ;   in Loop: Header=BB1_31 Depth=1
	s_or_b32 exec_lo, exec_lo, s10
	v_sub_nc_u64_e32 v[32:33], v[32:33], v[34:35]
	v_add_nc_u32_e32 v29, v29, v34
	s_delay_alu instid0(VALU_DEP_2) | instskip(SKIP_1) | instid1(SALU_CYCLE_1)
	v_cmp_eq_u64_e32 vcc_lo, 0, v[32:33]
	s_or_b32 s6, vcc_lo, s6
	s_and_not1_b32 exec_lo, exec_lo, s6
	s_cbranch_execz .LBB1_192
.LBB1_31:                               ; =>This Loop Header: Depth=1
                                        ;     Child Loop BB1_34 Depth 2
                                        ;     Child Loop BB1_42 Depth 2
	;; [unrolled: 1-line block ×11, first 2 shown]
	s_delay_alu instid0(VALU_DEP_1)
	v_min_u64 v[34:35], v[32:33], 56
	v_add_nc_u32_e32 v9, 8, v29
	s_mov_b32 s0, exec_lo
	v_cmpx_gt_u64_e32 8, v[32:33]
	s_xor_b32 s4, exec_lo, s0
	s_cbranch_execz .LBB1_37
; %bb.32:                               ;   in Loop: Header=BB1_31 Depth=1
	v_mov_b64_e32 v[2:3], 0
	s_mov_b32 s5, exec_lo
	v_cmpx_ne_u64_e32 0, v[32:33]
	s_cbranch_execz .LBB1_36
; %bb.33:                               ;   in Loop: Header=BB1_31 Depth=1
	v_mov_b64_e32 v[2:3], 0
	v_dual_mov_b32 v9, v29 :: v_dual_lshlrev_b32 v8, 3, v34
	s_mov_b64 s[0:1], 0
	s_mov_b32 s10, 0
.LBB1_34:                               ;   Parent Loop BB1_31 Depth=1
                                        ; =>  This Inner Loop Header: Depth=2
	scratch_load_u8 v12, v9, off
	s_wait_xcnt 0x0
	v_dual_mov_b32 v13, s7 :: v_dual_add_nc_u32 v9, 1, v9
	s_wait_loadcnt 0x0
	v_and_b32_e32 v12, 0xffff, v12
	s_delay_alu instid0(VALU_DEP_1) | instskip(SKIP_1) | instid1(SALU_CYCLE_1)
	v_lshlrev_b64_e32 v[12:13], s0, v[12:13]
	s_add_nc_u64 s[0:1], s[0:1], 8
	v_cmp_eq_u32_e32 vcc_lo, s0, v8
	s_delay_alu instid0(VALU_DEP_2) | instskip(NEXT) | instid1(VALU_DEP_3)
	v_or_b32_e32 v3, v13, v3
	v_or_b32_e32 v2, v12, v2
	s_or_b32 s10, vcc_lo, s10
	s_delay_alu instid0(SALU_CYCLE_1)
	s_and_not1_b32 exec_lo, exec_lo, s10
	s_cbranch_execnz .LBB1_34
; %bb.35:                               ;   in Loop: Header=BB1_31 Depth=1
	s_or_b32 exec_lo, exec_lo, s10
.LBB1_36:                               ;   in Loop: Header=BB1_31 Depth=1
	s_delay_alu instid0(SALU_CYCLE_1)
	s_or_b32 exec_lo, exec_lo, s5
	v_mov_b32_e32 v9, v29
.LBB1_37:                               ;   in Loop: Header=BB1_31 Depth=1
	s_or_saveexec_b32 s0, s4
	v_mov_b32_e32 v14, 0
	s_xor_b32 exec_lo, exec_lo, s0
	s_cbranch_execz .LBB1_39
; %bb.38:                               ;   in Loop: Header=BB1_31 Depth=1
	scratch_load_b64 v[2:3], v29, off
	v_add_nc_u32_e32 v14, -8, v34
.LBB1_39:                               ;   in Loop: Header=BB1_31 Depth=1
	s_wait_xcnt 0x0
	s_or_b32 exec_lo, exec_lo, s0
	v_add_nc_u32_e32 v8, 8, v9
                                        ; implicit-def: $vgpr12_vgpr13
	s_mov_b32 s0, exec_lo
	v_cmpx_gt_u32_e32 8, v14
	s_xor_b32 s4, exec_lo, s0
	s_cbranch_execz .LBB1_45
; %bb.40:                               ;   in Loop: Header=BB1_31 Depth=1
	v_mov_b64_e32 v[12:13], 0
	s_mov_b32 s5, exec_lo
	v_cmpx_ne_u32_e32 0, v14
	s_cbranch_execz .LBB1_44
; %bb.41:                               ;   in Loop: Header=BB1_31 Depth=1
	v_mov_b64_e32 v[12:13], 0
	s_mov_b64 s[0:1], 0
	s_mov_b32 s10, 0
	s_mov_b32 s11, 0
.LBB1_42:                               ;   Parent Loop BB1_31 Depth=1
                                        ; =>  This Inner Loop Header: Depth=2
	scratch_load_u8 v8, v9, s11
	v_mov_b32_e32 v17, s7
	s_wait_xcnt 0x0
	s_add_co_i32 s11, s11, 1
	s_delay_alu instid0(SALU_CYCLE_1) | instskip(SKIP_3) | instid1(VALU_DEP_1)
	v_cmp_eq_u32_e32 vcc_lo, s11, v14
	s_or_b32 s10, vcc_lo, s10
	s_wait_loadcnt 0x0
	v_and_b32_e32 v16, 0xffff, v8
	v_lshlrev_b64_e32 v[16:17], s0, v[16:17]
	s_add_nc_u64 s[0:1], s[0:1], 8
	s_delay_alu instid0(VALU_DEP_1) | instskip(NEXT) | instid1(VALU_DEP_2)
	v_or_b32_e32 v13, v17, v13
	v_or_b32_e32 v12, v16, v12
	s_and_not1_b32 exec_lo, exec_lo, s10
	s_cbranch_execnz .LBB1_42
; %bb.43:                               ;   in Loop: Header=BB1_31 Depth=1
	s_or_b32 exec_lo, exec_lo, s10
.LBB1_44:                               ;   in Loop: Header=BB1_31 Depth=1
	s_delay_alu instid0(SALU_CYCLE_1)
	s_or_b32 exec_lo, exec_lo, s5
	v_mov_b32_e32 v8, v9
                                        ; implicit-def: $vgpr14
.LBB1_45:                               ;   in Loop: Header=BB1_31 Depth=1
	s_or_saveexec_b32 s0, s4
	v_mov_b32_e32 v16, 0
	s_xor_b32 exec_lo, exec_lo, s0
	s_cbranch_execz .LBB1_47
; %bb.46:                               ;   in Loop: Header=BB1_31 Depth=1
	scratch_load_b64 v[12:13], v9, off
	v_add_nc_u32_e32 v16, -8, v14
.LBB1_47:                               ;   in Loop: Header=BB1_31 Depth=1
	s_wait_xcnt 0x0
	s_or_b32 exec_lo, exec_lo, s0
	v_add_nc_u32_e32 v9, 8, v8
	s_mov_b32 s0, exec_lo
	v_cmpx_gt_u32_e32 8, v16
	s_xor_b32 s4, exec_lo, s0
	s_cbranch_execz .LBB1_53
; %bb.48:                               ;   in Loop: Header=BB1_31 Depth=1
	v_mov_b64_e32 v[14:15], 0
	s_mov_b32 s5, exec_lo
	v_cmpx_ne_u32_e32 0, v16
	s_cbranch_execz .LBB1_52
; %bb.49:                               ;   in Loop: Header=BB1_31 Depth=1
	v_mov_b64_e32 v[14:15], 0
	s_mov_b64 s[0:1], 0
	s_mov_b32 s10, 0
	s_mov_b32 s11, 0
.LBB1_50:                               ;   Parent Loop BB1_31 Depth=1
                                        ; =>  This Inner Loop Header: Depth=2
	scratch_load_u8 v9, v8, s11
	v_mov_b32_e32 v19, s7
	s_wait_xcnt 0x0
	s_add_co_i32 s11, s11, 1
	s_delay_alu instid0(SALU_CYCLE_1) | instskip(SKIP_3) | instid1(VALU_DEP_1)
	v_cmp_eq_u32_e32 vcc_lo, s11, v16
	s_or_b32 s10, vcc_lo, s10
	s_wait_loadcnt 0x0
	v_and_b32_e32 v18, 0xffff, v9
	v_lshlrev_b64_e32 v[18:19], s0, v[18:19]
	s_add_nc_u64 s[0:1], s[0:1], 8
	s_delay_alu instid0(VALU_DEP_1) | instskip(NEXT) | instid1(VALU_DEP_2)
	v_or_b32_e32 v15, v19, v15
	v_or_b32_e32 v14, v18, v14
	s_and_not1_b32 exec_lo, exec_lo, s10
	s_cbranch_execnz .LBB1_50
; %bb.51:                               ;   in Loop: Header=BB1_31 Depth=1
	s_or_b32 exec_lo, exec_lo, s10
.LBB1_52:                               ;   in Loop: Header=BB1_31 Depth=1
	s_delay_alu instid0(SALU_CYCLE_1)
	s_or_b32 exec_lo, exec_lo, s5
	v_mov_b32_e32 v9, v8
                                        ; implicit-def: $vgpr16
.LBB1_53:                               ;   in Loop: Header=BB1_31 Depth=1
	s_or_saveexec_b32 s0, s4
	v_mov_b32_e32 v18, 0
	s_xor_b32 exec_lo, exec_lo, s0
	s_cbranch_execz .LBB1_55
; %bb.54:                               ;   in Loop: Header=BB1_31 Depth=1
	scratch_load_b64 v[14:15], v8, off
	v_add_nc_u32_e32 v18, -8, v16
.LBB1_55:                               ;   in Loop: Header=BB1_31 Depth=1
	s_wait_xcnt 0x0
	s_or_b32 exec_lo, exec_lo, s0
	v_add_nc_u32_e32 v8, 8, v9
                                        ; implicit-def: $vgpr16_vgpr17
	s_mov_b32 s0, exec_lo
	v_cmpx_gt_u32_e32 8, v18
	s_xor_b32 s4, exec_lo, s0
	s_cbranch_execz .LBB1_61
; %bb.56:                               ;   in Loop: Header=BB1_31 Depth=1
	v_mov_b64_e32 v[16:17], 0
	s_mov_b32 s5, exec_lo
	v_cmpx_ne_u32_e32 0, v18
	s_cbranch_execz .LBB1_60
; %bb.57:                               ;   in Loop: Header=BB1_31 Depth=1
	v_mov_b64_e32 v[16:17], 0
	s_mov_b64 s[0:1], 0
	s_mov_b32 s10, 0
	s_mov_b32 s11, 0
.LBB1_58:                               ;   Parent Loop BB1_31 Depth=1
                                        ; =>  This Inner Loop Header: Depth=2
	scratch_load_u8 v8, v9, s11
	v_mov_b32_e32 v21, s7
	s_wait_xcnt 0x0
	s_add_co_i32 s11, s11, 1
	s_delay_alu instid0(SALU_CYCLE_1) | instskip(SKIP_3) | instid1(VALU_DEP_1)
	v_cmp_eq_u32_e32 vcc_lo, s11, v18
	s_or_b32 s10, vcc_lo, s10
	s_wait_loadcnt 0x0
	v_and_b32_e32 v20, 0xffff, v8
	v_lshlrev_b64_e32 v[20:21], s0, v[20:21]
	s_add_nc_u64 s[0:1], s[0:1], 8
	s_delay_alu instid0(VALU_DEP_1) | instskip(NEXT) | instid1(VALU_DEP_2)
	v_or_b32_e32 v17, v21, v17
	v_or_b32_e32 v16, v20, v16
	s_and_not1_b32 exec_lo, exec_lo, s10
	s_cbranch_execnz .LBB1_58
; %bb.59:                               ;   in Loop: Header=BB1_31 Depth=1
	s_or_b32 exec_lo, exec_lo, s10
.LBB1_60:                               ;   in Loop: Header=BB1_31 Depth=1
	s_delay_alu instid0(SALU_CYCLE_1)
	s_or_b32 exec_lo, exec_lo, s5
	v_mov_b32_e32 v8, v9
                                        ; implicit-def: $vgpr18
.LBB1_61:                               ;   in Loop: Header=BB1_31 Depth=1
	s_or_saveexec_b32 s0, s4
	v_mov_b32_e32 v20, 0
	s_xor_b32 exec_lo, exec_lo, s0
	s_cbranch_execz .LBB1_63
; %bb.62:                               ;   in Loop: Header=BB1_31 Depth=1
	scratch_load_b64 v[16:17], v9, off
	v_add_nc_u32_e32 v20, -8, v18
.LBB1_63:                               ;   in Loop: Header=BB1_31 Depth=1
	s_wait_xcnt 0x0
	s_or_b32 exec_lo, exec_lo, s0
	v_add_nc_u32_e32 v9, 8, v8
	s_mov_b32 s0, exec_lo
	v_cmpx_gt_u32_e32 8, v20
	s_xor_b32 s4, exec_lo, s0
	s_cbranch_execz .LBB1_69
; %bb.64:                               ;   in Loop: Header=BB1_31 Depth=1
	v_mov_b64_e32 v[18:19], 0
	s_mov_b32 s5, exec_lo
	v_cmpx_ne_u32_e32 0, v20
	s_cbranch_execz .LBB1_68
; %bb.65:                               ;   in Loop: Header=BB1_31 Depth=1
	v_mov_b64_e32 v[18:19], 0
	s_mov_b64 s[0:1], 0
	s_mov_b32 s10, 0
	s_mov_b32 s11, 0
.LBB1_66:                               ;   Parent Loop BB1_31 Depth=1
                                        ; =>  This Inner Loop Header: Depth=2
	scratch_load_u8 v9, v8, s11
	v_mov_b32_e32 v23, s7
	s_wait_xcnt 0x0
	s_add_co_i32 s11, s11, 1
	s_delay_alu instid0(SALU_CYCLE_1) | instskip(SKIP_3) | instid1(VALU_DEP_1)
	v_cmp_eq_u32_e32 vcc_lo, s11, v20
	s_or_b32 s10, vcc_lo, s10
	s_wait_loadcnt 0x0
	v_and_b32_e32 v22, 0xffff, v9
	v_lshlrev_b64_e32 v[22:23], s0, v[22:23]
	s_add_nc_u64 s[0:1], s[0:1], 8
	s_delay_alu instid0(VALU_DEP_1) | instskip(NEXT) | instid1(VALU_DEP_2)
	v_or_b32_e32 v19, v23, v19
	v_or_b32_e32 v18, v22, v18
	s_and_not1_b32 exec_lo, exec_lo, s10
	s_cbranch_execnz .LBB1_66
; %bb.67:                               ;   in Loop: Header=BB1_31 Depth=1
	s_or_b32 exec_lo, exec_lo, s10
.LBB1_68:                               ;   in Loop: Header=BB1_31 Depth=1
	s_delay_alu instid0(SALU_CYCLE_1)
	s_or_b32 exec_lo, exec_lo, s5
	v_mov_b32_e32 v9, v8
                                        ; implicit-def: $vgpr20
.LBB1_69:                               ;   in Loop: Header=BB1_31 Depth=1
	s_or_saveexec_b32 s0, s4
	v_mov_b32_e32 v22, 0
	s_xor_b32 exec_lo, exec_lo, s0
	s_cbranch_execz .LBB1_71
; %bb.70:                               ;   in Loop: Header=BB1_31 Depth=1
	scratch_load_b64 v[18:19], v8, off
	v_add_nc_u32_e32 v22, -8, v20
.LBB1_71:                               ;   in Loop: Header=BB1_31 Depth=1
	s_wait_xcnt 0x0
	s_or_b32 exec_lo, exec_lo, s0
	v_add_nc_u32_e32 v8, 8, v9
                                        ; implicit-def: $vgpr20_vgpr21
	s_mov_b32 s0, exec_lo
	v_cmpx_gt_u32_e32 8, v22
	s_xor_b32 s4, exec_lo, s0
	s_cbranch_execz .LBB1_77
; %bb.72:                               ;   in Loop: Header=BB1_31 Depth=1
	v_mov_b64_e32 v[20:21], 0
	s_mov_b32 s5, exec_lo
	v_cmpx_ne_u32_e32 0, v22
	s_cbranch_execz .LBB1_76
; %bb.73:                               ;   in Loop: Header=BB1_31 Depth=1
	v_mov_b64_e32 v[20:21], 0
	s_mov_b64 s[0:1], 0
	s_mov_b32 s10, 0
	s_mov_b32 s11, 0
.LBB1_74:                               ;   Parent Loop BB1_31 Depth=1
                                        ; =>  This Inner Loop Header: Depth=2
	scratch_load_u8 v8, v9, s11
	v_mov_b32_e32 v25, s7
	s_wait_xcnt 0x0
	s_add_co_i32 s11, s11, 1
	s_delay_alu instid0(SALU_CYCLE_1) | instskip(SKIP_3) | instid1(VALU_DEP_1)
	v_cmp_eq_u32_e32 vcc_lo, s11, v22
	s_or_b32 s10, vcc_lo, s10
	s_wait_loadcnt 0x0
	v_and_b32_e32 v24, 0xffff, v8
	v_lshlrev_b64_e32 v[24:25], s0, v[24:25]
	s_add_nc_u64 s[0:1], s[0:1], 8
	s_delay_alu instid0(VALU_DEP_1) | instskip(NEXT) | instid1(VALU_DEP_2)
	v_or_b32_e32 v21, v25, v21
	v_or_b32_e32 v20, v24, v20
	s_and_not1_b32 exec_lo, exec_lo, s10
	s_cbranch_execnz .LBB1_74
; %bb.75:                               ;   in Loop: Header=BB1_31 Depth=1
	s_or_b32 exec_lo, exec_lo, s10
.LBB1_76:                               ;   in Loop: Header=BB1_31 Depth=1
	s_delay_alu instid0(SALU_CYCLE_1)
	s_or_b32 exec_lo, exec_lo, s5
	v_mov_b32_e32 v8, v9
                                        ; implicit-def: $vgpr22
.LBB1_77:                               ;   in Loop: Header=BB1_31 Depth=1
	s_or_saveexec_b32 s0, s4
	v_mov_b32_e32 v24, 0
	s_xor_b32 exec_lo, exec_lo, s0
	s_cbranch_execz .LBB1_79
; %bb.78:                               ;   in Loop: Header=BB1_31 Depth=1
	scratch_load_b64 v[20:21], v9, off
	v_add_nc_u32_e32 v24, -8, v22
.LBB1_79:                               ;   in Loop: Header=BB1_31 Depth=1
	s_wait_xcnt 0x0
	s_or_b32 exec_lo, exec_lo, s0
	s_delay_alu instid0(SALU_CYCLE_1) | instskip(NEXT) | instid1(VALU_DEP_1)
	s_mov_b32 s0, exec_lo
	v_cmpx_gt_u32_e32 8, v24
	s_xor_b32 s4, exec_lo, s0
	s_cbranch_execz .LBB1_85
; %bb.80:                               ;   in Loop: Header=BB1_31 Depth=1
	v_mov_b64_e32 v[22:23], 0
	s_mov_b32 s5, exec_lo
	v_cmpx_ne_u32_e32 0, v24
	s_cbranch_execz .LBB1_84
; %bb.81:                               ;   in Loop: Header=BB1_31 Depth=1
	v_mov_b64_e32 v[22:23], 0
	s_mov_b64 s[0:1], 0
	s_mov_b32 s10, 0
.LBB1_82:                               ;   Parent Loop BB1_31 Depth=1
                                        ; =>  This Inner Loop Header: Depth=2
	scratch_load_u8 v9, v8, off
	v_dual_mov_b32 v27, s7 :: v_dual_add_nc_u32 v24, -1, v24
	s_delay_alu instid0(VALU_DEP_1) | instskip(SKIP_3) | instid1(VALU_DEP_1)
	v_cmp_eq_u32_e32 vcc_lo, 0, v24
	s_or_b32 s10, vcc_lo, s10
	s_wait_loadcnt 0x0
	v_and_b32_e32 v26, 0xffff, v9
	v_lshlrev_b64_e32 v[26:27], s0, v[26:27]
	s_wait_xcnt 0x0
	v_add_nc_u32_e32 v8, 1, v8
	s_add_nc_u64 s[0:1], s[0:1], 8
	s_delay_alu instid0(VALU_DEP_2) | instskip(NEXT) | instid1(VALU_DEP_3)
	v_or_b32_e32 v23, v27, v23
	v_or_b32_e32 v22, v26, v22
	s_and_not1_b32 exec_lo, exec_lo, s10
	s_cbranch_execnz .LBB1_82
; %bb.83:                               ;   in Loop: Header=BB1_31 Depth=1
	s_or_b32 exec_lo, exec_lo, s10
.LBB1_84:                               ;   in Loop: Header=BB1_31 Depth=1
	s_delay_alu instid0(SALU_CYCLE_1)
	s_or_b32 exec_lo, exec_lo, s5
                                        ; implicit-def: $vgpr8
.LBB1_85:                               ;   in Loop: Header=BB1_31 Depth=1
	s_and_not1_saveexec_b32 s0, s4
	s_cbranch_execz .LBB1_87
; %bb.86:                               ;   in Loop: Header=BB1_31 Depth=1
	scratch_load_b64 v[22:23], v8, off
.LBB1_87:                               ;   in Loop: Header=BB1_31 Depth=1
	s_wait_xcnt 0x0
	s_or_b32 exec_lo, exec_lo, s0
	v_readfirstlane_b32 s0, v48
	v_mov_b64_e32 v[8:9], 0
	s_delay_alu instid0(VALU_DEP_2)
	v_cmp_eq_u32_e64 s0, s0, v48
	s_and_saveexec_b32 s1, s0
	s_cbranch_execz .LBB1_93
; %bb.88:                               ;   in Loop: Header=BB1_31 Depth=1
	global_load_b64 v[26:27], v31, s[2:3] offset:24 scope:SCOPE_SYS
	s_wait_loadcnt 0x0
	global_inv scope:SCOPE_SYS
	s_clause 0x1
	global_load_b64 v[8:9], v31, s[2:3] offset:40
	global_load_b64 v[24:25], v31, s[2:3]
	s_mov_b32 s4, exec_lo
	s_wait_loadcnt 0x1
	v_and_b32_e32 v8, v8, v26
	v_and_b32_e32 v9, v9, v27
	s_delay_alu instid0(VALU_DEP_1) | instskip(SKIP_1) | instid1(VALU_DEP_1)
	v_mul_u64_e32 v[8:9], 24, v[8:9]
	s_wait_loadcnt 0x0
	v_add_nc_u64_e32 v[8:9], v[24:25], v[8:9]
	global_load_b64 v[24:25], v[8:9], off scope:SCOPE_SYS
	s_wait_xcnt 0x0
	s_wait_loadcnt 0x0
	global_atomic_cmpswap_b64 v[8:9], v31, v[24:27], s[2:3] offset:24 th:TH_ATOMIC_RETURN scope:SCOPE_SYS
	s_wait_loadcnt 0x0
	global_inv scope:SCOPE_SYS
	s_wait_xcnt 0x0
	v_cmpx_ne_u64_e64 v[8:9], v[26:27]
	s_cbranch_execz .LBB1_92
; %bb.89:                               ;   in Loop: Header=BB1_31 Depth=1
	s_mov_b32 s5, 0
.LBB1_90:                               ;   Parent Loop BB1_31 Depth=1
                                        ; =>  This Inner Loop Header: Depth=2
	s_sleep 1
	s_clause 0x1
	global_load_b64 v[24:25], v31, s[2:3] offset:40
	global_load_b64 v[36:37], v31, s[2:3]
	v_mov_b64_e32 v[26:27], v[8:9]
	s_wait_loadcnt 0x1
	s_delay_alu instid0(VALU_DEP_1) | instskip(NEXT) | instid1(VALU_DEP_2)
	v_and_b32_e32 v8, v24, v26
	v_and_b32_e32 v24, v25, v27
	s_wait_loadcnt 0x0
	s_delay_alu instid0(VALU_DEP_2) | instskip(NEXT) | instid1(VALU_DEP_1)
	v_mad_nc_u64_u32 v[8:9], v8, 24, v[36:37]
	v_mad_u32 v9, v24, 24, v9
	global_load_b64 v[24:25], v[8:9], off scope:SCOPE_SYS
	s_wait_xcnt 0x0
	s_wait_loadcnt 0x0
	global_atomic_cmpswap_b64 v[8:9], v31, v[24:27], s[2:3] offset:24 th:TH_ATOMIC_RETURN scope:SCOPE_SYS
	s_wait_loadcnt 0x0
	global_inv scope:SCOPE_SYS
	v_cmp_eq_u64_e32 vcc_lo, v[8:9], v[26:27]
	s_or_b32 s5, vcc_lo, s5
	s_wait_xcnt 0x0
	s_and_not1_b32 exec_lo, exec_lo, s5
	s_cbranch_execnz .LBB1_90
; %bb.91:                               ;   in Loop: Header=BB1_31 Depth=1
	s_or_b32 exec_lo, exec_lo, s5
.LBB1_92:                               ;   in Loop: Header=BB1_31 Depth=1
	s_delay_alu instid0(SALU_CYCLE_1)
	s_or_b32 exec_lo, exec_lo, s4
.LBB1_93:                               ;   in Loop: Header=BB1_31 Depth=1
	s_delay_alu instid0(SALU_CYCLE_1)
	s_or_b32 exec_lo, exec_lo, s1
	s_clause 0x1
	global_load_b64 v[36:37], v31, s[2:3] offset:40
	global_load_b128 v[24:27], v31, s[2:3]
	v_readfirstlane_b32 s4, v8
	v_readfirstlane_b32 s5, v9
	s_mov_b32 s1, exec_lo
	s_wait_loadcnt 0x1
	v_and_b32_e32 v38, s4, v36
	v_and_b32_e32 v39, s5, v37
	s_delay_alu instid0(VALU_DEP_1) | instskip(SKIP_1) | instid1(VALU_DEP_1)
	v_mul_u64_e32 v[8:9], 24, v[38:39]
	s_wait_loadcnt 0x0
	v_add_nc_u64_e32 v[36:37], v[24:25], v[8:9]
	s_wait_xcnt 0x0
	s_and_saveexec_b32 s10, s0
	s_cbranch_execz .LBB1_95
; %bb.94:                               ;   in Loop: Header=BB1_31 Depth=1
	v_dual_mov_b32 v8, s1 :: v_dual_mov_b32 v9, v31
	global_store_b128 v[36:37], v[8:11], off offset:8
.LBB1_95:                               ;   in Loop: Header=BB1_31 Depth=1
	s_wait_xcnt 0x0
	s_or_b32 exec_lo, exec_lo, s10
	v_cmp_gt_u64_e32 vcc_lo, 57, v[32:33]
	v_lshlrev_b64_e32 v[8:9], 12, v[38:39]
	v_and_b32_e32 v0, 0xffffff1f, v0
	v_lshl_add_u32 v39, v34, 2, 28
	v_cndmask_b32_e32 v38, 0, v28, vcc_lo
	s_delay_alu instid0(VALU_DEP_4) | instskip(NEXT) | instid1(VALU_DEP_2)
	v_add_nc_u64_e32 v[8:9], v[26:27], v[8:9]
	v_or_b32_e32 v0, v0, v38
	s_delay_alu instid0(VALU_DEP_2) | instskip(NEXT) | instid1(VALU_DEP_3)
	v_readfirstlane_b32 s10, v8
	v_readfirstlane_b32 s11, v9
	s_delay_alu instid0(VALU_DEP_3)
	v_and_or_b32 v0, 0x1e0, v39, v0
	s_clause 0x3
	global_store_b128 v30, v[0:3], s[10:11]
	global_store_b128 v30, v[12:15], s[10:11] offset:16
	global_store_b128 v30, v[16:19], s[10:11] offset:32
	;; [unrolled: 1-line block ×3, first 2 shown]
	s_wait_xcnt 0x0
	s_and_saveexec_b32 s1, s0
	s_cbranch_execz .LBB1_103
; %bb.96:                               ;   in Loop: Header=BB1_31 Depth=1
	s_clause 0x1
	global_load_b64 v[16:17], v31, s[2:3] offset:32 scope:SCOPE_SYS
	global_load_b64 v[0:1], v31, s[2:3] offset:40
	s_mov_b32 s10, exec_lo
	v_dual_mov_b32 v14, s4 :: v_dual_mov_b32 v15, s5
	s_wait_loadcnt 0x0
	v_and_b32_e32 v1, s5, v1
	v_and_b32_e32 v0, s4, v0
	s_delay_alu instid0(VALU_DEP_1) | instskip(NEXT) | instid1(VALU_DEP_1)
	v_mul_u64_e32 v[0:1], 24, v[0:1]
	v_add_nc_u64_e32 v[12:13], v[24:25], v[0:1]
	global_store_b64 v[12:13], v[16:17], off
	global_wb scope:SCOPE_SYS
	s_wait_storecnt 0x0
	s_wait_xcnt 0x0
	global_atomic_cmpswap_b64 v[2:3], v31, v[14:17], s[2:3] offset:32 th:TH_ATOMIC_RETURN scope:SCOPE_SYS
	s_wait_loadcnt 0x0
	v_cmpx_ne_u64_e64 v[2:3], v[16:17]
	s_cbranch_execz .LBB1_99
; %bb.97:                               ;   in Loop: Header=BB1_31 Depth=1
	s_mov_b32 s11, 0
.LBB1_98:                               ;   Parent Loop BB1_31 Depth=1
                                        ; =>  This Inner Loop Header: Depth=2
	v_dual_mov_b32 v0, s4 :: v_dual_mov_b32 v1, s5
	s_sleep 1
	global_store_b64 v[12:13], v[2:3], off
	global_wb scope:SCOPE_SYS
	s_wait_storecnt 0x0
	s_wait_xcnt 0x0
	global_atomic_cmpswap_b64 v[0:1], v31, v[0:3], s[2:3] offset:32 th:TH_ATOMIC_RETURN scope:SCOPE_SYS
	s_wait_loadcnt 0x0
	v_cmp_eq_u64_e32 vcc_lo, v[0:1], v[2:3]
	v_mov_b64_e32 v[2:3], v[0:1]
	s_or_b32 s11, vcc_lo, s11
	s_delay_alu instid0(SALU_CYCLE_1)
	s_and_not1_b32 exec_lo, exec_lo, s11
	s_cbranch_execnz .LBB1_98
.LBB1_99:                               ;   in Loop: Header=BB1_31 Depth=1
	s_or_b32 exec_lo, exec_lo, s10
	global_load_b64 v[0:1], v31, s[2:3] offset:16
	s_mov_b32 s11, exec_lo
	s_mov_b32 s10, exec_lo
	v_mbcnt_lo_u32_b32 v2, s11, 0
	s_wait_xcnt 0x0
	s_delay_alu instid0(VALU_DEP_1)
	v_cmpx_eq_u32_e32 0, v2
	s_cbranch_execz .LBB1_101
; %bb.100:                              ;   in Loop: Header=BB1_31 Depth=1
	s_bcnt1_i32_b32 s11, s11
	s_delay_alu instid0(SALU_CYCLE_1)
	v_dual_mov_b32 v3, v31 :: v_dual_mov_b32 v2, s11
	global_wb scope:SCOPE_SYS
	s_wait_loadcnt 0x0
	s_wait_storecnt 0x0
	global_atomic_add_u64 v[0:1], v[2:3], off offset:8 scope:SCOPE_SYS
.LBB1_101:                              ;   in Loop: Header=BB1_31 Depth=1
	s_wait_xcnt 0x0
	s_or_b32 exec_lo, exec_lo, s10
	s_wait_loadcnt 0x0
	global_load_b64 v[2:3], v[0:1], off offset:16
	s_wait_loadcnt 0x0
	v_cmp_eq_u64_e32 vcc_lo, 0, v[2:3]
	s_cbranch_vccnz .LBB1_103
; %bb.102:                              ;   in Loop: Header=BB1_31 Depth=1
	global_load_b32 v0, v[0:1], off offset:24
	s_wait_xcnt 0x0
	v_mov_b32_e32 v1, v31
	s_wait_loadcnt 0x0
	v_readfirstlane_b32 s10, v0
	global_wb scope:SCOPE_SYS
	s_wait_storecnt 0x0
	global_store_b64 v[2:3], v[0:1], off scope:SCOPE_SYS
	s_and_b32 m0, s10, 0xffffff
	s_sendmsg sendmsg(MSG_INTERRUPT)
.LBB1_103:                              ;   in Loop: Header=BB1_31 Depth=1
	s_wait_xcnt 0x0
	s_or_b32 exec_lo, exec_lo, s1
	v_add_nc_u64_e32 v[0:1], v[8:9], v[30:31]
	s_branch .LBB1_107
.LBB1_104:                              ;   in Loop: Header=BB1_107 Depth=2
	s_wait_xcnt 0x0
	s_or_b32 exec_lo, exec_lo, s1
	s_delay_alu instid0(VALU_DEP_1)
	v_readfirstlane_b32 s1, v2
	s_cmp_eq_u32 s1, 0
	s_cbranch_scc1 .LBB1_106
; %bb.105:                              ;   in Loop: Header=BB1_107 Depth=2
	s_sleep 1
	s_cbranch_execnz .LBB1_107
	s_branch .LBB1_109
.LBB1_106:                              ;   in Loop: Header=BB1_31 Depth=1
	s_branch .LBB1_109
.LBB1_107:                              ;   Parent Loop BB1_31 Depth=1
                                        ; =>  This Inner Loop Header: Depth=2
	v_mov_b32_e32 v2, 1
	s_and_saveexec_b32 s1, s0
	s_cbranch_execz .LBB1_104
; %bb.108:                              ;   in Loop: Header=BB1_107 Depth=2
	global_load_b32 v2, v[36:37], off offset:20 scope:SCOPE_SYS
	s_wait_loadcnt 0x0
	global_inv scope:SCOPE_SYS
	v_and_b32_e32 v2, 1, v2
	s_branch .LBB1_104
.LBB1_109:                              ;   in Loop: Header=BB1_31 Depth=1
	global_load_b64 v[0:1], v[0:1], off
	s_wait_xcnt 0x0
	s_and_saveexec_b32 s10, s0
	s_cbranch_execz .LBB1_30
; %bb.110:                              ;   in Loop: Header=BB1_31 Depth=1
	s_clause 0x2
	global_load_b64 v[2:3], v31, s[2:3] offset:40
	global_load_b64 v[16:17], v31, s[2:3] offset:24 scope:SCOPE_SYS
	global_load_b64 v[8:9], v31, s[2:3]
	s_wait_loadcnt 0x2
	v_readfirstlane_b32 s12, v2
	v_readfirstlane_b32 s13, v3
	s_add_nc_u64 s[0:1], s[12:13], 1
	s_delay_alu instid0(SALU_CYCLE_1) | instskip(NEXT) | instid1(SALU_CYCLE_1)
	s_add_nc_u64 s[4:5], s[0:1], s[4:5]
	s_cmp_eq_u64 s[4:5], 0
	s_cselect_b32 s1, s1, s5
	s_cselect_b32 s0, s0, s4
	s_delay_alu instid0(SALU_CYCLE_1) | instskip(SKIP_1) | instid1(SALU_CYCLE_1)
	v_dual_mov_b32 v15, s1 :: v_dual_mov_b32 v14, s0
	s_and_b64 s[4:5], s[0:1], s[12:13]
	s_mul_u64 s[4:5], s[4:5], 24
	s_wait_loadcnt 0x0
	v_add_nc_u64_e32 v[2:3], s[4:5], v[8:9]
	global_store_b64 v[2:3], v[16:17], off
	global_wb scope:SCOPE_SYS
	s_wait_storecnt 0x0
	s_wait_xcnt 0x0
	global_atomic_cmpswap_b64 v[14:15], v31, v[14:17], s[2:3] offset:24 th:TH_ATOMIC_RETURN scope:SCOPE_SYS
	s_wait_loadcnt 0x0
	v_cmp_ne_u64_e32 vcc_lo, v[14:15], v[16:17]
	s_and_b32 exec_lo, exec_lo, vcc_lo
	s_cbranch_execz .LBB1_30
; %bb.111:                              ;   in Loop: Header=BB1_31 Depth=1
	s_mov_b32 s4, 0
.LBB1_112:                              ;   Parent Loop BB1_31 Depth=1
                                        ; =>  This Inner Loop Header: Depth=2
	v_dual_mov_b32 v12, s0 :: v_dual_mov_b32 v13, s1
	s_sleep 1
	global_store_b64 v[2:3], v[14:15], off
	global_wb scope:SCOPE_SYS
	s_wait_storecnt 0x0
	s_wait_xcnt 0x0
	global_atomic_cmpswap_b64 v[8:9], v31, v[12:15], s[2:3] offset:24 th:TH_ATOMIC_RETURN scope:SCOPE_SYS
	s_wait_loadcnt 0x0
	v_cmp_eq_u64_e32 vcc_lo, v[8:9], v[14:15]
	v_mov_b64_e32 v[14:15], v[8:9]
	s_or_b32 s4, vcc_lo, s4
	s_delay_alu instid0(SALU_CYCLE_1)
	s_and_not1_b32 exec_lo, exec_lo, s4
	s_cbranch_execnz .LBB1_112
	s_branch .LBB1_30
.LBB1_113:
                                        ; implicit-def: $vgpr0_vgpr1
	s_cbranch_execnz .LBB1_193
.LBB1_114:
	s_get_pc_i64 s[4:5]
	s_add_nc_u64 s[4:5], s[4:5], .str.4@rel64+4
	s_delay_alu instid0(SALU_CYCLE_1)
	s_cmp_lg_u64 s[4:5], 0
	s_cbranch_scc0 .LBB1_221
.LBB1_115:
	v_mov_b64_e32 v[12:13], 0x100000002
	s_get_pc_i64 s[0:1]
	s_add_nc_u64 s[0:1], s[0:1], .str.4@rel64+80
	s_wait_loadcnt 0x0
	v_dual_mov_b32 v11, 0 :: v_dual_bitop2_b32 v2, 2, v0 bitop3:0x40
	v_dual_mov_b32 v7, v1 :: v_dual_bitop2_b32 v6, -3, v0 bitop3:0x40
	s_sub_co_i32 s6, s0, s4
	s_delay_alu instid0(SALU_CYCLE_1)
	s_ashr_i32 s7, s6, 31
	s_branch .LBB1_117
.LBB1_116:                              ;   in Loop: Header=BB1_117 Depth=1
	s_or_b32 exec_lo, exec_lo, s14
	s_sub_nc_u64 s[6:7], s[6:7], s[10:11]
	s_add_nc_u64 s[4:5], s[4:5], s[10:11]
	s_cmp_lg_u64 s[6:7], 0
	s_cbranch_scc0 .LBB1_215
.LBB1_117:                              ; =>This Loop Header: Depth=1
                                        ;     Child Loop BB1_120 Depth 2
                                        ;     Child Loop BB1_127 Depth 2
	;; [unrolled: 1-line block ×11, first 2 shown]
	v_min_u64 v[8:9], s[6:7], 56
	v_cmp_gt_u64_e64 s0, s[6:7], 7
	s_and_b32 vcc_lo, exec_lo, s0
	v_readfirstlane_b32 s10, v8
	v_readfirstlane_b32 s11, v9
	s_cbranch_vccnz .LBB1_122
; %bb.118:                              ;   in Loop: Header=BB1_117 Depth=1
	v_mov_b64_e32 v[8:9], 0
	s_cmp_eq_u64 s[6:7], 0
	s_cbranch_scc1 .LBB1_121
; %bb.119:                              ;   in Loop: Header=BB1_117 Depth=1
	s_mov_b64 s[0:1], 0
	s_mov_b64 s[12:13], 0
.LBB1_120:                              ;   Parent Loop BB1_117 Depth=1
                                        ; =>  This Inner Loop Header: Depth=2
	s_wait_xcnt 0x0
	s_add_nc_u64 s[14:15], s[4:5], s[12:13]
	s_add_nc_u64 s[12:13], s[12:13], 1
	global_load_u8 v3, v11, s[14:15]
	s_cmp_lg_u32 s10, s12
	s_wait_loadcnt 0x0
	v_and_b32_e32 v10, 0xffff, v3
	s_delay_alu instid0(VALU_DEP_1) | instskip(SKIP_1) | instid1(VALU_DEP_1)
	v_lshlrev_b64_e32 v[14:15], s0, v[10:11]
	s_add_nc_u64 s[0:1], s[0:1], 8
	v_or_b32_e32 v8, v14, v8
	s_delay_alu instid0(VALU_DEP_2)
	v_or_b32_e32 v9, v15, v9
	s_cbranch_scc1 .LBB1_120
.LBB1_121:                              ;   in Loop: Header=BB1_117 Depth=1
	s_mov_b64 s[12:13], s[4:5]
	s_mov_b32 s16, 0
	s_cbranch_execz .LBB1_123
	s_branch .LBB1_124
.LBB1_122:                              ;   in Loop: Header=BB1_117 Depth=1
	s_add_nc_u64 s[12:13], s[4:5], 8
	s_mov_b32 s16, 0
.LBB1_123:                              ;   in Loop: Header=BB1_117 Depth=1
	global_load_b64 v[8:9], v11, s[4:5]
	s_add_co_i32 s16, s10, -8
.LBB1_124:                              ;   in Loop: Header=BB1_117 Depth=1
	s_delay_alu instid0(SALU_CYCLE_1)
	s_cmp_gt_u32 s16, 7
	s_cbranch_scc1 .LBB1_129
; %bb.125:                              ;   in Loop: Header=BB1_117 Depth=1
	v_mov_b64_e32 v[14:15], 0
	s_cmp_eq_u32 s16, 0
	s_cbranch_scc1 .LBB1_128
; %bb.126:                              ;   in Loop: Header=BB1_117 Depth=1
	s_mov_b64 s[0:1], 0
	s_wait_xcnt 0x0
	s_mov_b64 s[14:15], 0
.LBB1_127:                              ;   Parent Loop BB1_117 Depth=1
                                        ; =>  This Inner Loop Header: Depth=2
	s_wait_xcnt 0x0
	s_add_nc_u64 s[18:19], s[12:13], s[14:15]
	s_add_nc_u64 s[14:15], s[14:15], 1
	global_load_u8 v3, v11, s[18:19]
	s_cmp_lg_u32 s16, s14
	s_wait_loadcnt 0x0
	v_and_b32_e32 v10, 0xffff, v3
	s_delay_alu instid0(VALU_DEP_1) | instskip(SKIP_1) | instid1(VALU_DEP_1)
	v_lshlrev_b64_e32 v[16:17], s0, v[10:11]
	s_add_nc_u64 s[0:1], s[0:1], 8
	v_or_b32_e32 v14, v16, v14
	s_delay_alu instid0(VALU_DEP_2)
	v_or_b32_e32 v15, v17, v15
	s_cbranch_scc1 .LBB1_127
.LBB1_128:                              ;   in Loop: Header=BB1_117 Depth=1
	s_wait_xcnt 0x0
	s_mov_b64 s[0:1], s[12:13]
	s_mov_b32 s17, 0
	s_cbranch_execz .LBB1_130
	s_branch .LBB1_131
.LBB1_129:                              ;   in Loop: Header=BB1_117 Depth=1
	s_add_nc_u64 s[0:1], s[12:13], 8
	s_wait_xcnt 0x0
                                        ; implicit-def: $vgpr14_vgpr15
	s_mov_b32 s17, 0
.LBB1_130:                              ;   in Loop: Header=BB1_117 Depth=1
	global_load_b64 v[14:15], v11, s[12:13]
	s_add_co_i32 s17, s16, -8
.LBB1_131:                              ;   in Loop: Header=BB1_117 Depth=1
	s_delay_alu instid0(SALU_CYCLE_1)
	s_cmp_gt_u32 s17, 7
	s_cbranch_scc1 .LBB1_136
; %bb.132:                              ;   in Loop: Header=BB1_117 Depth=1
	v_mov_b64_e32 v[16:17], 0
	s_cmp_eq_u32 s17, 0
	s_cbranch_scc1 .LBB1_135
; %bb.133:                              ;   in Loop: Header=BB1_117 Depth=1
	s_wait_xcnt 0x0
	s_mov_b64 s[12:13], 0
	s_mov_b64 s[14:15], 0
.LBB1_134:                              ;   Parent Loop BB1_117 Depth=1
                                        ; =>  This Inner Loop Header: Depth=2
	s_wait_xcnt 0x0
	s_add_nc_u64 s[18:19], s[0:1], s[14:15]
	s_add_nc_u64 s[14:15], s[14:15], 1
	global_load_u8 v3, v11, s[18:19]
	s_cmp_lg_u32 s17, s14
	s_wait_loadcnt 0x0
	v_and_b32_e32 v10, 0xffff, v3
	s_delay_alu instid0(VALU_DEP_1) | instskip(SKIP_1) | instid1(VALU_DEP_1)
	v_lshlrev_b64_e32 v[18:19], s12, v[10:11]
	s_add_nc_u64 s[12:13], s[12:13], 8
	v_or_b32_e32 v16, v18, v16
	s_delay_alu instid0(VALU_DEP_2)
	v_or_b32_e32 v17, v19, v17
	s_cbranch_scc1 .LBB1_134
.LBB1_135:                              ;   in Loop: Header=BB1_117 Depth=1
	s_wait_xcnt 0x0
	s_mov_b64 s[12:13], s[0:1]
	s_mov_b32 s16, 0
	s_cbranch_execz .LBB1_137
	s_branch .LBB1_138
.LBB1_136:                              ;   in Loop: Header=BB1_117 Depth=1
	s_wait_xcnt 0x0
	s_add_nc_u64 s[12:13], s[0:1], 8
	s_mov_b32 s16, 0
.LBB1_137:                              ;   in Loop: Header=BB1_117 Depth=1
	global_load_b64 v[16:17], v11, s[0:1]
	s_add_co_i32 s16, s17, -8
.LBB1_138:                              ;   in Loop: Header=BB1_117 Depth=1
	s_delay_alu instid0(SALU_CYCLE_1)
	s_cmp_gt_u32 s16, 7
	s_cbranch_scc1 .LBB1_143
; %bb.139:                              ;   in Loop: Header=BB1_117 Depth=1
	v_mov_b64_e32 v[18:19], 0
	s_cmp_eq_u32 s16, 0
	s_cbranch_scc1 .LBB1_142
; %bb.140:                              ;   in Loop: Header=BB1_117 Depth=1
	s_wait_xcnt 0x0
	s_mov_b64 s[0:1], 0
	s_mov_b64 s[14:15], 0
.LBB1_141:                              ;   Parent Loop BB1_117 Depth=1
                                        ; =>  This Inner Loop Header: Depth=2
	s_wait_xcnt 0x0
	s_add_nc_u64 s[18:19], s[12:13], s[14:15]
	s_add_nc_u64 s[14:15], s[14:15], 1
	global_load_u8 v3, v11, s[18:19]
	s_cmp_lg_u32 s16, s14
	s_wait_loadcnt 0x0
	v_and_b32_e32 v10, 0xffff, v3
	s_delay_alu instid0(VALU_DEP_1) | instskip(SKIP_1) | instid1(VALU_DEP_1)
	v_lshlrev_b64_e32 v[20:21], s0, v[10:11]
	s_add_nc_u64 s[0:1], s[0:1], 8
	v_or_b32_e32 v18, v20, v18
	s_delay_alu instid0(VALU_DEP_2)
	v_or_b32_e32 v19, v21, v19
	s_cbranch_scc1 .LBB1_141
.LBB1_142:                              ;   in Loop: Header=BB1_117 Depth=1
	s_wait_xcnt 0x0
	s_mov_b64 s[0:1], s[12:13]
	s_mov_b32 s17, 0
	s_cbranch_execz .LBB1_144
	s_branch .LBB1_145
.LBB1_143:                              ;   in Loop: Header=BB1_117 Depth=1
	s_wait_xcnt 0x0
	s_add_nc_u64 s[0:1], s[12:13], 8
                                        ; implicit-def: $vgpr18_vgpr19
	s_mov_b32 s17, 0
.LBB1_144:                              ;   in Loop: Header=BB1_117 Depth=1
	global_load_b64 v[18:19], v11, s[12:13]
	s_add_co_i32 s17, s16, -8
.LBB1_145:                              ;   in Loop: Header=BB1_117 Depth=1
	s_delay_alu instid0(SALU_CYCLE_1)
	s_cmp_gt_u32 s17, 7
	s_cbranch_scc1 .LBB1_150
; %bb.146:                              ;   in Loop: Header=BB1_117 Depth=1
	v_mov_b64_e32 v[20:21], 0
	s_cmp_eq_u32 s17, 0
	s_cbranch_scc1 .LBB1_149
; %bb.147:                              ;   in Loop: Header=BB1_117 Depth=1
	s_wait_xcnt 0x0
	s_mov_b64 s[12:13], 0
	s_mov_b64 s[14:15], 0
.LBB1_148:                              ;   Parent Loop BB1_117 Depth=1
                                        ; =>  This Inner Loop Header: Depth=2
	s_wait_xcnt 0x0
	s_add_nc_u64 s[18:19], s[0:1], s[14:15]
	s_add_nc_u64 s[14:15], s[14:15], 1
	global_load_u8 v3, v11, s[18:19]
	s_cmp_lg_u32 s17, s14
	s_wait_loadcnt 0x0
	v_and_b32_e32 v10, 0xffff, v3
	s_delay_alu instid0(VALU_DEP_1) | instskip(SKIP_1) | instid1(VALU_DEP_1)
	v_lshlrev_b64_e32 v[22:23], s12, v[10:11]
	s_add_nc_u64 s[12:13], s[12:13], 8
	v_or_b32_e32 v20, v22, v20
	s_delay_alu instid0(VALU_DEP_2)
	v_or_b32_e32 v21, v23, v21
	s_cbranch_scc1 .LBB1_148
.LBB1_149:                              ;   in Loop: Header=BB1_117 Depth=1
	s_wait_xcnt 0x0
	s_mov_b64 s[12:13], s[0:1]
	s_mov_b32 s16, 0
	s_cbranch_execz .LBB1_151
	s_branch .LBB1_152
.LBB1_150:                              ;   in Loop: Header=BB1_117 Depth=1
	s_wait_xcnt 0x0
	s_add_nc_u64 s[12:13], s[0:1], 8
	s_mov_b32 s16, 0
.LBB1_151:                              ;   in Loop: Header=BB1_117 Depth=1
	global_load_b64 v[20:21], v11, s[0:1]
	s_add_co_i32 s16, s17, -8
.LBB1_152:                              ;   in Loop: Header=BB1_117 Depth=1
	s_delay_alu instid0(SALU_CYCLE_1)
	s_cmp_gt_u32 s16, 7
	s_cbranch_scc1 .LBB1_157
; %bb.153:                              ;   in Loop: Header=BB1_117 Depth=1
	v_mov_b64_e32 v[22:23], 0
	s_cmp_eq_u32 s16, 0
	s_cbranch_scc1 .LBB1_156
; %bb.154:                              ;   in Loop: Header=BB1_117 Depth=1
	s_wait_xcnt 0x0
	s_mov_b64 s[0:1], 0
	s_mov_b64 s[14:15], 0
.LBB1_155:                              ;   Parent Loop BB1_117 Depth=1
                                        ; =>  This Inner Loop Header: Depth=2
	s_wait_xcnt 0x0
	s_add_nc_u64 s[18:19], s[12:13], s[14:15]
	s_add_nc_u64 s[14:15], s[14:15], 1
	global_load_u8 v3, v11, s[18:19]
	s_cmp_lg_u32 s16, s14
	s_wait_loadcnt 0x0
	v_and_b32_e32 v10, 0xffff, v3
	s_delay_alu instid0(VALU_DEP_1) | instskip(SKIP_1) | instid1(VALU_DEP_1)
	v_lshlrev_b64_e32 v[24:25], s0, v[10:11]
	s_add_nc_u64 s[0:1], s[0:1], 8
	v_or_b32_e32 v22, v24, v22
	s_delay_alu instid0(VALU_DEP_2)
	v_or_b32_e32 v23, v25, v23
	s_cbranch_scc1 .LBB1_155
.LBB1_156:                              ;   in Loop: Header=BB1_117 Depth=1
	s_wait_xcnt 0x0
	s_mov_b64 s[0:1], s[12:13]
	s_mov_b32 s17, 0
	s_cbranch_execz .LBB1_158
	s_branch .LBB1_159
.LBB1_157:                              ;   in Loop: Header=BB1_117 Depth=1
	s_wait_xcnt 0x0
	s_add_nc_u64 s[0:1], s[12:13], 8
                                        ; implicit-def: $vgpr22_vgpr23
	s_mov_b32 s17, 0
.LBB1_158:                              ;   in Loop: Header=BB1_117 Depth=1
	global_load_b64 v[22:23], v11, s[12:13]
	s_add_co_i32 s17, s16, -8
.LBB1_159:                              ;   in Loop: Header=BB1_117 Depth=1
	s_delay_alu instid0(SALU_CYCLE_1)
	s_cmp_gt_u32 s17, 7
	s_cbranch_scc1 .LBB1_164
; %bb.160:                              ;   in Loop: Header=BB1_117 Depth=1
	v_mov_b64_e32 v[24:25], 0
	s_cmp_eq_u32 s17, 0
	s_cbranch_scc1 .LBB1_163
; %bb.161:                              ;   in Loop: Header=BB1_117 Depth=1
	s_wait_xcnt 0x0
	s_mov_b64 s[12:13], 0
	s_mov_b64 s[14:15], s[0:1]
.LBB1_162:                              ;   Parent Loop BB1_117 Depth=1
                                        ; =>  This Inner Loop Header: Depth=2
	global_load_u8 v3, v11, s[14:15]
	s_add_co_i32 s17, s17, -1
	s_wait_xcnt 0x0
	s_add_nc_u64 s[14:15], s[14:15], 1
	s_cmp_lg_u32 s17, 0
	s_wait_loadcnt 0x0
	v_and_b32_e32 v10, 0xffff, v3
	s_delay_alu instid0(VALU_DEP_1) | instskip(SKIP_1) | instid1(VALU_DEP_1)
	v_lshlrev_b64_e32 v[26:27], s12, v[10:11]
	s_add_nc_u64 s[12:13], s[12:13], 8
	v_or_b32_e32 v24, v26, v24
	s_delay_alu instid0(VALU_DEP_2)
	v_or_b32_e32 v25, v27, v25
	s_cbranch_scc1 .LBB1_162
.LBB1_163:                              ;   in Loop: Header=BB1_117 Depth=1
	s_wait_xcnt 0x0
	s_cbranch_execz .LBB1_165
	s_branch .LBB1_166
.LBB1_164:                              ;   in Loop: Header=BB1_117 Depth=1
	s_wait_xcnt 0x0
.LBB1_165:                              ;   in Loop: Header=BB1_117 Depth=1
	global_load_b64 v[24:25], v11, s[0:1]
.LBB1_166:                              ;   in Loop: Header=BB1_117 Depth=1
	s_wait_xcnt 0x0
	v_readfirstlane_b32 s0, v48
	v_mov_b64_e32 v[32:33], 0
	s_delay_alu instid0(VALU_DEP_2)
	v_cmp_eq_u32_e64 s0, s0, v48
	s_and_saveexec_b32 s1, s0
	s_cbranch_execz .LBB1_172
; %bb.167:                              ;   in Loop: Header=BB1_117 Depth=1
	global_load_b64 v[28:29], v11, s[2:3] offset:24 scope:SCOPE_SYS
	s_wait_loadcnt 0x0
	global_inv scope:SCOPE_SYS
	s_clause 0x1
	global_load_b64 v[26:27], v11, s[2:3] offset:40
	global_load_b64 v[32:33], v11, s[2:3]
	s_mov_b32 s12, exec_lo
	s_wait_loadcnt 0x1
	v_and_b32_e32 v26, v26, v28
	v_and_b32_e32 v27, v27, v29
	s_delay_alu instid0(VALU_DEP_1) | instskip(SKIP_1) | instid1(VALU_DEP_1)
	v_mul_u64_e32 v[26:27], 24, v[26:27]
	s_wait_loadcnt 0x0
	v_add_nc_u64_e32 v[26:27], v[32:33], v[26:27]
	global_load_b64 v[26:27], v[26:27], off scope:SCOPE_SYS
	s_wait_xcnt 0x0
	s_wait_loadcnt 0x0
	global_atomic_cmpswap_b64 v[32:33], v11, v[26:29], s[2:3] offset:24 th:TH_ATOMIC_RETURN scope:SCOPE_SYS
	s_wait_loadcnt 0x0
	global_inv scope:SCOPE_SYS
	s_wait_xcnt 0x0
	v_cmpx_ne_u64_e64 v[32:33], v[28:29]
	s_cbranch_execz .LBB1_171
; %bb.168:                              ;   in Loop: Header=BB1_117 Depth=1
	s_mov_b32 s13, 0
.LBB1_169:                              ;   Parent Loop BB1_117 Depth=1
                                        ; =>  This Inner Loop Header: Depth=2
	s_sleep 1
	s_clause 0x1
	global_load_b64 v[26:27], v11, s[2:3] offset:40
	global_load_b64 v[34:35], v11, s[2:3]
	v_mov_b64_e32 v[28:29], v[32:33]
	s_wait_loadcnt 0x1
	s_delay_alu instid0(VALU_DEP_1) | instskip(SKIP_1) | instid1(VALU_DEP_1)
	v_and_b32_e32 v3, v26, v28
	s_wait_loadcnt 0x0
	v_mad_nc_u64_u32 v[32:33], v3, 24, v[34:35]
	s_delay_alu instid0(VALU_DEP_3) | instskip(NEXT) | instid1(VALU_DEP_1)
	v_and_b32_e32 v3, v27, v29
	v_mad_u32 v33, v3, 24, v33
	global_load_b64 v[26:27], v[32:33], off scope:SCOPE_SYS
	s_wait_xcnt 0x0
	s_wait_loadcnt 0x0
	global_atomic_cmpswap_b64 v[32:33], v11, v[26:29], s[2:3] offset:24 th:TH_ATOMIC_RETURN scope:SCOPE_SYS
	s_wait_loadcnt 0x0
	global_inv scope:SCOPE_SYS
	v_cmp_eq_u64_e32 vcc_lo, v[32:33], v[28:29]
	s_or_b32 s13, vcc_lo, s13
	s_wait_xcnt 0x0
	s_and_not1_b32 exec_lo, exec_lo, s13
	s_cbranch_execnz .LBB1_169
; %bb.170:                              ;   in Loop: Header=BB1_117 Depth=1
	s_or_b32 exec_lo, exec_lo, s13
.LBB1_171:                              ;   in Loop: Header=BB1_117 Depth=1
	s_delay_alu instid0(SALU_CYCLE_1)
	s_or_b32 exec_lo, exec_lo, s12
.LBB1_172:                              ;   in Loop: Header=BB1_117 Depth=1
	s_delay_alu instid0(SALU_CYCLE_1)
	s_or_b32 exec_lo, exec_lo, s1
	s_clause 0x1
	global_load_b64 v[34:35], v11, s[2:3] offset:40
	global_load_b128 v[26:29], v11, s[2:3]
	v_readfirstlane_b32 s12, v32
	v_readfirstlane_b32 s13, v33
	s_mov_b32 s1, exec_lo
	s_wait_loadcnt 0x1
	v_and_b32_e32 v34, s12, v34
	v_and_b32_e32 v35, s13, v35
	s_delay_alu instid0(VALU_DEP_1) | instskip(SKIP_1) | instid1(VALU_DEP_1)
	v_mul_u64_e32 v[32:33], 24, v[34:35]
	s_wait_loadcnt 0x0
	v_add_nc_u64_e32 v[32:33], v[26:27], v[32:33]
	s_wait_xcnt 0x0
	s_and_saveexec_b32 s14, s0
	s_cbranch_execz .LBB1_174
; %bb.173:                              ;   in Loop: Header=BB1_117 Depth=1
	v_mov_b32_e32 v10, s1
	global_store_b128 v[32:33], v[10:13], off offset:8
.LBB1_174:                              ;   in Loop: Header=BB1_117 Depth=1
	s_wait_xcnt 0x0
	s_or_b32 exec_lo, exec_lo, s14
	v_cmp_lt_u64_e64 vcc_lo, s[6:7], 57
	v_lshlrev_b64_e32 v[34:35], 12, v[34:35]
	v_and_b32_e32 v6, 0xffffff1f, v6
	s_lshl_b32 s1, s10, 2
	s_delay_alu instid0(SALU_CYCLE_1) | instskip(SKIP_1) | instid1(VALU_DEP_3)
	s_add_co_i32 s1, s1, 28
	v_cndmask_b32_e32 v3, 0, v2, vcc_lo
	v_add_nc_u64_e32 v[28:29], v[28:29], v[34:35]
	s_delay_alu instid0(VALU_DEP_2) | instskip(NEXT) | instid1(VALU_DEP_2)
	v_or_b32_e32 v3, v6, v3
	v_readfirstlane_b32 s14, v28
	s_delay_alu instid0(VALU_DEP_3) | instskip(NEXT) | instid1(VALU_DEP_3)
	v_readfirstlane_b32 s15, v29
	v_and_or_b32 v6, 0x1e0, s1, v3
	s_clause 0x3
	global_store_b128 v30, v[6:9], s[14:15]
	global_store_b128 v30, v[14:17], s[14:15] offset:16
	global_store_b128 v30, v[18:21], s[14:15] offset:32
	;; [unrolled: 1-line block ×3, first 2 shown]
	s_wait_xcnt 0x0
	s_and_saveexec_b32 s1, s0
	s_cbranch_execz .LBB1_182
; %bb.175:                              ;   in Loop: Header=BB1_117 Depth=1
	s_clause 0x1
	global_load_b64 v[18:19], v11, s[2:3] offset:32 scope:SCOPE_SYS
	global_load_b64 v[6:7], v11, s[2:3] offset:40
	s_mov_b32 s14, exec_lo
	v_dual_mov_b32 v16, s12 :: v_dual_mov_b32 v17, s13
	s_wait_loadcnt 0x0
	v_and_b32_e32 v7, s13, v7
	v_and_b32_e32 v6, s12, v6
	s_delay_alu instid0(VALU_DEP_1) | instskip(NEXT) | instid1(VALU_DEP_1)
	v_mul_u64_e32 v[6:7], 24, v[6:7]
	v_add_nc_u64_e32 v[14:15], v[26:27], v[6:7]
	global_store_b64 v[14:15], v[18:19], off
	global_wb scope:SCOPE_SYS
	s_wait_storecnt 0x0
	s_wait_xcnt 0x0
	global_atomic_cmpswap_b64 v[8:9], v11, v[16:19], s[2:3] offset:32 th:TH_ATOMIC_RETURN scope:SCOPE_SYS
	s_wait_loadcnt 0x0
	v_cmpx_ne_u64_e64 v[8:9], v[18:19]
	s_cbranch_execz .LBB1_178
; %bb.176:                              ;   in Loop: Header=BB1_117 Depth=1
	s_mov_b32 s15, 0
.LBB1_177:                              ;   Parent Loop BB1_117 Depth=1
                                        ; =>  This Inner Loop Header: Depth=2
	v_dual_mov_b32 v6, s12 :: v_dual_mov_b32 v7, s13
	s_sleep 1
	global_store_b64 v[14:15], v[8:9], off
	global_wb scope:SCOPE_SYS
	s_wait_storecnt 0x0
	s_wait_xcnt 0x0
	global_atomic_cmpswap_b64 v[6:7], v11, v[6:9], s[2:3] offset:32 th:TH_ATOMIC_RETURN scope:SCOPE_SYS
	s_wait_loadcnt 0x0
	v_cmp_eq_u64_e32 vcc_lo, v[6:7], v[8:9]
	v_mov_b64_e32 v[8:9], v[6:7]
	s_or_b32 s15, vcc_lo, s15
	s_delay_alu instid0(SALU_CYCLE_1)
	s_and_not1_b32 exec_lo, exec_lo, s15
	s_cbranch_execnz .LBB1_177
.LBB1_178:                              ;   in Loop: Header=BB1_117 Depth=1
	s_or_b32 exec_lo, exec_lo, s14
	global_load_b64 v[6:7], v11, s[2:3] offset:16
	s_mov_b32 s15, exec_lo
	s_mov_b32 s14, exec_lo
	v_mbcnt_lo_u32_b32 v3, s15, 0
	s_wait_xcnt 0x0
	s_delay_alu instid0(VALU_DEP_1)
	v_cmpx_eq_u32_e32 0, v3
	s_cbranch_execz .LBB1_180
; %bb.179:                              ;   in Loop: Header=BB1_117 Depth=1
	s_bcnt1_i32_b32 s15, s15
	s_delay_alu instid0(SALU_CYCLE_1)
	v_mov_b32_e32 v10, s15
	global_wb scope:SCOPE_SYS
	s_wait_loadcnt 0x0
	s_wait_storecnt 0x0
	global_atomic_add_u64 v[6:7], v[10:11], off offset:8 scope:SCOPE_SYS
.LBB1_180:                              ;   in Loop: Header=BB1_117 Depth=1
	s_wait_xcnt 0x0
	s_or_b32 exec_lo, exec_lo, s14
	s_wait_loadcnt 0x0
	global_load_b64 v[8:9], v[6:7], off offset:16
	s_wait_loadcnt 0x0
	v_cmp_eq_u64_e32 vcc_lo, 0, v[8:9]
	s_cbranch_vccnz .LBB1_182
; %bb.181:                              ;   in Loop: Header=BB1_117 Depth=1
	global_load_b32 v10, v[6:7], off offset:24
	s_wait_loadcnt 0x0
	v_readfirstlane_b32 s14, v10
	global_wb scope:SCOPE_SYS
	s_wait_storecnt 0x0
	s_wait_xcnt 0x0
	global_store_b64 v[8:9], v[10:11], off scope:SCOPE_SYS
	s_and_b32 m0, s14, 0xffffff
	s_sendmsg sendmsg(MSG_INTERRUPT)
.LBB1_182:                              ;   in Loop: Header=BB1_117 Depth=1
	s_wait_xcnt 0x0
	s_or_b32 exec_lo, exec_lo, s1
	v_mov_b32_e32 v31, v11
	s_delay_alu instid0(VALU_DEP_1)
	v_add_nc_u64_e32 v[6:7], v[28:29], v[30:31]
	s_branch .LBB1_186
.LBB1_183:                              ;   in Loop: Header=BB1_186 Depth=2
	s_wait_xcnt 0x0
	s_or_b32 exec_lo, exec_lo, s1
	s_delay_alu instid0(VALU_DEP_1)
	v_readfirstlane_b32 s1, v3
	s_cmp_eq_u32 s1, 0
	s_cbranch_scc1 .LBB1_185
; %bb.184:                              ;   in Loop: Header=BB1_186 Depth=2
	s_sleep 1
	s_cbranch_execnz .LBB1_186
	s_branch .LBB1_188
.LBB1_185:                              ;   in Loop: Header=BB1_117 Depth=1
	s_branch .LBB1_188
.LBB1_186:                              ;   Parent Loop BB1_117 Depth=1
                                        ; =>  This Inner Loop Header: Depth=2
	v_mov_b32_e32 v3, 1
	s_and_saveexec_b32 s1, s0
	s_cbranch_execz .LBB1_183
; %bb.187:                              ;   in Loop: Header=BB1_186 Depth=2
	global_load_b32 v3, v[32:33], off offset:20 scope:SCOPE_SYS
	s_wait_loadcnt 0x0
	global_inv scope:SCOPE_SYS
	v_and_b32_e32 v3, 1, v3
	s_branch .LBB1_183
.LBB1_188:                              ;   in Loop: Header=BB1_117 Depth=1
	global_load_b64 v[6:7], v[6:7], off
	s_wait_xcnt 0x0
	s_and_saveexec_b32 s14, s0
	s_cbranch_execz .LBB1_116
; %bb.189:                              ;   in Loop: Header=BB1_117 Depth=1
	s_clause 0x2
	global_load_b64 v[8:9], v11, s[2:3] offset:40
	global_load_b64 v[18:19], v11, s[2:3] offset:24 scope:SCOPE_SYS
	global_load_b64 v[14:15], v11, s[2:3]
	s_wait_loadcnt 0x2
	v_readfirstlane_b32 s16, v8
	v_readfirstlane_b32 s17, v9
	s_add_nc_u64 s[0:1], s[16:17], 1
	s_delay_alu instid0(SALU_CYCLE_1) | instskip(NEXT) | instid1(SALU_CYCLE_1)
	s_add_nc_u64 s[12:13], s[0:1], s[12:13]
	s_cmp_eq_u64 s[12:13], 0
	s_cselect_b32 s1, s1, s13
	s_cselect_b32 s0, s0, s12
	s_delay_alu instid0(SALU_CYCLE_1) | instskip(SKIP_1) | instid1(SALU_CYCLE_1)
	v_dual_mov_b32 v17, s1 :: v_dual_mov_b32 v16, s0
	s_and_b64 s[12:13], s[0:1], s[16:17]
	s_mul_u64 s[12:13], s[12:13], 24
	s_wait_loadcnt 0x0
	v_add_nc_u64_e32 v[8:9], s[12:13], v[14:15]
	global_store_b64 v[8:9], v[18:19], off
	global_wb scope:SCOPE_SYS
	s_wait_storecnt 0x0
	s_wait_xcnt 0x0
	global_atomic_cmpswap_b64 v[16:17], v11, v[16:19], s[2:3] offset:24 th:TH_ATOMIC_RETURN scope:SCOPE_SYS
	s_wait_loadcnt 0x0
	v_cmp_ne_u64_e32 vcc_lo, v[16:17], v[18:19]
	s_and_b32 exec_lo, exec_lo, vcc_lo
	s_cbranch_execz .LBB1_116
; %bb.190:                              ;   in Loop: Header=BB1_117 Depth=1
	s_mov_b32 s12, 0
.LBB1_191:                              ;   Parent Loop BB1_117 Depth=1
                                        ; =>  This Inner Loop Header: Depth=2
	v_dual_mov_b32 v14, s0 :: v_dual_mov_b32 v15, s1
	s_sleep 1
	global_store_b64 v[8:9], v[16:17], off
	global_wb scope:SCOPE_SYS
	s_wait_storecnt 0x0
	s_wait_xcnt 0x0
	global_atomic_cmpswap_b64 v[14:15], v11, v[14:17], s[2:3] offset:24 th:TH_ATOMIC_RETURN scope:SCOPE_SYS
	s_wait_loadcnt 0x0
	v_cmp_eq_u64_e32 vcc_lo, v[14:15], v[16:17]
	v_mov_b64_e32 v[16:17], v[14:15]
	s_or_b32 s12, vcc_lo, s12
	s_delay_alu instid0(SALU_CYCLE_1)
	s_and_not1_b32 exec_lo, exec_lo, s12
	s_cbranch_execnz .LBB1_191
	s_branch .LBB1_116
.LBB1_192:
	s_or_b32 exec_lo, exec_lo, s6
	s_branch .LBB1_114
.LBB1_193:
	v_readfirstlane_b32 s0, v48
	v_mov_b64_e32 v[8:9], 0
	s_delay_alu instid0(VALU_DEP_2)
	v_cmp_eq_u32_e64 s0, s0, v48
	s_and_saveexec_b32 s1, s0
	s_cbranch_execz .LBB1_199
; %bb.194:
	s_wait_loadcnt 0x0
	v_mov_b32_e32 v0, 0
	s_mov_b32 s4, exec_lo
	global_load_b64 v[10:11], v0, s[2:3] offset:24 scope:SCOPE_SYS
	s_wait_loadcnt 0x0
	global_inv scope:SCOPE_SYS
	s_clause 0x1
	global_load_b64 v[2:3], v0, s[2:3] offset:40
	global_load_b64 v[8:9], v0, s[2:3]
	s_wait_loadcnt 0x1
	v_and_b32_e32 v2, v2, v10
	v_and_b32_e32 v3, v3, v11
	s_delay_alu instid0(VALU_DEP_1) | instskip(SKIP_1) | instid1(VALU_DEP_1)
	v_mul_u64_e32 v[2:3], 24, v[2:3]
	s_wait_loadcnt 0x0
	v_add_nc_u64_e32 v[2:3], v[8:9], v[2:3]
	global_load_b64 v[8:9], v[2:3], off scope:SCOPE_SYS
	s_wait_xcnt 0x0
	s_wait_loadcnt 0x0
	global_atomic_cmpswap_b64 v[8:9], v0, v[8:11], s[2:3] offset:24 th:TH_ATOMIC_RETURN scope:SCOPE_SYS
	s_wait_loadcnt 0x0
	global_inv scope:SCOPE_SYS
	s_wait_xcnt 0x0
	v_cmpx_ne_u64_e64 v[8:9], v[10:11]
	s_cbranch_execz .LBB1_198
; %bb.195:
	s_mov_b32 s5, 0
.LBB1_196:                              ; =>This Inner Loop Header: Depth=1
	s_sleep 1
	s_clause 0x1
	global_load_b64 v[2:3], v0, s[2:3] offset:40
	global_load_b64 v[12:13], v0, s[2:3]
	v_mov_b64_e32 v[10:11], v[8:9]
	s_wait_loadcnt 0x1
	s_delay_alu instid0(VALU_DEP_1) | instskip(SKIP_1) | instid1(VALU_DEP_1)
	v_and_b32_e32 v1, v2, v10
	s_wait_loadcnt 0x0
	v_mad_nc_u64_u32 v[8:9], v1, 24, v[12:13]
	s_delay_alu instid0(VALU_DEP_3) | instskip(NEXT) | instid1(VALU_DEP_1)
	v_and_b32_e32 v1, v3, v11
	v_mad_u32 v9, v1, 24, v9
	global_load_b64 v[8:9], v[8:9], off scope:SCOPE_SYS
	s_wait_xcnt 0x0
	s_wait_loadcnt 0x0
	global_atomic_cmpswap_b64 v[8:9], v0, v[8:11], s[2:3] offset:24 th:TH_ATOMIC_RETURN scope:SCOPE_SYS
	s_wait_loadcnt 0x0
	global_inv scope:SCOPE_SYS
	v_cmp_eq_u64_e32 vcc_lo, v[8:9], v[10:11]
	s_or_b32 s5, vcc_lo, s5
	s_wait_xcnt 0x0
	s_and_not1_b32 exec_lo, exec_lo, s5
	s_cbranch_execnz .LBB1_196
; %bb.197:
	s_or_b32 exec_lo, exec_lo, s5
.LBB1_198:
	s_delay_alu instid0(SALU_CYCLE_1)
	s_or_b32 exec_lo, exec_lo, s4
.LBB1_199:
	s_delay_alu instid0(SALU_CYCLE_1)
	s_or_b32 exec_lo, exec_lo, s1
	v_readfirstlane_b32 s4, v8
	v_mov_b32_e32 v31, 0
	v_readfirstlane_b32 s5, v9
	s_mov_b32 s1, exec_lo
	global_load_b64 v[10:11], v31, s[2:3] offset:40
	s_wait_loadcnt 0x1
	global_load_b128 v[0:3], v31, s[2:3]
	s_wait_loadcnt 0x1
	v_and_b32_e32 v8, s4, v10
	v_and_b32_e32 v9, s5, v11
	s_delay_alu instid0(VALU_DEP_1) | instskip(SKIP_1) | instid1(VALU_DEP_1)
	v_mul_u64_e32 v[10:11], 24, v[8:9]
	s_wait_loadcnt 0x0
	v_add_nc_u64_e32 v[10:11], v[0:1], v[10:11]
	s_wait_xcnt 0x0
	s_and_saveexec_b32 s6, s0
	s_cbranch_execz .LBB1_201
; %bb.200:
	v_mov_b64_e32 v[14:15], 0x100000002
	v_dual_mov_b32 v12, s1 :: v_dual_mov_b32 v13, v31
	global_store_b128 v[10:11], v[12:15], off offset:8
.LBB1_201:
	s_wait_xcnt 0x0
	s_or_b32 exec_lo, exec_lo, s6
	v_lshlrev_b64_e32 v[8:9], 12, v[8:9]
	s_mov_b32 s12, 0
	v_and_or_b32 v6, 0xffffff1f, v6, 32
	s_mov_b32 s14, s12
	s_mov_b32 s15, s12
	;; [unrolled: 1-line block ×3, first 2 shown]
	v_mov_b64_e32 v[16:17], s[14:15]
	v_add_nc_u64_e32 v[12:13], v[2:3], v[8:9]
	v_mov_b64_e32 v[14:15], s[12:13]
	v_dual_mov_b32 v8, v31 :: v_dual_mov_b32 v9, v31
	s_delay_alu instid0(VALU_DEP_3) | instskip(NEXT) | instid1(VALU_DEP_4)
	v_readfirstlane_b32 s6, v12
	v_readfirstlane_b32 s7, v13
	s_clause 0x3
	global_store_b128 v30, v[6:9], s[6:7]
	global_store_b128 v30, v[14:17], s[6:7] offset:16
	global_store_b128 v30, v[14:17], s[6:7] offset:32
	;; [unrolled: 1-line block ×3, first 2 shown]
	s_wait_xcnt 0x0
	s_and_saveexec_b32 s1, s0
	s_cbranch_execz .LBB1_209
; %bb.202:
	v_dual_mov_b32 v8, 0 :: v_dual_mov_b32 v15, s5
	s_mov_b32 s6, exec_lo
	s_clause 0x1
	global_load_b64 v[16:17], v8, s[2:3] offset:32 scope:SCOPE_SYS
	global_load_b64 v[2:3], v8, s[2:3] offset:40
	s_wait_loadcnt 0x0
	v_dual_mov_b32 v14, s4 :: v_dual_bitop2_b32 v3, s5, v3 bitop3:0x40
	v_and_b32_e32 v2, s4, v2
	s_delay_alu instid0(VALU_DEP_1) | instskip(NEXT) | instid1(VALU_DEP_1)
	v_mul_u64_e32 v[2:3], 24, v[2:3]
	v_add_nc_u64_e32 v[6:7], v[0:1], v[2:3]
	global_store_b64 v[6:7], v[16:17], off
	global_wb scope:SCOPE_SYS
	s_wait_storecnt 0x0
	s_wait_xcnt 0x0
	global_atomic_cmpswap_b64 v[2:3], v8, v[14:17], s[2:3] offset:32 th:TH_ATOMIC_RETURN scope:SCOPE_SYS
	s_wait_loadcnt 0x0
	v_cmpx_ne_u64_e64 v[2:3], v[16:17]
	s_cbranch_execz .LBB1_205
; %bb.203:
	s_mov_b32 s7, 0
.LBB1_204:                              ; =>This Inner Loop Header: Depth=1
	v_dual_mov_b32 v0, s4 :: v_dual_mov_b32 v1, s5
	s_sleep 1
	global_store_b64 v[6:7], v[2:3], off
	global_wb scope:SCOPE_SYS
	s_wait_storecnt 0x0
	s_wait_xcnt 0x0
	global_atomic_cmpswap_b64 v[0:1], v8, v[0:3], s[2:3] offset:32 th:TH_ATOMIC_RETURN scope:SCOPE_SYS
	s_wait_loadcnt 0x0
	v_cmp_eq_u64_e32 vcc_lo, v[0:1], v[2:3]
	v_mov_b64_e32 v[2:3], v[0:1]
	s_or_b32 s7, vcc_lo, s7
	s_delay_alu instid0(SALU_CYCLE_1)
	s_and_not1_b32 exec_lo, exec_lo, s7
	s_cbranch_execnz .LBB1_204
.LBB1_205:
	s_or_b32 exec_lo, exec_lo, s6
	v_mov_b32_e32 v3, 0
	s_mov_b32 s7, exec_lo
	s_mov_b32 s6, exec_lo
	v_mbcnt_lo_u32_b32 v2, s7, 0
	global_load_b64 v[0:1], v3, s[2:3] offset:16
	s_wait_xcnt 0x0
	v_cmpx_eq_u32_e32 0, v2
	s_cbranch_execz .LBB1_207
; %bb.206:
	s_bcnt1_i32_b32 s7, s7
	s_delay_alu instid0(SALU_CYCLE_1)
	v_mov_b32_e32 v2, s7
	global_wb scope:SCOPE_SYS
	s_wait_loadcnt 0x0
	s_wait_storecnt 0x0
	global_atomic_add_u64 v[0:1], v[2:3], off offset:8 scope:SCOPE_SYS
.LBB1_207:
	s_wait_xcnt 0x0
	s_or_b32 exec_lo, exec_lo, s6
	s_wait_loadcnt 0x0
	global_load_b64 v[2:3], v[0:1], off offset:16
	s_wait_loadcnt 0x0
	v_cmp_eq_u64_e32 vcc_lo, 0, v[2:3]
	s_cbranch_vccnz .LBB1_209
; %bb.208:
	global_load_b32 v0, v[0:1], off offset:24
	s_wait_xcnt 0x0
	v_mov_b32_e32 v1, 0
	s_wait_loadcnt 0x0
	v_readfirstlane_b32 s6, v0
	global_wb scope:SCOPE_SYS
	s_wait_storecnt 0x0
	global_store_b64 v[2:3], v[0:1], off scope:SCOPE_SYS
	s_and_b32 m0, s6, 0xffffff
	s_sendmsg sendmsg(MSG_INTERRUPT)
.LBB1_209:
	s_wait_xcnt 0x0
	s_or_b32 exec_lo, exec_lo, s1
	v_add_nc_u64_e32 v[0:1], v[12:13], v[30:31]
	s_branch .LBB1_213
.LBB1_210:                              ;   in Loop: Header=BB1_213 Depth=1
	s_wait_xcnt 0x0
	s_or_b32 exec_lo, exec_lo, s1
	s_delay_alu instid0(VALU_DEP_1)
	v_readfirstlane_b32 s1, v2
	s_cmp_eq_u32 s1, 0
	s_cbranch_scc1 .LBB1_212
; %bb.211:                              ;   in Loop: Header=BB1_213 Depth=1
	s_sleep 1
	s_cbranch_execnz .LBB1_213
	s_branch .LBB1_216
.LBB1_212:
	s_branch .LBB1_216
.LBB1_213:                              ; =>This Inner Loop Header: Depth=1
	v_mov_b32_e32 v2, 1
	s_and_saveexec_b32 s1, s0
	s_cbranch_execz .LBB1_210
; %bb.214:                              ;   in Loop: Header=BB1_213 Depth=1
	global_load_b32 v2, v[10:11], off offset:20 scope:SCOPE_SYS
	s_wait_loadcnt 0x0
	global_inv scope:SCOPE_SYS
	v_and_b32_e32 v2, 1, v2
	s_branch .LBB1_210
.LBB1_215:
	s_branch .LBB1_249
.LBB1_216:
	global_load_b64 v[0:1], v[0:1], off
	s_wait_xcnt 0x0
	s_and_saveexec_b32 s6, s0
	s_cbranch_execz .LBB1_220
; %bb.217:
	v_mov_b32_e32 v10, 0
	s_clause 0x2
	global_load_b64 v[2:3], v10, s[2:3] offset:40
	global_load_b64 v[14:15], v10, s[2:3] offset:24 scope:SCOPE_SYS
	global_load_b64 v[6:7], v10, s[2:3]
	s_wait_loadcnt 0x2
	v_readfirstlane_b32 s10, v2
	v_readfirstlane_b32 s11, v3
	s_add_nc_u64 s[0:1], s[10:11], 1
	s_delay_alu instid0(SALU_CYCLE_1) | instskip(NEXT) | instid1(SALU_CYCLE_1)
	s_add_nc_u64 s[4:5], s[0:1], s[4:5]
	s_cmp_eq_u64 s[4:5], 0
	s_cselect_b32 s1, s1, s5
	s_cselect_b32 s0, s0, s4
	v_mov_b32_e32 v13, s1
	s_and_b64 s[4:5], s[0:1], s[10:11]
	v_mov_b32_e32 v12, s0
	s_mul_u64 s[4:5], s[4:5], 24
	s_wait_loadcnt 0x0
	v_add_nc_u64_e32 v[2:3], s[4:5], v[6:7]
	global_store_b64 v[2:3], v[14:15], off
	global_wb scope:SCOPE_SYS
	s_wait_storecnt 0x0
	s_wait_xcnt 0x0
	global_atomic_cmpswap_b64 v[8:9], v10, v[12:15], s[2:3] offset:24 th:TH_ATOMIC_RETURN scope:SCOPE_SYS
	s_wait_loadcnt 0x0
	v_cmp_ne_u64_e32 vcc_lo, v[8:9], v[14:15]
	s_and_b32 exec_lo, exec_lo, vcc_lo
	s_cbranch_execz .LBB1_220
; %bb.218:
	s_mov_b32 s4, 0
.LBB1_219:                              ; =>This Inner Loop Header: Depth=1
	v_dual_mov_b32 v6, s0 :: v_dual_mov_b32 v7, s1
	s_sleep 1
	global_store_b64 v[2:3], v[8:9], off
	global_wb scope:SCOPE_SYS
	s_wait_storecnt 0x0
	s_wait_xcnt 0x0
	global_atomic_cmpswap_b64 v[6:7], v10, v[6:9], s[2:3] offset:24 th:TH_ATOMIC_RETURN scope:SCOPE_SYS
	s_wait_loadcnt 0x0
	v_cmp_eq_u64_e32 vcc_lo, v[6:7], v[8:9]
	v_mov_b64_e32 v[8:9], v[6:7]
	s_or_b32 s4, vcc_lo, s4
	s_delay_alu instid0(SALU_CYCLE_1)
	s_and_not1_b32 exec_lo, exec_lo, s4
	s_cbranch_execnz .LBB1_219
.LBB1_220:
	s_or_b32 exec_lo, exec_lo, s6
	s_get_pc_i64 s[4:5]
	s_add_nc_u64 s[4:5], s[4:5], .str.4@rel64+4
	s_delay_alu instid0(SALU_CYCLE_1)
	s_cmp_lg_u64 s[4:5], 0
	s_cbranch_scc1 .LBB1_115
.LBB1_221:
                                        ; implicit-def: $vgpr6_vgpr7
	s_cbranch_execz .LBB1_249
; %bb.222:
	v_readfirstlane_b32 s0, v48
	v_mov_b64_e32 v[2:3], 0
	s_delay_alu instid0(VALU_DEP_2)
	v_cmp_eq_u32_e64 s0, s0, v48
	s_and_saveexec_b32 s1, s0
	s_cbranch_execz .LBB1_228
; %bb.223:
	s_wait_loadcnt 0x0
	v_mov_b32_e32 v6, 0
	s_mov_b32 s4, exec_lo
	global_load_b64 v[10:11], v6, s[2:3] offset:24 scope:SCOPE_SYS
	s_wait_loadcnt 0x0
	global_inv scope:SCOPE_SYS
	s_clause 0x1
	global_load_b64 v[2:3], v6, s[2:3] offset:40
	global_load_b64 v[8:9], v6, s[2:3]
	s_wait_loadcnt 0x1
	v_and_b32_e32 v2, v2, v10
	v_and_b32_e32 v3, v3, v11
	s_delay_alu instid0(VALU_DEP_1) | instskip(SKIP_1) | instid1(VALU_DEP_1)
	v_mul_u64_e32 v[2:3], 24, v[2:3]
	s_wait_loadcnt 0x0
	v_add_nc_u64_e32 v[2:3], v[8:9], v[2:3]
	global_load_b64 v[8:9], v[2:3], off scope:SCOPE_SYS
	s_wait_xcnt 0x0
	s_wait_loadcnt 0x0
	global_atomic_cmpswap_b64 v[2:3], v6, v[8:11], s[2:3] offset:24 th:TH_ATOMIC_RETURN scope:SCOPE_SYS
	s_wait_loadcnt 0x0
	global_inv scope:SCOPE_SYS
	s_wait_xcnt 0x0
	v_cmpx_ne_u64_e64 v[2:3], v[10:11]
	s_cbranch_execz .LBB1_227
; %bb.224:
	s_mov_b32 s5, 0
.LBB1_225:                              ; =>This Inner Loop Header: Depth=1
	s_sleep 1
	s_clause 0x1
	global_load_b64 v[8:9], v6, s[2:3] offset:40
	global_load_b64 v[12:13], v6, s[2:3]
	v_mov_b64_e32 v[10:11], v[2:3]
	s_wait_loadcnt 0x1
	s_delay_alu instid0(VALU_DEP_1) | instskip(NEXT) | instid1(VALU_DEP_2)
	v_and_b32_e32 v2, v8, v10
	v_and_b32_e32 v7, v9, v11
	s_wait_loadcnt 0x0
	s_delay_alu instid0(VALU_DEP_2) | instskip(NEXT) | instid1(VALU_DEP_1)
	v_mad_nc_u64_u32 v[2:3], v2, 24, v[12:13]
	v_mad_u32 v3, v7, 24, v3
	global_load_b64 v[8:9], v[2:3], off scope:SCOPE_SYS
	s_wait_xcnt 0x0
	s_wait_loadcnt 0x0
	global_atomic_cmpswap_b64 v[2:3], v6, v[8:11], s[2:3] offset:24 th:TH_ATOMIC_RETURN scope:SCOPE_SYS
	s_wait_loadcnt 0x0
	global_inv scope:SCOPE_SYS
	v_cmp_eq_u64_e32 vcc_lo, v[2:3], v[10:11]
	s_or_b32 s5, vcc_lo, s5
	s_wait_xcnt 0x0
	s_and_not1_b32 exec_lo, exec_lo, s5
	s_cbranch_execnz .LBB1_225
; %bb.226:
	s_or_b32 exec_lo, exec_lo, s5
.LBB1_227:
	s_delay_alu instid0(SALU_CYCLE_1)
	s_or_b32 exec_lo, exec_lo, s4
.LBB1_228:
	s_delay_alu instid0(SALU_CYCLE_1)
	s_or_b32 exec_lo, exec_lo, s1
	v_readfirstlane_b32 s4, v2
	v_mov_b32_e32 v31, 0
	v_readfirstlane_b32 s5, v3
	s_mov_b32 s1, exec_lo
	global_load_b64 v[10:11], v31, s[2:3] offset:40
	s_wait_loadcnt 0x1
	global_load_b128 v[6:9], v31, s[2:3]
	s_wait_loadcnt 0x1
	v_and_b32_e32 v2, s4, v10
	v_and_b32_e32 v3, s5, v11
	s_delay_alu instid0(VALU_DEP_1) | instskip(SKIP_1) | instid1(VALU_DEP_1)
	v_mul_u64_e32 v[10:11], 24, v[2:3]
	s_wait_loadcnt 0x0
	v_add_nc_u64_e32 v[10:11], v[6:7], v[10:11]
	s_wait_xcnt 0x0
	s_and_saveexec_b32 s6, s0
	s_cbranch_execz .LBB1_230
; %bb.229:
	v_mov_b64_e32 v[14:15], 0x100000002
	v_dual_mov_b32 v12, s1 :: v_dual_mov_b32 v13, v31
	global_store_b128 v[10:11], v[12:15], off offset:8
.LBB1_230:
	s_wait_xcnt 0x0
	s_or_b32 exec_lo, exec_lo, s6
	v_lshlrev_b64_e32 v[2:3], 12, v[2:3]
	s_mov_b32 s12, 0
	v_and_or_b32 v0, 0xffffff1f, v0, 32
	s_mov_b32 s13, s12
	s_mov_b32 s14, s12
	;; [unrolled: 1-line block ×3, first 2 shown]
	v_mov_b64_e32 v[12:13], s[12:13]
	v_add_nc_u64_e32 v[8:9], v[8:9], v[2:3]
	v_mov_b64_e32 v[14:15], s[14:15]
	v_dual_mov_b32 v2, v31 :: v_dual_mov_b32 v3, v31
	s_delay_alu instid0(VALU_DEP_3) | instskip(NEXT) | instid1(VALU_DEP_4)
	v_readfirstlane_b32 s6, v8
	v_readfirstlane_b32 s7, v9
	s_clause 0x3
	global_store_b128 v30, v[0:3], s[6:7]
	global_store_b128 v30, v[12:15], s[6:7] offset:16
	global_store_b128 v30, v[12:15], s[6:7] offset:32
	;; [unrolled: 1-line block ×3, first 2 shown]
	s_wait_xcnt 0x0
	s_and_saveexec_b32 s1, s0
	s_cbranch_execz .LBB1_238
; %bb.231:
	v_dual_mov_b32 v12, 0 :: v_dual_mov_b32 v15, s5
	s_mov_b32 s6, exec_lo
	s_clause 0x1
	global_load_b64 v[16:17], v12, s[2:3] offset:32 scope:SCOPE_SYS
	global_load_b64 v[0:1], v12, s[2:3] offset:40
	s_wait_loadcnt 0x0
	v_dual_mov_b32 v14, s4 :: v_dual_bitop2_b32 v1, s5, v1 bitop3:0x40
	v_and_b32_e32 v0, s4, v0
	s_delay_alu instid0(VALU_DEP_1) | instskip(NEXT) | instid1(VALU_DEP_1)
	v_mul_u64_e32 v[0:1], 24, v[0:1]
	v_add_nc_u64_e32 v[6:7], v[6:7], v[0:1]
	global_store_b64 v[6:7], v[16:17], off
	global_wb scope:SCOPE_SYS
	s_wait_storecnt 0x0
	s_wait_xcnt 0x0
	global_atomic_cmpswap_b64 v[2:3], v12, v[14:17], s[2:3] offset:32 th:TH_ATOMIC_RETURN scope:SCOPE_SYS
	s_wait_loadcnt 0x0
	v_cmpx_ne_u64_e64 v[2:3], v[16:17]
	s_cbranch_execz .LBB1_234
; %bb.232:
	s_mov_b32 s7, 0
.LBB1_233:                              ; =>This Inner Loop Header: Depth=1
	v_dual_mov_b32 v0, s4 :: v_dual_mov_b32 v1, s5
	s_sleep 1
	global_store_b64 v[6:7], v[2:3], off
	global_wb scope:SCOPE_SYS
	s_wait_storecnt 0x0
	s_wait_xcnt 0x0
	global_atomic_cmpswap_b64 v[0:1], v12, v[0:3], s[2:3] offset:32 th:TH_ATOMIC_RETURN scope:SCOPE_SYS
	s_wait_loadcnt 0x0
	v_cmp_eq_u64_e32 vcc_lo, v[0:1], v[2:3]
	v_mov_b64_e32 v[2:3], v[0:1]
	s_or_b32 s7, vcc_lo, s7
	s_delay_alu instid0(SALU_CYCLE_1)
	s_and_not1_b32 exec_lo, exec_lo, s7
	s_cbranch_execnz .LBB1_233
.LBB1_234:
	s_or_b32 exec_lo, exec_lo, s6
	v_mov_b32_e32 v3, 0
	s_mov_b32 s7, exec_lo
	s_mov_b32 s6, exec_lo
	v_mbcnt_lo_u32_b32 v2, s7, 0
	global_load_b64 v[0:1], v3, s[2:3] offset:16
	s_wait_xcnt 0x0
	v_cmpx_eq_u32_e32 0, v2
	s_cbranch_execz .LBB1_236
; %bb.235:
	s_bcnt1_i32_b32 s7, s7
	s_delay_alu instid0(SALU_CYCLE_1)
	v_mov_b32_e32 v2, s7
	global_wb scope:SCOPE_SYS
	s_wait_loadcnt 0x0
	s_wait_storecnt 0x0
	global_atomic_add_u64 v[0:1], v[2:3], off offset:8 scope:SCOPE_SYS
.LBB1_236:
	s_wait_xcnt 0x0
	s_or_b32 exec_lo, exec_lo, s6
	s_wait_loadcnt 0x0
	global_load_b64 v[2:3], v[0:1], off offset:16
	s_wait_loadcnt 0x0
	v_cmp_eq_u64_e32 vcc_lo, 0, v[2:3]
	s_cbranch_vccnz .LBB1_238
; %bb.237:
	global_load_b32 v0, v[0:1], off offset:24
	s_wait_xcnt 0x0
	v_mov_b32_e32 v1, 0
	s_wait_loadcnt 0x0
	v_readfirstlane_b32 s6, v0
	global_wb scope:SCOPE_SYS
	s_wait_storecnt 0x0
	global_store_b64 v[2:3], v[0:1], off scope:SCOPE_SYS
	s_and_b32 m0, s6, 0xffffff
	s_sendmsg sendmsg(MSG_INTERRUPT)
.LBB1_238:
	s_wait_xcnt 0x0
	s_or_b32 exec_lo, exec_lo, s1
	v_add_nc_u64_e32 v[0:1], v[8:9], v[30:31]
	s_branch .LBB1_242
.LBB1_239:                              ;   in Loop: Header=BB1_242 Depth=1
	s_wait_xcnt 0x0
	s_or_b32 exec_lo, exec_lo, s1
	s_delay_alu instid0(VALU_DEP_1)
	v_readfirstlane_b32 s1, v2
	s_cmp_eq_u32 s1, 0
	s_cbranch_scc1 .LBB1_241
; %bb.240:                              ;   in Loop: Header=BB1_242 Depth=1
	s_sleep 1
	s_cbranch_execnz .LBB1_242
	s_branch .LBB1_244
.LBB1_241:
	s_branch .LBB1_244
.LBB1_242:                              ; =>This Inner Loop Header: Depth=1
	v_mov_b32_e32 v2, 1
	s_and_saveexec_b32 s1, s0
	s_cbranch_execz .LBB1_239
; %bb.243:                              ;   in Loop: Header=BB1_242 Depth=1
	global_load_b32 v2, v[10:11], off offset:20 scope:SCOPE_SYS
	s_wait_loadcnt 0x0
	global_inv scope:SCOPE_SYS
	v_and_b32_e32 v2, 1, v2
	s_branch .LBB1_239
.LBB1_244:
	global_load_b64 v[6:7], v[0:1], off
	s_wait_xcnt 0x0
	s_and_saveexec_b32 s6, s0
	s_cbranch_execz .LBB1_248
; %bb.245:
	v_mov_b32_e32 v10, 0
	s_clause 0x2
	global_load_b64 v[0:1], v10, s[2:3] offset:40
	global_load_b64 v[14:15], v10, s[2:3] offset:24 scope:SCOPE_SYS
	global_load_b64 v[2:3], v10, s[2:3]
	s_wait_loadcnt 0x2
	v_readfirstlane_b32 s10, v0
	v_readfirstlane_b32 s11, v1
	s_add_nc_u64 s[0:1], s[10:11], 1
	s_delay_alu instid0(SALU_CYCLE_1) | instskip(NEXT) | instid1(SALU_CYCLE_1)
	s_add_nc_u64 s[4:5], s[0:1], s[4:5]
	s_cmp_eq_u64 s[4:5], 0
	s_cselect_b32 s1, s1, s5
	s_cselect_b32 s0, s0, s4
	v_mov_b32_e32 v13, s1
	s_and_b64 s[4:5], s[0:1], s[10:11]
	v_mov_b32_e32 v12, s0
	s_mul_u64 s[4:5], s[4:5], 24
	s_wait_loadcnt 0x0
	v_add_nc_u64_e32 v[8:9], s[4:5], v[2:3]
	global_store_b64 v[8:9], v[14:15], off
	global_wb scope:SCOPE_SYS
	s_wait_storecnt 0x0
	s_wait_xcnt 0x0
	global_atomic_cmpswap_b64 v[2:3], v10, v[12:15], s[2:3] offset:24 th:TH_ATOMIC_RETURN scope:SCOPE_SYS
	s_wait_loadcnt 0x0
	v_cmp_ne_u64_e32 vcc_lo, v[2:3], v[14:15]
	s_and_b32 exec_lo, exec_lo, vcc_lo
	s_cbranch_execz .LBB1_248
; %bb.246:
	s_mov_b32 s4, 0
.LBB1_247:                              ; =>This Inner Loop Header: Depth=1
	v_dual_mov_b32 v0, s0 :: v_dual_mov_b32 v1, s1
	s_sleep 1
	global_store_b64 v[8:9], v[2:3], off
	global_wb scope:SCOPE_SYS
	s_wait_storecnt 0x0
	s_wait_xcnt 0x0
	global_atomic_cmpswap_b64 v[0:1], v10, v[0:3], s[2:3] offset:24 th:TH_ATOMIC_RETURN scope:SCOPE_SYS
	s_wait_loadcnt 0x0
	v_cmp_eq_u64_e32 vcc_lo, v[0:1], v[2:3]
	v_mov_b64_e32 v[2:3], v[0:1]
	s_or_b32 s4, vcc_lo, s4
	s_delay_alu instid0(SALU_CYCLE_1)
	s_and_not1_b32 exec_lo, exec_lo, s4
	s_cbranch_execnz .LBB1_247
.LBB1_248:
	s_or_b32 exec_lo, exec_lo, s6
.LBB1_249:
	v_readfirstlane_b32 s0, v48
	v_mov_b64_e32 v[8:9], 0
	s_delay_alu instid0(VALU_DEP_2)
	v_cmp_eq_u32_e64 s0, s0, v48
	s_and_saveexec_b32 s1, s0
	s_cbranch_execz .LBB1_255
; %bb.250:
	s_wait_loadcnt 0x0
	v_mov_b32_e32 v0, 0
	s_mov_b32 s4, exec_lo
	global_load_b64 v[10:11], v0, s[2:3] offset:24 scope:SCOPE_SYS
	s_wait_loadcnt 0x0
	global_inv scope:SCOPE_SYS
	s_clause 0x1
	global_load_b64 v[2:3], v0, s[2:3] offset:40
	global_load_b64 v[8:9], v0, s[2:3]
	s_wait_loadcnt 0x1
	v_and_b32_e32 v2, v2, v10
	v_and_b32_e32 v3, v3, v11
	s_delay_alu instid0(VALU_DEP_1) | instskip(SKIP_1) | instid1(VALU_DEP_1)
	v_mul_u64_e32 v[2:3], 24, v[2:3]
	s_wait_loadcnt 0x0
	v_add_nc_u64_e32 v[2:3], v[8:9], v[2:3]
	global_load_b64 v[8:9], v[2:3], off scope:SCOPE_SYS
	s_wait_xcnt 0x0
	s_wait_loadcnt 0x0
	global_atomic_cmpswap_b64 v[8:9], v0, v[8:11], s[2:3] offset:24 th:TH_ATOMIC_RETURN scope:SCOPE_SYS
	s_wait_loadcnt 0x0
	global_inv scope:SCOPE_SYS
	s_wait_xcnt 0x0
	v_cmpx_ne_u64_e64 v[8:9], v[10:11]
	s_cbranch_execz .LBB1_254
; %bb.251:
	s_mov_b32 s5, 0
.LBB1_252:                              ; =>This Inner Loop Header: Depth=1
	s_sleep 1
	s_clause 0x1
	global_load_b64 v[2:3], v0, s[2:3] offset:40
	global_load_b64 v[12:13], v0, s[2:3]
	v_mov_b64_e32 v[10:11], v[8:9]
	s_wait_loadcnt 0x1
	s_delay_alu instid0(VALU_DEP_1) | instskip(SKIP_1) | instid1(VALU_DEP_1)
	v_and_b32_e32 v1, v2, v10
	s_wait_loadcnt 0x0
	v_mad_nc_u64_u32 v[8:9], v1, 24, v[12:13]
	s_delay_alu instid0(VALU_DEP_3) | instskip(NEXT) | instid1(VALU_DEP_1)
	v_and_b32_e32 v1, v3, v11
	v_mad_u32 v9, v1, 24, v9
	global_load_b64 v[8:9], v[8:9], off scope:SCOPE_SYS
	s_wait_xcnt 0x0
	s_wait_loadcnt 0x0
	global_atomic_cmpswap_b64 v[8:9], v0, v[8:11], s[2:3] offset:24 th:TH_ATOMIC_RETURN scope:SCOPE_SYS
	s_wait_loadcnt 0x0
	global_inv scope:SCOPE_SYS
	v_cmp_eq_u64_e32 vcc_lo, v[8:9], v[10:11]
	s_or_b32 s5, vcc_lo, s5
	s_wait_xcnt 0x0
	s_and_not1_b32 exec_lo, exec_lo, s5
	s_cbranch_execnz .LBB1_252
; %bb.253:
	s_or_b32 exec_lo, exec_lo, s5
.LBB1_254:
	s_delay_alu instid0(SALU_CYCLE_1)
	s_or_b32 exec_lo, exec_lo, s4
.LBB1_255:
	s_delay_alu instid0(SALU_CYCLE_1)
	s_or_b32 exec_lo, exec_lo, s1
	v_readfirstlane_b32 s4, v8
	v_mov_b32_e32 v31, 0
	v_readfirstlane_b32 s5, v9
	s_mov_b32 s1, exec_lo
	global_load_b64 v[10:11], v31, s[2:3] offset:40
	s_wait_loadcnt 0x1
	global_load_b128 v[0:3], v31, s[2:3]
	s_wait_loadcnt 0x1
	v_and_b32_e32 v8, s4, v10
	v_and_b32_e32 v9, s5, v11
	s_delay_alu instid0(VALU_DEP_1) | instskip(SKIP_1) | instid1(VALU_DEP_1)
	v_mul_u64_e32 v[10:11], 24, v[8:9]
	s_wait_loadcnt 0x0
	v_add_nc_u64_e32 v[10:11], v[0:1], v[10:11]
	s_wait_xcnt 0x0
	s_and_saveexec_b32 s6, s0
	s_cbranch_execz .LBB1_257
; %bb.256:
	v_mov_b64_e32 v[14:15], 0x100000002
	v_dual_mov_b32 v12, s1 :: v_dual_mov_b32 v13, v31
	global_store_b128 v[10:11], v[12:15], off offset:8
.LBB1_257:
	s_wait_xcnt 0x0
	s_or_b32 exec_lo, exec_lo, s6
	v_lshlrev_b64_e32 v[8:9], 12, v[8:9]
	s_mov_b32 s12, 0
	v_and_or_b32 v6, 0xffffff1f, v6, 32
	s_mov_b32 s14, s12
	s_mov_b32 s15, s12
	s_mov_b32 s13, s12
	v_mov_b64_e32 v[16:17], s[14:15]
	v_add_nc_u64_e32 v[12:13], v[2:3], v[8:9]
	v_mov_b64_e32 v[14:15], s[12:13]
	v_dual_mov_b32 v8, 0x331 :: v_dual_mov_b32 v9, v31
	s_delay_alu instid0(VALU_DEP_3) | instskip(NEXT) | instid1(VALU_DEP_4)
	v_readfirstlane_b32 s6, v12
	v_readfirstlane_b32 s7, v13
	s_clause 0x3
	global_store_b128 v30, v[6:9], s[6:7]
	global_store_b128 v30, v[14:17], s[6:7] offset:16
	global_store_b128 v30, v[14:17], s[6:7] offset:32
	;; [unrolled: 1-line block ×3, first 2 shown]
	s_wait_xcnt 0x0
	s_and_saveexec_b32 s1, s0
	s_cbranch_execz .LBB1_265
; %bb.258:
	v_dual_mov_b32 v8, 0 :: v_dual_mov_b32 v15, s5
	s_mov_b32 s6, exec_lo
	s_clause 0x1
	global_load_b64 v[16:17], v8, s[2:3] offset:32 scope:SCOPE_SYS
	global_load_b64 v[2:3], v8, s[2:3] offset:40
	s_wait_loadcnt 0x0
	v_dual_mov_b32 v14, s4 :: v_dual_bitop2_b32 v3, s5, v3 bitop3:0x40
	v_and_b32_e32 v2, s4, v2
	s_delay_alu instid0(VALU_DEP_1) | instskip(NEXT) | instid1(VALU_DEP_1)
	v_mul_u64_e32 v[2:3], 24, v[2:3]
	v_add_nc_u64_e32 v[6:7], v[0:1], v[2:3]
	global_store_b64 v[6:7], v[16:17], off
	global_wb scope:SCOPE_SYS
	s_wait_storecnt 0x0
	s_wait_xcnt 0x0
	global_atomic_cmpswap_b64 v[2:3], v8, v[14:17], s[2:3] offset:32 th:TH_ATOMIC_RETURN scope:SCOPE_SYS
	s_wait_loadcnt 0x0
	v_cmpx_ne_u64_e64 v[2:3], v[16:17]
	s_cbranch_execz .LBB1_261
; %bb.259:
	s_mov_b32 s7, 0
.LBB1_260:                              ; =>This Inner Loop Header: Depth=1
	v_dual_mov_b32 v0, s4 :: v_dual_mov_b32 v1, s5
	s_sleep 1
	global_store_b64 v[6:7], v[2:3], off
	global_wb scope:SCOPE_SYS
	s_wait_storecnt 0x0
	s_wait_xcnt 0x0
	global_atomic_cmpswap_b64 v[0:1], v8, v[0:3], s[2:3] offset:32 th:TH_ATOMIC_RETURN scope:SCOPE_SYS
	s_wait_loadcnt 0x0
	v_cmp_eq_u64_e32 vcc_lo, v[0:1], v[2:3]
	v_mov_b64_e32 v[2:3], v[0:1]
	s_or_b32 s7, vcc_lo, s7
	s_delay_alu instid0(SALU_CYCLE_1)
	s_and_not1_b32 exec_lo, exec_lo, s7
	s_cbranch_execnz .LBB1_260
.LBB1_261:
	s_or_b32 exec_lo, exec_lo, s6
	v_mov_b32_e32 v3, 0
	s_mov_b32 s7, exec_lo
	s_mov_b32 s6, exec_lo
	v_mbcnt_lo_u32_b32 v2, s7, 0
	global_load_b64 v[0:1], v3, s[2:3] offset:16
	s_wait_xcnt 0x0
	v_cmpx_eq_u32_e32 0, v2
	s_cbranch_execz .LBB1_263
; %bb.262:
	s_bcnt1_i32_b32 s7, s7
	s_delay_alu instid0(SALU_CYCLE_1)
	v_mov_b32_e32 v2, s7
	global_wb scope:SCOPE_SYS
	s_wait_loadcnt 0x0
	s_wait_storecnt 0x0
	global_atomic_add_u64 v[0:1], v[2:3], off offset:8 scope:SCOPE_SYS
.LBB1_263:
	s_wait_xcnt 0x0
	s_or_b32 exec_lo, exec_lo, s6
	s_wait_loadcnt 0x0
	global_load_b64 v[2:3], v[0:1], off offset:16
	s_wait_loadcnt 0x0
	v_cmp_eq_u64_e32 vcc_lo, 0, v[2:3]
	s_cbranch_vccnz .LBB1_265
; %bb.264:
	global_load_b32 v0, v[0:1], off offset:24
	s_wait_xcnt 0x0
	v_mov_b32_e32 v1, 0
	s_wait_loadcnt 0x0
	v_readfirstlane_b32 s6, v0
	global_wb scope:SCOPE_SYS
	s_wait_storecnt 0x0
	global_store_b64 v[2:3], v[0:1], off scope:SCOPE_SYS
	s_and_b32 m0, s6, 0xffffff
	s_sendmsg sendmsg(MSG_INTERRUPT)
.LBB1_265:
	s_wait_xcnt 0x0
	s_or_b32 exec_lo, exec_lo, s1
	v_add_nc_u64_e32 v[0:1], v[12:13], v[30:31]
	s_branch .LBB1_269
.LBB1_266:                              ;   in Loop: Header=BB1_269 Depth=1
	s_wait_xcnt 0x0
	s_or_b32 exec_lo, exec_lo, s1
	s_delay_alu instid0(VALU_DEP_1)
	v_readfirstlane_b32 s1, v2
	s_cmp_eq_u32 s1, 0
	s_cbranch_scc1 .LBB1_268
; %bb.267:                              ;   in Loop: Header=BB1_269 Depth=1
	s_sleep 1
	s_cbranch_execnz .LBB1_269
	s_branch .LBB1_271
.LBB1_268:
	s_branch .LBB1_271
.LBB1_269:                              ; =>This Inner Loop Header: Depth=1
	v_mov_b32_e32 v2, 1
	s_and_saveexec_b32 s1, s0
	s_cbranch_execz .LBB1_266
; %bb.270:                              ;   in Loop: Header=BB1_269 Depth=1
	global_load_b32 v2, v[10:11], off offset:20 scope:SCOPE_SYS
	s_wait_loadcnt 0x0
	global_inv scope:SCOPE_SYS
	v_and_b32_e32 v2, 1, v2
	s_branch .LBB1_266
.LBB1_271:
	global_load_b64 v[0:1], v[0:1], off
	s_wait_xcnt 0x0
	s_and_saveexec_b32 s6, s0
	s_cbranch_execz .LBB1_275
; %bb.272:
	v_mov_b32_e32 v10, 0
	s_clause 0x2
	global_load_b64 v[2:3], v10, s[2:3] offset:40
	global_load_b64 v[14:15], v10, s[2:3] offset:24 scope:SCOPE_SYS
	global_load_b64 v[6:7], v10, s[2:3]
	s_wait_loadcnt 0x2
	v_readfirstlane_b32 s10, v2
	v_readfirstlane_b32 s11, v3
	s_add_nc_u64 s[0:1], s[10:11], 1
	s_delay_alu instid0(SALU_CYCLE_1) | instskip(NEXT) | instid1(SALU_CYCLE_1)
	s_add_nc_u64 s[4:5], s[0:1], s[4:5]
	s_cmp_eq_u64 s[4:5], 0
	s_cselect_b32 s1, s1, s5
	s_cselect_b32 s0, s0, s4
	v_mov_b32_e32 v13, s1
	s_and_b64 s[4:5], s[0:1], s[10:11]
	v_mov_b32_e32 v12, s0
	s_mul_u64 s[4:5], s[4:5], 24
	s_wait_loadcnt 0x0
	v_add_nc_u64_e32 v[2:3], s[4:5], v[6:7]
	global_store_b64 v[2:3], v[14:15], off
	global_wb scope:SCOPE_SYS
	s_wait_storecnt 0x0
	s_wait_xcnt 0x0
	global_atomic_cmpswap_b64 v[8:9], v10, v[12:15], s[2:3] offset:24 th:TH_ATOMIC_RETURN scope:SCOPE_SYS
	s_wait_loadcnt 0x0
	v_cmp_ne_u64_e32 vcc_lo, v[8:9], v[14:15]
	s_and_b32 exec_lo, exec_lo, vcc_lo
	s_cbranch_execz .LBB1_275
; %bb.273:
	s_mov_b32 s4, 0
.LBB1_274:                              ; =>This Inner Loop Header: Depth=1
	v_dual_mov_b32 v6, s0 :: v_dual_mov_b32 v7, s1
	s_sleep 1
	global_store_b64 v[2:3], v[8:9], off
	global_wb scope:SCOPE_SYS
	s_wait_storecnt 0x0
	s_wait_xcnt 0x0
	global_atomic_cmpswap_b64 v[6:7], v10, v[6:9], s[2:3] offset:24 th:TH_ATOMIC_RETURN scope:SCOPE_SYS
	s_wait_loadcnt 0x0
	v_cmp_eq_u64_e32 vcc_lo, v[6:7], v[8:9]
	v_mov_b64_e32 v[8:9], v[6:7]
	s_or_b32 s4, vcc_lo, s4
	s_delay_alu instid0(SALU_CYCLE_1)
	s_and_not1_b32 exec_lo, exec_lo, s4
	s_cbranch_execnz .LBB1_274
.LBB1_275:
	s_or_b32 exec_lo, exec_lo, s6
	v_mov_b64_e32 v[2:3], v[4:5]
	s_mov_b32 s0, 0
.LBB1_276:                              ; =>This Inner Loop Header: Depth=1
	global_load_u8 v6, v[2:3], off
	s_wait_xcnt 0x0
	v_add_nc_u64_e32 v[2:3], 1, v[2:3]
	s_wait_loadcnt 0x0
	v_cmp_eq_u16_e32 vcc_lo, 0, v6
	s_or_b32 s0, vcc_lo, s0
	s_delay_alu instid0(SALU_CYCLE_1)
	s_and_not1_b32 exec_lo, exec_lo, s0
	s_cbranch_execnz .LBB1_276
; %bb.277:
	s_or_b32 exec_lo, exec_lo, s0
	s_delay_alu instid0(SALU_CYCLE_1)
	s_mov_b32 s0, exec_lo
	v_cmpx_ne_u64_e32 0, v[4:5]
	s_xor_b32 s6, exec_lo, s0
	s_cbranch_execz .LBB1_363
; %bb.278:
	v_dual_mov_b32 v31, 0 :: v_dual_sub_nc_u32 v26, v2, v4
	v_mov_b64_e32 v[8:9], 0x100000002
	v_and_b32_e32 v28, 2, v0
	s_delay_alu instid0(VALU_DEP_3)
	v_dual_ashrrev_i32 v27, 31, v26 :: v_dual_bitop2_b32 v0, -3, v0 bitop3:0x40
	s_mov_b32 s10, 0
	s_mov_b32 s7, 0
	s_branch .LBB1_280
.LBB1_279:                              ;   in Loop: Header=BB1_280 Depth=1
	s_or_b32 exec_lo, exec_lo, s11
	v_sub_nc_u64_e32 v[26:27], v[26:27], v[32:33]
	v_add_nc_u64_e32 v[4:5], v[4:5], v[32:33]
	s_delay_alu instid0(VALU_DEP_2) | instskip(SKIP_1) | instid1(SALU_CYCLE_1)
	v_cmp_eq_u64_e32 vcc_lo, 0, v[26:27]
	s_or_b32 s7, vcc_lo, s7
	s_and_not1_b32 exec_lo, exec_lo, s7
	s_cbranch_execz .LBB1_362
.LBB1_280:                              ; =>This Loop Header: Depth=1
                                        ;     Child Loop BB1_283 Depth 2
                                        ;     Child Loop BB1_291 Depth 2
	;; [unrolled: 1-line block ×11, first 2 shown]
	s_delay_alu instid0(VALU_DEP_1) | instskip(NEXT) | instid1(VALU_DEP_3)
	v_min_u64 v[32:33], v[26:27], 56
	v_add_nc_u64_e32 v[12:13], 8, v[4:5]
	s_mov_b32 s0, exec_lo
	v_cmpx_gt_u64_e32 8, v[26:27]
	s_xor_b32 s4, exec_lo, s0
	s_cbranch_execz .LBB1_286
; %bb.281:                              ;   in Loop: Header=BB1_280 Depth=1
	v_mov_b64_e32 v[2:3], 0
	s_mov_b32 s5, exec_lo
	v_cmpx_ne_u64_e32 0, v[26:27]
	s_cbranch_execz .LBB1_285
; %bb.282:                              ;   in Loop: Header=BB1_280 Depth=1
	v_mov_b64_e32 v[2:3], 0
	v_mov_b64_e32 v[10:11], v[4:5]
	v_lshlrev_b32_e32 v6, 3, v32
	s_mov_b64 s[0:1], 0
	s_mov_b32 s11, 0
.LBB1_283:                              ;   Parent Loop BB1_280 Depth=1
                                        ; =>  This Inner Loop Header: Depth=2
	global_load_u8 v7, v[10:11], off
	v_mov_b32_e32 v13, s10
	s_wait_xcnt 0x0
	v_add_nc_u64_e32 v[10:11], 1, v[10:11]
	s_wait_loadcnt 0x0
	v_and_b32_e32 v12, 0xffff, v7
	s_delay_alu instid0(VALU_DEP_1) | instskip(SKIP_1) | instid1(SALU_CYCLE_1)
	v_lshlrev_b64_e32 v[12:13], s0, v[12:13]
	s_add_nc_u64 s[0:1], s[0:1], 8
	v_cmp_eq_u32_e32 vcc_lo, s0, v6
	s_delay_alu instid0(VALU_DEP_2) | instskip(NEXT) | instid1(VALU_DEP_3)
	v_or_b32_e32 v3, v13, v3
	v_or_b32_e32 v2, v12, v2
	s_or_b32 s11, vcc_lo, s11
	s_delay_alu instid0(SALU_CYCLE_1)
	s_and_not1_b32 exec_lo, exec_lo, s11
	s_cbranch_execnz .LBB1_283
; %bb.284:                              ;   in Loop: Header=BB1_280 Depth=1
	s_or_b32 exec_lo, exec_lo, s11
.LBB1_285:                              ;   in Loop: Header=BB1_280 Depth=1
	s_delay_alu instid0(SALU_CYCLE_1)
	s_or_b32 exec_lo, exec_lo, s5
	v_mov_b64_e32 v[12:13], v[4:5]
.LBB1_286:                              ;   in Loop: Header=BB1_280 Depth=1
	s_or_saveexec_b32 s0, s4
	v_mov_b32_e32 v14, 0
	s_xor_b32 exec_lo, exec_lo, s0
	s_cbranch_execz .LBB1_288
; %bb.287:                              ;   in Loop: Header=BB1_280 Depth=1
	global_load_b64 v[2:3], v[4:5], off
	v_add_nc_u32_e32 v14, -8, v32
.LBB1_288:                              ;   in Loop: Header=BB1_280 Depth=1
	s_wait_xcnt 0x0
	s_or_b32 exec_lo, exec_lo, s0
	v_add_nc_u64_e32 v[6:7], 8, v[12:13]
                                        ; implicit-def: $vgpr10_vgpr11
	s_mov_b32 s0, exec_lo
	v_cmpx_gt_u32_e32 8, v14
	s_xor_b32 s11, exec_lo, s0
	s_cbranch_execz .LBB1_294
; %bb.289:                              ;   in Loop: Header=BB1_280 Depth=1
	v_mov_b64_e32 v[10:11], 0
	s_mov_b32 s12, exec_lo
	v_cmpx_ne_u32_e32 0, v14
	s_cbranch_execz .LBB1_293
; %bb.290:                              ;   in Loop: Header=BB1_280 Depth=1
	v_mov_b64_e32 v[10:11], 0
	s_mov_b64 s[0:1], 0
	s_mov_b32 s13, 0
	s_mov_b64 s[4:5], 0
.LBB1_291:                              ;   Parent Loop BB1_280 Depth=1
                                        ; =>  This Inner Loop Header: Depth=2
	s_delay_alu instid0(SALU_CYCLE_1) | instskip(SKIP_1) | instid1(SALU_CYCLE_1)
	v_add_nc_u64_e32 v[6:7], s[4:5], v[12:13]
	s_add_nc_u64 s[4:5], s[4:5], 1
	v_cmp_eq_u32_e32 vcc_lo, s4, v14
	global_load_u8 v6, v[6:7], off
	s_wait_xcnt 0x0
	v_mov_b32_e32 v7, s10
	s_or_b32 s13, vcc_lo, s13
	s_wait_loadcnt 0x0
	v_and_b32_e32 v6, 0xffff, v6
	s_delay_alu instid0(VALU_DEP_1) | instskip(SKIP_1) | instid1(VALU_DEP_1)
	v_lshlrev_b64_e32 v[6:7], s0, v[6:7]
	s_add_nc_u64 s[0:1], s[0:1], 8
	v_or_b32_e32 v11, v7, v11
	s_delay_alu instid0(VALU_DEP_2)
	v_or_b32_e32 v10, v6, v10
	s_and_not1_b32 exec_lo, exec_lo, s13
	s_cbranch_execnz .LBB1_291
; %bb.292:                              ;   in Loop: Header=BB1_280 Depth=1
	s_or_b32 exec_lo, exec_lo, s13
.LBB1_293:                              ;   in Loop: Header=BB1_280 Depth=1
	s_delay_alu instid0(SALU_CYCLE_1)
	s_or_b32 exec_lo, exec_lo, s12
	v_mov_b64_e32 v[6:7], v[12:13]
                                        ; implicit-def: $vgpr14
.LBB1_294:                              ;   in Loop: Header=BB1_280 Depth=1
	s_or_saveexec_b32 s0, s11
	v_mov_b32_e32 v15, 0
	s_xor_b32 exec_lo, exec_lo, s0
	s_cbranch_execz .LBB1_296
; %bb.295:                              ;   in Loop: Header=BB1_280 Depth=1
	global_load_b64 v[10:11], v[12:13], off
	v_add_nc_u32_e32 v15, -8, v14
.LBB1_296:                              ;   in Loop: Header=BB1_280 Depth=1
	s_wait_xcnt 0x0
	s_or_b32 exec_lo, exec_lo, s0
	v_add_nc_u64_e32 v[16:17], 8, v[6:7]
	s_mov_b32 s0, exec_lo
	v_cmpx_gt_u32_e32 8, v15
	s_xor_b32 s11, exec_lo, s0
	s_cbranch_execz .LBB1_302
; %bb.297:                              ;   in Loop: Header=BB1_280 Depth=1
	v_mov_b64_e32 v[12:13], 0
	s_mov_b32 s12, exec_lo
	v_cmpx_ne_u32_e32 0, v15
	s_cbranch_execz .LBB1_301
; %bb.298:                              ;   in Loop: Header=BB1_280 Depth=1
	v_mov_b64_e32 v[12:13], 0
	s_mov_b64 s[0:1], 0
	s_mov_b32 s13, 0
	s_mov_b64 s[4:5], 0
.LBB1_299:                              ;   Parent Loop BB1_280 Depth=1
                                        ; =>  This Inner Loop Header: Depth=2
	s_delay_alu instid0(SALU_CYCLE_1) | instskip(SKIP_1) | instid1(SALU_CYCLE_1)
	v_add_nc_u64_e32 v[16:17], s[4:5], v[6:7]
	s_add_nc_u64 s[4:5], s[4:5], 1
	v_cmp_eq_u32_e32 vcc_lo, s4, v15
	global_load_u8 v14, v[16:17], off
	s_wait_xcnt 0x0
	v_mov_b32_e32 v17, s10
	s_or_b32 s13, vcc_lo, s13
	s_wait_loadcnt 0x0
	v_and_b32_e32 v16, 0xffff, v14
	s_delay_alu instid0(VALU_DEP_1) | instskip(SKIP_1) | instid1(VALU_DEP_1)
	v_lshlrev_b64_e32 v[16:17], s0, v[16:17]
	s_add_nc_u64 s[0:1], s[0:1], 8
	v_or_b32_e32 v13, v17, v13
	s_delay_alu instid0(VALU_DEP_2)
	v_or_b32_e32 v12, v16, v12
	s_and_not1_b32 exec_lo, exec_lo, s13
	s_cbranch_execnz .LBB1_299
; %bb.300:                              ;   in Loop: Header=BB1_280 Depth=1
	s_or_b32 exec_lo, exec_lo, s13
.LBB1_301:                              ;   in Loop: Header=BB1_280 Depth=1
	s_delay_alu instid0(SALU_CYCLE_1)
	s_or_b32 exec_lo, exec_lo, s12
	v_mov_b64_e32 v[16:17], v[6:7]
                                        ; implicit-def: $vgpr15
.LBB1_302:                              ;   in Loop: Header=BB1_280 Depth=1
	s_or_saveexec_b32 s0, s11
	v_mov_b32_e32 v18, 0
	s_xor_b32 exec_lo, exec_lo, s0
	s_cbranch_execz .LBB1_304
; %bb.303:                              ;   in Loop: Header=BB1_280 Depth=1
	global_load_b64 v[12:13], v[6:7], off
	v_add_nc_u32_e32 v18, -8, v15
.LBB1_304:                              ;   in Loop: Header=BB1_280 Depth=1
	s_wait_xcnt 0x0
	s_or_b32 exec_lo, exec_lo, s0
	v_add_nc_u64_e32 v[6:7], 8, v[16:17]
                                        ; implicit-def: $vgpr14_vgpr15
	s_mov_b32 s0, exec_lo
	v_cmpx_gt_u32_e32 8, v18
	s_xor_b32 s11, exec_lo, s0
	s_cbranch_execz .LBB1_310
; %bb.305:                              ;   in Loop: Header=BB1_280 Depth=1
	v_mov_b64_e32 v[14:15], 0
	s_mov_b32 s12, exec_lo
	v_cmpx_ne_u32_e32 0, v18
	s_cbranch_execz .LBB1_309
; %bb.306:                              ;   in Loop: Header=BB1_280 Depth=1
	v_mov_b64_e32 v[14:15], 0
	s_mov_b64 s[0:1], 0
	s_mov_b32 s13, 0
	s_mov_b64 s[4:5], 0
.LBB1_307:                              ;   Parent Loop BB1_280 Depth=1
                                        ; =>  This Inner Loop Header: Depth=2
	s_delay_alu instid0(SALU_CYCLE_1) | instskip(SKIP_1) | instid1(SALU_CYCLE_1)
	v_add_nc_u64_e32 v[6:7], s[4:5], v[16:17]
	s_add_nc_u64 s[4:5], s[4:5], 1
	v_cmp_eq_u32_e32 vcc_lo, s4, v18
	global_load_u8 v6, v[6:7], off
	s_wait_xcnt 0x0
	v_mov_b32_e32 v7, s10
	s_or_b32 s13, vcc_lo, s13
	s_wait_loadcnt 0x0
	v_and_b32_e32 v6, 0xffff, v6
	s_delay_alu instid0(VALU_DEP_1) | instskip(SKIP_1) | instid1(VALU_DEP_1)
	v_lshlrev_b64_e32 v[6:7], s0, v[6:7]
	s_add_nc_u64 s[0:1], s[0:1], 8
	v_or_b32_e32 v15, v7, v15
	s_delay_alu instid0(VALU_DEP_2)
	v_or_b32_e32 v14, v6, v14
	s_and_not1_b32 exec_lo, exec_lo, s13
	s_cbranch_execnz .LBB1_307
; %bb.308:                              ;   in Loop: Header=BB1_280 Depth=1
	s_or_b32 exec_lo, exec_lo, s13
.LBB1_309:                              ;   in Loop: Header=BB1_280 Depth=1
	s_delay_alu instid0(SALU_CYCLE_1)
	s_or_b32 exec_lo, exec_lo, s12
	v_mov_b64_e32 v[6:7], v[16:17]
                                        ; implicit-def: $vgpr18
.LBB1_310:                              ;   in Loop: Header=BB1_280 Depth=1
	s_or_saveexec_b32 s0, s11
	v_mov_b32_e32 v19, 0
	s_xor_b32 exec_lo, exec_lo, s0
	s_cbranch_execz .LBB1_312
; %bb.311:                              ;   in Loop: Header=BB1_280 Depth=1
	global_load_b64 v[14:15], v[16:17], off
	v_add_nc_u32_e32 v19, -8, v18
.LBB1_312:                              ;   in Loop: Header=BB1_280 Depth=1
	s_wait_xcnt 0x0
	s_or_b32 exec_lo, exec_lo, s0
	v_add_nc_u64_e32 v[20:21], 8, v[6:7]
	s_mov_b32 s0, exec_lo
	v_cmpx_gt_u32_e32 8, v19
	s_xor_b32 s11, exec_lo, s0
	s_cbranch_execz .LBB1_318
; %bb.313:                              ;   in Loop: Header=BB1_280 Depth=1
	v_mov_b64_e32 v[16:17], 0
	s_mov_b32 s12, exec_lo
	v_cmpx_ne_u32_e32 0, v19
	s_cbranch_execz .LBB1_317
; %bb.314:                              ;   in Loop: Header=BB1_280 Depth=1
	v_mov_b64_e32 v[16:17], 0
	s_mov_b64 s[0:1], 0
	s_mov_b32 s13, 0
	s_mov_b64 s[4:5], 0
.LBB1_315:                              ;   Parent Loop BB1_280 Depth=1
                                        ; =>  This Inner Loop Header: Depth=2
	s_delay_alu instid0(SALU_CYCLE_1) | instskip(SKIP_1) | instid1(SALU_CYCLE_1)
	v_add_nc_u64_e32 v[20:21], s[4:5], v[6:7]
	s_add_nc_u64 s[4:5], s[4:5], 1
	v_cmp_eq_u32_e32 vcc_lo, s4, v19
	global_load_u8 v18, v[20:21], off
	s_wait_xcnt 0x0
	v_mov_b32_e32 v21, s10
	s_or_b32 s13, vcc_lo, s13
	s_wait_loadcnt 0x0
	v_and_b32_e32 v20, 0xffff, v18
	s_delay_alu instid0(VALU_DEP_1) | instskip(SKIP_1) | instid1(VALU_DEP_1)
	v_lshlrev_b64_e32 v[20:21], s0, v[20:21]
	s_add_nc_u64 s[0:1], s[0:1], 8
	v_or_b32_e32 v17, v21, v17
	s_delay_alu instid0(VALU_DEP_2)
	v_or_b32_e32 v16, v20, v16
	s_and_not1_b32 exec_lo, exec_lo, s13
	s_cbranch_execnz .LBB1_315
; %bb.316:                              ;   in Loop: Header=BB1_280 Depth=1
	s_or_b32 exec_lo, exec_lo, s13
.LBB1_317:                              ;   in Loop: Header=BB1_280 Depth=1
	s_delay_alu instid0(SALU_CYCLE_1)
	s_or_b32 exec_lo, exec_lo, s12
	v_mov_b64_e32 v[20:21], v[6:7]
                                        ; implicit-def: $vgpr19
.LBB1_318:                              ;   in Loop: Header=BB1_280 Depth=1
	s_or_saveexec_b32 s0, s11
	v_mov_b32_e32 v22, 0
	s_xor_b32 exec_lo, exec_lo, s0
	s_cbranch_execz .LBB1_320
; %bb.319:                              ;   in Loop: Header=BB1_280 Depth=1
	global_load_b64 v[16:17], v[6:7], off
	v_add_nc_u32_e32 v22, -8, v19
.LBB1_320:                              ;   in Loop: Header=BB1_280 Depth=1
	s_wait_xcnt 0x0
	s_or_b32 exec_lo, exec_lo, s0
	v_add_nc_u64_e32 v[6:7], 8, v[20:21]
                                        ; implicit-def: $vgpr18_vgpr19
	s_mov_b32 s0, exec_lo
	v_cmpx_gt_u32_e32 8, v22
	s_xor_b32 s11, exec_lo, s0
	s_cbranch_execz .LBB1_326
; %bb.321:                              ;   in Loop: Header=BB1_280 Depth=1
	v_mov_b64_e32 v[18:19], 0
	s_mov_b32 s12, exec_lo
	v_cmpx_ne_u32_e32 0, v22
	s_cbranch_execz .LBB1_325
; %bb.322:                              ;   in Loop: Header=BB1_280 Depth=1
	v_mov_b64_e32 v[18:19], 0
	s_mov_b64 s[0:1], 0
	s_mov_b32 s13, 0
	s_mov_b64 s[4:5], 0
.LBB1_323:                              ;   Parent Loop BB1_280 Depth=1
                                        ; =>  This Inner Loop Header: Depth=2
	s_delay_alu instid0(SALU_CYCLE_1) | instskip(SKIP_1) | instid1(SALU_CYCLE_1)
	v_add_nc_u64_e32 v[6:7], s[4:5], v[20:21]
	s_add_nc_u64 s[4:5], s[4:5], 1
	v_cmp_eq_u32_e32 vcc_lo, s4, v22
	global_load_u8 v6, v[6:7], off
	s_wait_xcnt 0x0
	v_mov_b32_e32 v7, s10
	s_or_b32 s13, vcc_lo, s13
	s_wait_loadcnt 0x0
	v_and_b32_e32 v6, 0xffff, v6
	s_delay_alu instid0(VALU_DEP_1) | instskip(SKIP_1) | instid1(VALU_DEP_1)
	v_lshlrev_b64_e32 v[6:7], s0, v[6:7]
	s_add_nc_u64 s[0:1], s[0:1], 8
	v_or_b32_e32 v19, v7, v19
	s_delay_alu instid0(VALU_DEP_2)
	v_or_b32_e32 v18, v6, v18
	s_and_not1_b32 exec_lo, exec_lo, s13
	s_cbranch_execnz .LBB1_323
; %bb.324:                              ;   in Loop: Header=BB1_280 Depth=1
	s_or_b32 exec_lo, exec_lo, s13
.LBB1_325:                              ;   in Loop: Header=BB1_280 Depth=1
	s_delay_alu instid0(SALU_CYCLE_1)
	s_or_b32 exec_lo, exec_lo, s12
	v_mov_b64_e32 v[6:7], v[20:21]
                                        ; implicit-def: $vgpr22
.LBB1_326:                              ;   in Loop: Header=BB1_280 Depth=1
	s_or_saveexec_b32 s0, s11
	v_mov_b32_e32 v23, 0
	s_xor_b32 exec_lo, exec_lo, s0
	s_cbranch_execz .LBB1_328
; %bb.327:                              ;   in Loop: Header=BB1_280 Depth=1
	global_load_b64 v[18:19], v[20:21], off
	v_add_nc_u32_e32 v23, -8, v22
.LBB1_328:                              ;   in Loop: Header=BB1_280 Depth=1
	s_wait_xcnt 0x0
	s_or_b32 exec_lo, exec_lo, s0
	s_delay_alu instid0(SALU_CYCLE_1) | instskip(NEXT) | instid1(VALU_DEP_1)
	s_mov_b32 s0, exec_lo
	v_cmpx_gt_u32_e32 8, v23
	s_xor_b32 s4, exec_lo, s0
	s_cbranch_execz .LBB1_334
; %bb.329:                              ;   in Loop: Header=BB1_280 Depth=1
	v_mov_b64_e32 v[20:21], 0
	s_mov_b32 s5, exec_lo
	v_cmpx_ne_u32_e32 0, v23
	s_cbranch_execz .LBB1_333
; %bb.330:                              ;   in Loop: Header=BB1_280 Depth=1
	v_mov_b64_e32 v[20:21], 0
	s_mov_b64 s[0:1], 0
	s_mov_b32 s11, 0
.LBB1_331:                              ;   Parent Loop BB1_280 Depth=1
                                        ; =>  This Inner Loop Header: Depth=2
	global_load_u8 v22, v[6:7], off
	v_dual_mov_b32 v25, s10 :: v_dual_add_nc_u32 v23, -1, v23
	s_wait_xcnt 0x0
	v_add_nc_u64_e32 v[6:7], 1, v[6:7]
	s_delay_alu instid0(VALU_DEP_2) | instskip(SKIP_3) | instid1(VALU_DEP_1)
	v_cmp_eq_u32_e32 vcc_lo, 0, v23
	s_or_b32 s11, vcc_lo, s11
	s_wait_loadcnt 0x0
	v_and_b32_e32 v24, 0xffff, v22
	v_lshlrev_b64_e32 v[24:25], s0, v[24:25]
	s_add_nc_u64 s[0:1], s[0:1], 8
	s_delay_alu instid0(VALU_DEP_1) | instskip(NEXT) | instid1(VALU_DEP_2)
	v_or_b32_e32 v21, v25, v21
	v_or_b32_e32 v20, v24, v20
	s_and_not1_b32 exec_lo, exec_lo, s11
	s_cbranch_execnz .LBB1_331
; %bb.332:                              ;   in Loop: Header=BB1_280 Depth=1
	s_or_b32 exec_lo, exec_lo, s11
.LBB1_333:                              ;   in Loop: Header=BB1_280 Depth=1
	s_delay_alu instid0(SALU_CYCLE_1)
	s_or_b32 exec_lo, exec_lo, s5
                                        ; implicit-def: $vgpr6_vgpr7
.LBB1_334:                              ;   in Loop: Header=BB1_280 Depth=1
	s_and_not1_saveexec_b32 s0, s4
	s_cbranch_execz .LBB1_336
; %bb.335:                              ;   in Loop: Header=BB1_280 Depth=1
	global_load_b64 v[20:21], v[6:7], off
.LBB1_336:                              ;   in Loop: Header=BB1_280 Depth=1
	s_wait_xcnt 0x0
	s_or_b32 exec_lo, exec_lo, s0
	v_readfirstlane_b32 s0, v48
	v_mov_b64_e32 v[6:7], 0
	s_delay_alu instid0(VALU_DEP_2)
	v_cmp_eq_u32_e64 s0, s0, v48
	s_and_saveexec_b32 s1, s0
	s_cbranch_execz .LBB1_342
; %bb.337:                              ;   in Loop: Header=BB1_280 Depth=1
	global_load_b64 v[24:25], v31, s[2:3] offset:24 scope:SCOPE_SYS
	s_wait_loadcnt 0x0
	global_inv scope:SCOPE_SYS
	s_clause 0x1
	global_load_b64 v[6:7], v31, s[2:3] offset:40
	global_load_b64 v[22:23], v31, s[2:3]
	s_mov_b32 s4, exec_lo
	s_wait_loadcnt 0x1
	v_and_b32_e32 v6, v6, v24
	v_and_b32_e32 v7, v7, v25
	s_delay_alu instid0(VALU_DEP_1) | instskip(SKIP_1) | instid1(VALU_DEP_1)
	v_mul_u64_e32 v[6:7], 24, v[6:7]
	s_wait_loadcnt 0x0
	v_add_nc_u64_e32 v[6:7], v[22:23], v[6:7]
	global_load_b64 v[22:23], v[6:7], off scope:SCOPE_SYS
	s_wait_xcnt 0x0
	s_wait_loadcnt 0x0
	global_atomic_cmpswap_b64 v[6:7], v31, v[22:25], s[2:3] offset:24 th:TH_ATOMIC_RETURN scope:SCOPE_SYS
	s_wait_loadcnt 0x0
	global_inv scope:SCOPE_SYS
	s_wait_xcnt 0x0
	v_cmpx_ne_u64_e64 v[6:7], v[24:25]
	s_cbranch_execz .LBB1_341
; %bb.338:                              ;   in Loop: Header=BB1_280 Depth=1
	s_mov_b32 s5, 0
.LBB1_339:                              ;   Parent Loop BB1_280 Depth=1
                                        ; =>  This Inner Loop Header: Depth=2
	s_sleep 1
	s_clause 0x1
	global_load_b64 v[22:23], v31, s[2:3] offset:40
	global_load_b64 v[34:35], v31, s[2:3]
	v_mov_b64_e32 v[24:25], v[6:7]
	s_wait_loadcnt 0x1
	s_delay_alu instid0(VALU_DEP_1) | instskip(NEXT) | instid1(VALU_DEP_2)
	v_and_b32_e32 v6, v22, v24
	v_and_b32_e32 v22, v23, v25
	s_wait_loadcnt 0x0
	s_delay_alu instid0(VALU_DEP_2) | instskip(NEXT) | instid1(VALU_DEP_1)
	v_mad_nc_u64_u32 v[6:7], v6, 24, v[34:35]
	v_mad_u32 v7, v22, 24, v7
	global_load_b64 v[22:23], v[6:7], off scope:SCOPE_SYS
	s_wait_xcnt 0x0
	s_wait_loadcnt 0x0
	global_atomic_cmpswap_b64 v[6:7], v31, v[22:25], s[2:3] offset:24 th:TH_ATOMIC_RETURN scope:SCOPE_SYS
	s_wait_loadcnt 0x0
	global_inv scope:SCOPE_SYS
	v_cmp_eq_u64_e32 vcc_lo, v[6:7], v[24:25]
	s_or_b32 s5, vcc_lo, s5
	s_wait_xcnt 0x0
	s_and_not1_b32 exec_lo, exec_lo, s5
	s_cbranch_execnz .LBB1_339
; %bb.340:                              ;   in Loop: Header=BB1_280 Depth=1
	s_or_b32 exec_lo, exec_lo, s5
.LBB1_341:                              ;   in Loop: Header=BB1_280 Depth=1
	s_delay_alu instid0(SALU_CYCLE_1)
	s_or_b32 exec_lo, exec_lo, s4
.LBB1_342:                              ;   in Loop: Header=BB1_280 Depth=1
	s_delay_alu instid0(SALU_CYCLE_1)
	s_or_b32 exec_lo, exec_lo, s1
	s_clause 0x1
	global_load_b64 v[34:35], v31, s[2:3] offset:40
	global_load_b128 v[22:25], v31, s[2:3]
	v_readfirstlane_b32 s4, v6
	v_readfirstlane_b32 s5, v7
	s_mov_b32 s1, exec_lo
	s_wait_loadcnt 0x1
	v_and_b32_e32 v36, s4, v34
	v_and_b32_e32 v37, s5, v35
	s_delay_alu instid0(VALU_DEP_1) | instskip(SKIP_1) | instid1(VALU_DEP_1)
	v_mul_u64_e32 v[6:7], 24, v[36:37]
	s_wait_loadcnt 0x0
	v_add_nc_u64_e32 v[34:35], v[22:23], v[6:7]
	s_wait_xcnt 0x0
	s_and_saveexec_b32 s11, s0
	s_cbranch_execz .LBB1_344
; %bb.343:                              ;   in Loop: Header=BB1_280 Depth=1
	v_dual_mov_b32 v6, s1 :: v_dual_mov_b32 v7, v31
	global_store_b128 v[34:35], v[6:9], off offset:8
.LBB1_344:                              ;   in Loop: Header=BB1_280 Depth=1
	s_wait_xcnt 0x0
	s_or_b32 exec_lo, exec_lo, s11
	v_cmp_gt_u64_e32 vcc_lo, 57, v[26:27]
	v_lshlrev_b64_e32 v[6:7], 12, v[36:37]
	v_and_b32_e32 v0, 0xffffff1f, v0
	v_lshl_add_u32 v36, v32, 2, 28
	v_cndmask_b32_e32 v29, 0, v28, vcc_lo
	s_delay_alu instid0(VALU_DEP_4) | instskip(NEXT) | instid1(VALU_DEP_2)
	v_add_nc_u64_e32 v[6:7], v[24:25], v[6:7]
	v_or_b32_e32 v0, v0, v29
	s_delay_alu instid0(VALU_DEP_2) | instskip(NEXT) | instid1(VALU_DEP_3)
	v_readfirstlane_b32 s12, v6
	v_readfirstlane_b32 s13, v7
	s_delay_alu instid0(VALU_DEP_3)
	v_and_or_b32 v0, 0x1e0, v36, v0
	s_clause 0x3
	global_store_b128 v30, v[0:3], s[12:13]
	global_store_b128 v30, v[10:13], s[12:13] offset:16
	global_store_b128 v30, v[14:17], s[12:13] offset:32
	;; [unrolled: 1-line block ×3, first 2 shown]
	s_wait_xcnt 0x0
	s_and_saveexec_b32 s1, s0
	s_cbranch_execz .LBB1_352
; %bb.345:                              ;   in Loop: Header=BB1_280 Depth=1
	s_clause 0x1
	global_load_b64 v[14:15], v31, s[2:3] offset:32 scope:SCOPE_SYS
	global_load_b64 v[0:1], v31, s[2:3] offset:40
	s_mov_b32 s11, exec_lo
	v_dual_mov_b32 v12, s4 :: v_dual_mov_b32 v13, s5
	s_wait_loadcnt 0x0
	v_and_b32_e32 v1, s5, v1
	v_and_b32_e32 v0, s4, v0
	s_delay_alu instid0(VALU_DEP_1) | instskip(NEXT) | instid1(VALU_DEP_1)
	v_mul_u64_e32 v[0:1], 24, v[0:1]
	v_add_nc_u64_e32 v[10:11], v[22:23], v[0:1]
	global_store_b64 v[10:11], v[14:15], off
	global_wb scope:SCOPE_SYS
	s_wait_storecnt 0x0
	s_wait_xcnt 0x0
	global_atomic_cmpswap_b64 v[2:3], v31, v[12:15], s[2:3] offset:32 th:TH_ATOMIC_RETURN scope:SCOPE_SYS
	s_wait_loadcnt 0x0
	v_cmpx_ne_u64_e64 v[2:3], v[14:15]
	s_cbranch_execz .LBB1_348
; %bb.346:                              ;   in Loop: Header=BB1_280 Depth=1
	s_mov_b32 s12, 0
.LBB1_347:                              ;   Parent Loop BB1_280 Depth=1
                                        ; =>  This Inner Loop Header: Depth=2
	v_dual_mov_b32 v0, s4 :: v_dual_mov_b32 v1, s5
	s_sleep 1
	global_store_b64 v[10:11], v[2:3], off
	global_wb scope:SCOPE_SYS
	s_wait_storecnt 0x0
	s_wait_xcnt 0x0
	global_atomic_cmpswap_b64 v[0:1], v31, v[0:3], s[2:3] offset:32 th:TH_ATOMIC_RETURN scope:SCOPE_SYS
	s_wait_loadcnt 0x0
	v_cmp_eq_u64_e32 vcc_lo, v[0:1], v[2:3]
	v_mov_b64_e32 v[2:3], v[0:1]
	s_or_b32 s12, vcc_lo, s12
	s_delay_alu instid0(SALU_CYCLE_1)
	s_and_not1_b32 exec_lo, exec_lo, s12
	s_cbranch_execnz .LBB1_347
.LBB1_348:                              ;   in Loop: Header=BB1_280 Depth=1
	s_or_b32 exec_lo, exec_lo, s11
	global_load_b64 v[0:1], v31, s[2:3] offset:16
	s_mov_b32 s12, exec_lo
	s_mov_b32 s11, exec_lo
	v_mbcnt_lo_u32_b32 v2, s12, 0
	s_wait_xcnt 0x0
	s_delay_alu instid0(VALU_DEP_1)
	v_cmpx_eq_u32_e32 0, v2
	s_cbranch_execz .LBB1_350
; %bb.349:                              ;   in Loop: Header=BB1_280 Depth=1
	s_bcnt1_i32_b32 s12, s12
	s_delay_alu instid0(SALU_CYCLE_1)
	v_dual_mov_b32 v3, v31 :: v_dual_mov_b32 v2, s12
	global_wb scope:SCOPE_SYS
	s_wait_loadcnt 0x0
	s_wait_storecnt 0x0
	global_atomic_add_u64 v[0:1], v[2:3], off offset:8 scope:SCOPE_SYS
.LBB1_350:                              ;   in Loop: Header=BB1_280 Depth=1
	s_wait_xcnt 0x0
	s_or_b32 exec_lo, exec_lo, s11
	s_wait_loadcnt 0x0
	global_load_b64 v[2:3], v[0:1], off offset:16
	s_wait_loadcnt 0x0
	v_cmp_eq_u64_e32 vcc_lo, 0, v[2:3]
	s_cbranch_vccnz .LBB1_352
; %bb.351:                              ;   in Loop: Header=BB1_280 Depth=1
	global_load_b32 v0, v[0:1], off offset:24
	s_wait_xcnt 0x0
	v_mov_b32_e32 v1, v31
	s_wait_loadcnt 0x0
	v_readfirstlane_b32 s11, v0
	global_wb scope:SCOPE_SYS
	s_wait_storecnt 0x0
	global_store_b64 v[2:3], v[0:1], off scope:SCOPE_SYS
	s_and_b32 m0, s11, 0xffffff
	s_sendmsg sendmsg(MSG_INTERRUPT)
.LBB1_352:                              ;   in Loop: Header=BB1_280 Depth=1
	s_wait_xcnt 0x0
	s_or_b32 exec_lo, exec_lo, s1
	v_add_nc_u64_e32 v[0:1], v[6:7], v[30:31]
	s_branch .LBB1_356
.LBB1_353:                              ;   in Loop: Header=BB1_356 Depth=2
	s_wait_xcnt 0x0
	s_or_b32 exec_lo, exec_lo, s1
	s_delay_alu instid0(VALU_DEP_1)
	v_readfirstlane_b32 s1, v2
	s_cmp_eq_u32 s1, 0
	s_cbranch_scc1 .LBB1_355
; %bb.354:                              ;   in Loop: Header=BB1_356 Depth=2
	s_sleep 1
	s_cbranch_execnz .LBB1_356
	s_branch .LBB1_358
.LBB1_355:                              ;   in Loop: Header=BB1_280 Depth=1
	s_branch .LBB1_358
.LBB1_356:                              ;   Parent Loop BB1_280 Depth=1
                                        ; =>  This Inner Loop Header: Depth=2
	v_mov_b32_e32 v2, 1
	s_and_saveexec_b32 s1, s0
	s_cbranch_execz .LBB1_353
; %bb.357:                              ;   in Loop: Header=BB1_356 Depth=2
	global_load_b32 v2, v[34:35], off offset:20 scope:SCOPE_SYS
	s_wait_loadcnt 0x0
	global_inv scope:SCOPE_SYS
	v_and_b32_e32 v2, 1, v2
	s_branch .LBB1_353
.LBB1_358:                              ;   in Loop: Header=BB1_280 Depth=1
	global_load_b64 v[0:1], v[0:1], off
	s_wait_xcnt 0x0
	s_and_saveexec_b32 s11, s0
	s_cbranch_execz .LBB1_279
; %bb.359:                              ;   in Loop: Header=BB1_280 Depth=1
	s_clause 0x2
	global_load_b64 v[2:3], v31, s[2:3] offset:40
	global_load_b64 v[14:15], v31, s[2:3] offset:24 scope:SCOPE_SYS
	global_load_b64 v[6:7], v31, s[2:3]
	s_wait_loadcnt 0x2
	v_readfirstlane_b32 s12, v2
	v_readfirstlane_b32 s13, v3
	s_add_nc_u64 s[0:1], s[12:13], 1
	s_delay_alu instid0(SALU_CYCLE_1) | instskip(NEXT) | instid1(SALU_CYCLE_1)
	s_add_nc_u64 s[4:5], s[0:1], s[4:5]
	s_cmp_eq_u64 s[4:5], 0
	s_cselect_b32 s1, s1, s5
	s_cselect_b32 s0, s0, s4
	s_delay_alu instid0(SALU_CYCLE_1) | instskip(SKIP_1) | instid1(SALU_CYCLE_1)
	v_dual_mov_b32 v13, s1 :: v_dual_mov_b32 v12, s0
	s_and_b64 s[4:5], s[0:1], s[12:13]
	s_mul_u64 s[4:5], s[4:5], 24
	s_wait_loadcnt 0x0
	v_add_nc_u64_e32 v[2:3], s[4:5], v[6:7]
	global_store_b64 v[2:3], v[14:15], off
	global_wb scope:SCOPE_SYS
	s_wait_storecnt 0x0
	s_wait_xcnt 0x0
	global_atomic_cmpswap_b64 v[12:13], v31, v[12:15], s[2:3] offset:24 th:TH_ATOMIC_RETURN scope:SCOPE_SYS
	s_wait_loadcnt 0x0
	v_cmp_ne_u64_e32 vcc_lo, v[12:13], v[14:15]
	s_and_b32 exec_lo, exec_lo, vcc_lo
	s_cbranch_execz .LBB1_279
; %bb.360:                              ;   in Loop: Header=BB1_280 Depth=1
	s_mov_b32 s4, 0
.LBB1_361:                              ;   Parent Loop BB1_280 Depth=1
                                        ; =>  This Inner Loop Header: Depth=2
	v_dual_mov_b32 v10, s0 :: v_dual_mov_b32 v11, s1
	s_sleep 1
	global_store_b64 v[2:3], v[12:13], off
	global_wb scope:SCOPE_SYS
	s_wait_storecnt 0x0
	s_wait_xcnt 0x0
	global_atomic_cmpswap_b64 v[6:7], v31, v[10:13], s[2:3] offset:24 th:TH_ATOMIC_RETURN scope:SCOPE_SYS
	s_wait_loadcnt 0x0
	v_cmp_eq_u64_e32 vcc_lo, v[6:7], v[12:13]
	v_mov_b64_e32 v[12:13], v[6:7]
	s_or_b32 s4, vcc_lo, s4
	s_delay_alu instid0(SALU_CYCLE_1)
	s_and_not1_b32 exec_lo, exec_lo, s4
	s_cbranch_execnz .LBB1_361
	s_branch .LBB1_279
.LBB1_362:
	s_or_b32 exec_lo, exec_lo, s7
                                        ; implicit-def: $vgpr30
                                        ; implicit-def: $vgpr48
.LBB1_363:
	s_and_not1_saveexec_b32 s6, s6
	s_cbranch_execz .LBB1_391
; %bb.364:
	v_readfirstlane_b32 s0, v48
	v_mov_b64_e32 v[2:3], 0
	s_delay_alu instid0(VALU_DEP_2)
	v_cmp_eq_u32_e64 s0, s0, v48
	s_and_saveexec_b32 s1, s0
	s_cbranch_execz .LBB1_370
; %bb.365:
	v_mov_b32_e32 v4, 0
	s_mov_b32 s4, exec_lo
	global_load_b64 v[8:9], v4, s[2:3] offset:24 scope:SCOPE_SYS
	s_wait_loadcnt 0x0
	global_inv scope:SCOPE_SYS
	s_clause 0x1
	global_load_b64 v[2:3], v4, s[2:3] offset:40
	global_load_b64 v[6:7], v4, s[2:3]
	s_wait_loadcnt 0x1
	v_and_b32_e32 v2, v2, v8
	v_and_b32_e32 v3, v3, v9
	s_delay_alu instid0(VALU_DEP_1) | instskip(SKIP_1) | instid1(VALU_DEP_1)
	v_mul_u64_e32 v[2:3], 24, v[2:3]
	s_wait_loadcnt 0x0
	v_add_nc_u64_e32 v[2:3], v[6:7], v[2:3]
	global_load_b64 v[6:7], v[2:3], off scope:SCOPE_SYS
	s_wait_xcnt 0x0
	s_wait_loadcnt 0x0
	global_atomic_cmpswap_b64 v[2:3], v4, v[6:9], s[2:3] offset:24 th:TH_ATOMIC_RETURN scope:SCOPE_SYS
	s_wait_loadcnt 0x0
	global_inv scope:SCOPE_SYS
	s_wait_xcnt 0x0
	v_cmpx_ne_u64_e64 v[2:3], v[8:9]
	s_cbranch_execz .LBB1_369
; %bb.366:
	s_mov_b32 s5, 0
.LBB1_367:                              ; =>This Inner Loop Header: Depth=1
	s_sleep 1
	s_clause 0x1
	global_load_b64 v[6:7], v4, s[2:3] offset:40
	global_load_b64 v[10:11], v4, s[2:3]
	v_mov_b64_e32 v[8:9], v[2:3]
	s_wait_loadcnt 0x1
	s_delay_alu instid0(VALU_DEP_1) | instskip(NEXT) | instid1(VALU_DEP_2)
	v_and_b32_e32 v2, v6, v8
	v_and_b32_e32 v5, v7, v9
	s_wait_loadcnt 0x0
	s_delay_alu instid0(VALU_DEP_2) | instskip(NEXT) | instid1(VALU_DEP_1)
	v_mad_nc_u64_u32 v[2:3], v2, 24, v[10:11]
	v_mad_u32 v3, v5, 24, v3
	global_load_b64 v[6:7], v[2:3], off scope:SCOPE_SYS
	s_wait_xcnt 0x0
	s_wait_loadcnt 0x0
	global_atomic_cmpswap_b64 v[2:3], v4, v[6:9], s[2:3] offset:24 th:TH_ATOMIC_RETURN scope:SCOPE_SYS
	s_wait_loadcnt 0x0
	global_inv scope:SCOPE_SYS
	v_cmp_eq_u64_e32 vcc_lo, v[2:3], v[8:9]
	s_or_b32 s5, vcc_lo, s5
	s_wait_xcnt 0x0
	s_and_not1_b32 exec_lo, exec_lo, s5
	s_cbranch_execnz .LBB1_367
; %bb.368:
	s_or_b32 exec_lo, exec_lo, s5
.LBB1_369:
	s_delay_alu instid0(SALU_CYCLE_1)
	s_or_b32 exec_lo, exec_lo, s4
.LBB1_370:
	s_delay_alu instid0(SALU_CYCLE_1)
	s_or_b32 exec_lo, exec_lo, s1
	v_readfirstlane_b32 s4, v2
	v_mov_b32_e32 v31, 0
	v_readfirstlane_b32 s5, v3
	s_mov_b32 s1, exec_lo
	s_clause 0x1
	global_load_b64 v[8:9], v31, s[2:3] offset:40
	global_load_b128 v[4:7], v31, s[2:3]
	s_wait_loadcnt 0x1
	v_and_b32_e32 v2, s4, v8
	v_and_b32_e32 v3, s5, v9
	s_delay_alu instid0(VALU_DEP_1) | instskip(SKIP_1) | instid1(VALU_DEP_1)
	v_mul_u64_e32 v[8:9], 24, v[2:3]
	s_wait_loadcnt 0x0
	v_add_nc_u64_e32 v[8:9], v[4:5], v[8:9]
	s_wait_xcnt 0x0
	s_and_saveexec_b32 s7, s0
	s_cbranch_execz .LBB1_372
; %bb.371:
	v_mov_b64_e32 v[12:13], 0x100000002
	v_dual_mov_b32 v10, s1 :: v_dual_mov_b32 v11, v31
	global_store_b128 v[8:9], v[10:13], off offset:8
.LBB1_372:
	s_wait_xcnt 0x0
	s_or_b32 exec_lo, exec_lo, s7
	v_lshlrev_b64_e32 v[2:3], 12, v[2:3]
	s_mov_b32 s12, 0
	v_and_or_b32 v0, 0xffffff1f, v0, 32
	s_mov_b32 s13, s12
	s_mov_b32 s14, s12
	;; [unrolled: 1-line block ×3, first 2 shown]
	v_mov_b64_e32 v[10:11], s[12:13]
	v_add_nc_u64_e32 v[6:7], v[6:7], v[2:3]
	v_mov_b64_e32 v[12:13], s[14:15]
	v_dual_mov_b32 v2, v31 :: v_dual_mov_b32 v3, v31
	s_delay_alu instid0(VALU_DEP_3) | instskip(NEXT) | instid1(VALU_DEP_4)
	v_readfirstlane_b32 s10, v6
	v_readfirstlane_b32 s11, v7
	s_clause 0x3
	global_store_b128 v30, v[0:3], s[10:11]
	global_store_b128 v30, v[10:13], s[10:11] offset:16
	global_store_b128 v30, v[10:13], s[10:11] offset:32
	global_store_b128 v30, v[10:13], s[10:11] offset:48
	s_wait_xcnt 0x0
	s_and_saveexec_b32 s1, s0
	s_cbranch_execz .LBB1_380
; %bb.373:
	v_dual_mov_b32 v10, 0 :: v_dual_mov_b32 v13, s5
	s_mov_b32 s7, exec_lo
	s_clause 0x1
	global_load_b64 v[14:15], v10, s[2:3] offset:32 scope:SCOPE_SYS
	global_load_b64 v[0:1], v10, s[2:3] offset:40
	s_wait_loadcnt 0x0
	v_dual_mov_b32 v12, s4 :: v_dual_bitop2_b32 v1, s5, v1 bitop3:0x40
	v_and_b32_e32 v0, s4, v0
	s_delay_alu instid0(VALU_DEP_1) | instskip(NEXT) | instid1(VALU_DEP_1)
	v_mul_u64_e32 v[0:1], 24, v[0:1]
	v_add_nc_u64_e32 v[4:5], v[4:5], v[0:1]
	global_store_b64 v[4:5], v[14:15], off
	global_wb scope:SCOPE_SYS
	s_wait_storecnt 0x0
	s_wait_xcnt 0x0
	global_atomic_cmpswap_b64 v[2:3], v10, v[12:15], s[2:3] offset:32 th:TH_ATOMIC_RETURN scope:SCOPE_SYS
	s_wait_loadcnt 0x0
	v_cmpx_ne_u64_e64 v[2:3], v[14:15]
	s_cbranch_execz .LBB1_376
; %bb.374:
	s_mov_b32 s10, 0
.LBB1_375:                              ; =>This Inner Loop Header: Depth=1
	v_dual_mov_b32 v0, s4 :: v_dual_mov_b32 v1, s5
	s_sleep 1
	global_store_b64 v[4:5], v[2:3], off
	global_wb scope:SCOPE_SYS
	s_wait_storecnt 0x0
	s_wait_xcnt 0x0
	global_atomic_cmpswap_b64 v[0:1], v10, v[0:3], s[2:3] offset:32 th:TH_ATOMIC_RETURN scope:SCOPE_SYS
	s_wait_loadcnt 0x0
	v_cmp_eq_u64_e32 vcc_lo, v[0:1], v[2:3]
	v_mov_b64_e32 v[2:3], v[0:1]
	s_or_b32 s10, vcc_lo, s10
	s_delay_alu instid0(SALU_CYCLE_1)
	s_and_not1_b32 exec_lo, exec_lo, s10
	s_cbranch_execnz .LBB1_375
.LBB1_376:
	s_or_b32 exec_lo, exec_lo, s7
	v_mov_b32_e32 v3, 0
	s_mov_b32 s10, exec_lo
	s_mov_b32 s7, exec_lo
	v_mbcnt_lo_u32_b32 v2, s10, 0
	global_load_b64 v[0:1], v3, s[2:3] offset:16
	s_wait_xcnt 0x0
	v_cmpx_eq_u32_e32 0, v2
	s_cbranch_execz .LBB1_378
; %bb.377:
	s_bcnt1_i32_b32 s10, s10
	s_delay_alu instid0(SALU_CYCLE_1)
	v_mov_b32_e32 v2, s10
	global_wb scope:SCOPE_SYS
	s_wait_loadcnt 0x0
	s_wait_storecnt 0x0
	global_atomic_add_u64 v[0:1], v[2:3], off offset:8 scope:SCOPE_SYS
.LBB1_378:
	s_wait_xcnt 0x0
	s_or_b32 exec_lo, exec_lo, s7
	s_wait_loadcnt 0x0
	global_load_b64 v[2:3], v[0:1], off offset:16
	s_wait_loadcnt 0x0
	v_cmp_eq_u64_e32 vcc_lo, 0, v[2:3]
	s_cbranch_vccnz .LBB1_380
; %bb.379:
	global_load_b32 v0, v[0:1], off offset:24
	s_wait_xcnt 0x0
	v_mov_b32_e32 v1, 0
	s_wait_loadcnt 0x0
	v_readfirstlane_b32 s7, v0
	global_wb scope:SCOPE_SYS
	s_wait_storecnt 0x0
	global_store_b64 v[2:3], v[0:1], off scope:SCOPE_SYS
	s_and_b32 m0, s7, 0xffffff
	s_sendmsg sendmsg(MSG_INTERRUPT)
.LBB1_380:
	s_wait_xcnt 0x0
	s_or_b32 exec_lo, exec_lo, s1
	v_add_nc_u64_e32 v[0:1], v[6:7], v[30:31]
	s_branch .LBB1_384
.LBB1_381:                              ;   in Loop: Header=BB1_384 Depth=1
	s_wait_xcnt 0x0
	s_or_b32 exec_lo, exec_lo, s1
	s_delay_alu instid0(VALU_DEP_1)
	v_readfirstlane_b32 s1, v2
	s_cmp_eq_u32 s1, 0
	s_cbranch_scc1 .LBB1_383
; %bb.382:                              ;   in Loop: Header=BB1_384 Depth=1
	s_sleep 1
	s_cbranch_execnz .LBB1_384
	s_branch .LBB1_386
.LBB1_383:
	s_branch .LBB1_386
.LBB1_384:                              ; =>This Inner Loop Header: Depth=1
	v_mov_b32_e32 v2, 1
	s_and_saveexec_b32 s1, s0
	s_cbranch_execz .LBB1_381
; %bb.385:                              ;   in Loop: Header=BB1_384 Depth=1
	global_load_b32 v2, v[8:9], off offset:20 scope:SCOPE_SYS
	s_wait_loadcnt 0x0
	global_inv scope:SCOPE_SYS
	v_and_b32_e32 v2, 1, v2
	s_branch .LBB1_381
.LBB1_386:
	global_load_b64 v[0:1], v[0:1], off
	s_wait_xcnt 0x0
	s_and_saveexec_b32 s7, s0
	s_cbranch_execz .LBB1_390
; %bb.387:
	v_mov_b32_e32 v8, 0
	s_clause 0x2
	global_load_b64 v[2:3], v8, s[2:3] offset:40
	global_load_b64 v[12:13], v8, s[2:3] offset:24 scope:SCOPE_SYS
	global_load_b64 v[4:5], v8, s[2:3]
	s_wait_loadcnt 0x2
	v_readfirstlane_b32 s10, v2
	v_readfirstlane_b32 s11, v3
	s_add_nc_u64 s[0:1], s[10:11], 1
	s_delay_alu instid0(SALU_CYCLE_1) | instskip(NEXT) | instid1(SALU_CYCLE_1)
	s_add_nc_u64 s[4:5], s[0:1], s[4:5]
	s_cmp_eq_u64 s[4:5], 0
	s_cselect_b32 s1, s1, s5
	s_cselect_b32 s0, s0, s4
	v_mov_b32_e32 v11, s1
	s_and_b64 s[4:5], s[0:1], s[10:11]
	v_mov_b32_e32 v10, s0
	s_mul_u64 s[4:5], s[4:5], 24
	s_wait_loadcnt 0x0
	v_add_nc_u64_e32 v[6:7], s[4:5], v[4:5]
	global_store_b64 v[6:7], v[12:13], off
	global_wb scope:SCOPE_SYS
	s_wait_storecnt 0x0
	s_wait_xcnt 0x0
	global_atomic_cmpswap_b64 v[4:5], v8, v[10:13], s[2:3] offset:24 th:TH_ATOMIC_RETURN scope:SCOPE_SYS
	s_wait_loadcnt 0x0
	v_cmp_ne_u64_e32 vcc_lo, v[4:5], v[12:13]
	s_and_b32 exec_lo, exec_lo, vcc_lo
	s_cbranch_execz .LBB1_390
; %bb.388:
	s_mov_b32 s4, 0
.LBB1_389:                              ; =>This Inner Loop Header: Depth=1
	v_dual_mov_b32 v2, s0 :: v_dual_mov_b32 v3, s1
	s_sleep 1
	global_store_b64 v[6:7], v[4:5], off
	global_wb scope:SCOPE_SYS
	s_wait_storecnt 0x0
	s_wait_xcnt 0x0
	global_atomic_cmpswap_b64 v[2:3], v8, v[2:5], s[2:3] offset:24 th:TH_ATOMIC_RETURN scope:SCOPE_SYS
	s_wait_loadcnt 0x0
	v_cmp_eq_u64_e32 vcc_lo, v[2:3], v[4:5]
	v_mov_b64_e32 v[4:5], v[2:3]
	s_or_b32 s4, vcc_lo, s4
	s_delay_alu instid0(SALU_CYCLE_1)
	s_and_not1_b32 exec_lo, exec_lo, s4
	s_cbranch_execnz .LBB1_389
.LBB1_390:
	s_or_b32 exec_lo, exec_lo, s7
.LBB1_391:
	s_delay_alu instid0(SALU_CYCLE_1)
	s_or_b32 exec_lo, exec_lo, s6
	s_get_pc_i64 s[0:1]
	s_add_nc_u64 s[0:1], s[0:1], .str.3@rel64+4
	s_get_pc_i64 s[2:3]
	s_add_nc_u64 s[2:3], s[2:3], .str.3@rel64+32
	v_dual_mov_b32 v2, s0 :: v_dual_mov_b32 v3, s1
	s_sub_co_i32 s4, s2, s0
	v_mov_b32_e32 v6, 1
	s_ashr_i32 s5, s4, 31
	s_delay_alu instid0(SALU_CYCLE_1) | instskip(SKIP_2) | instid1(SALU_CYCLE_1)
	v_dual_mov_b32 v4, s4 :: v_dual_mov_b32 v5, s5
	s_get_pc_i64 s[2:3]
	s_add_nc_u64 s[2:3], s[2:3], __ockl_fprintf_append_string_n@rel64+4
	s_swap_pc_i64 s[30:31], s[2:3]
	s_trap 2
.Lfunc_end1:
	.size	__assert_fail, .Lfunc_end1-__assert_fail
                                        ; -- End function
	.set .L__assert_fail.num_vgpr, max(49, .L__ockl_fprintf_append_string_n.num_vgpr)
	.set .L__assert_fail.num_agpr, max(0, .L__ockl_fprintf_append_string_n.num_agpr)
	.set .L__assert_fail.numbered_sgpr, max(34, .L__ockl_fprintf_append_string_n.numbered_sgpr)
	.set .L__assert_fail.num_named_barrier, max(0, .L__ockl_fprintf_append_string_n.num_named_barrier)
	.set .L__assert_fail.private_seg_size, 64+max(.L__ockl_fprintf_append_string_n.private_seg_size)
	.set .L__assert_fail.uses_vcc, or(1, .L__ockl_fprintf_append_string_n.uses_vcc)
	.set .L__assert_fail.uses_flat_scratch, or(1, .L__ockl_fprintf_append_string_n.uses_flat_scratch)
	.set .L__assert_fail.has_dyn_sized_stack, or(0, .L__ockl_fprintf_append_string_n.has_dyn_sized_stack)
	.set .L__assert_fail.has_recursion, or(0, .L__ockl_fprintf_append_string_n.has_recursion)
	.set .L__assert_fail.has_indirect_call, or(0, .L__ockl_fprintf_append_string_n.has_indirect_call)
	.section	.AMDGPU.csdata,"",@progbits
; Function info:
; codeLenInByte = 15740
; TotalNumSgprs: 36
; NumVgprs: 49
; ScratchSize: 64
; MemoryBound: 0
	.text
	.p2align	2                               ; -- Begin function _ZN12_GLOBAL__N_17runRingI14__hip_fp8_e5m28FuncProdIS1_E11ProtoSimpleILi2ELi2ELi0ELi1ELi0ELi0EELi0ELi0ELi1ELi0EEEviiP15ncclDevWorkColl
	.type	_ZN12_GLOBAL__N_17runRingI14__hip_fp8_e5m28FuncProdIS1_E11ProtoSimpleILi2ELi2ELi0ELi1ELi0ELi0EELi0ELi0ELi1ELi0EEEviiP15ncclDevWorkColl,@function
_ZN12_GLOBAL__N_17runRingI14__hip_fp8_e5m28FuncProdIS1_E11ProtoSimpleILi2ELi2ELi0ELi1ELi0ELi0EELi0ELi0ELi1ELi0EEEviiP15ncclDevWorkColl: ; @_ZN12_GLOBAL__N_17runRingI14__hip_fp8_e5m28FuncProdIS1_E11ProtoSimpleILi2ELi2ELi0ELi1ELi0ELi0EELi0ELi0ELi1ELi0EEEviiP15ncclDevWorkColl
; %bb.0:
	s_wait_loadcnt_dscnt 0x0
	s_wait_kmcnt 0x0
	s_mov_b32 s89, s33
	s_mov_b32 s33, s32
	s_or_saveexec_b32 s0, -1
	scratch_store_b32 off, v127, s33 offset:204 ; 4-byte Folded Spill
	s_wait_xcnt 0x0
	s_mov_b32 exec_lo, s0
	s_addk_co_i32 s32, 0xe0
	s_clause 0x2e
	scratch_store_b32 off, v40, s33 offset:184
	; meta instruction
	scratch_store_b32 off, v41, s33 offset:180
	; meta instruction
	;; [unrolled: 2-line block ×46, first 2 shown]
	scratch_store_b32 off, v126, s33
	v_writelane_b32 v127, s30, 0
	v_writelane_b32 v127, s31, 1
	s_trap 2
	flat_load_b32 v7, v[2:3]
	ds_load_b32 v6, v0
	s_mov_b32 s0, exec_lo
                                        ; implicit-def: $vgpr14_vgpr15
                                        ; implicit-def: $vgpr16_vgpr17
                                        ; implicit-def: $vgpr4_vgpr5
	s_wait_dscnt 0x0
	v_readfirstlane_b32 s16, v6
	s_wait_loadcnt 0x0
	v_and_b32_e32 v8, 0xff, v7
	s_wait_xcnt 0x0
	s_delay_alu instid0(VALU_DEP_1)
	v_cmpx_ne_u32_e64 v6, v8
	s_xor_b32 s0, exec_lo, s0
	s_cbranch_execz .LBB2_6
; %bb.1:
	v_bfe_u32 v9, v7, 8, 8
	v_not_b32_e32 v8, v8
	s_mov_b32 s1, exec_lo
                                        ; implicit-def: $vgpr14_vgpr15
                                        ; implicit-def: $vgpr16_vgpr17
                                        ; implicit-def: $vgpr4_vgpr5
	s_delay_alu instid0(VALU_DEP_2)
	v_cmpx_ne_u32_e64 v6, v9
	s_xor_b32 s1, exec_lo, s1
	s_cbranch_execz .LBB2_3
; %bb.2:
	s_clause 0x1
	flat_load_b128 v[10:13], v[2:3] offset:72
	flat_load_b64 v[4:5], v[2:3] offset:96
	v_add_nc_u32_e32 v6, v6, v8
                                        ; implicit-def: $vgpr9
                                        ; implicit-def: $vgpr8
	s_wait_loadcnt_dscnt 0x101
	s_delay_alu instid0(VALU_DEP_1) | instskip(SKIP_3) | instid1(VALU_DEP_3)
	v_mad_nc_u64_u32 v[16:17], v12, v6, v[10:11]
	s_wait_loadcnt_dscnt 0x0
	v_lshrrev_b64 v[14:15], 12, v[4:5]
	v_mov_b64_e32 v[4:5], v[12:13]
	v_mad_u32 v7, v13, v6, v17
	v_ashrrev_i32_e32 v6, 31, v6
	s_delay_alu instid0(VALU_DEP_1)
	v_mad_u32 v17, v12, v6, v7
.LBB2_3:
	s_wait_xcnt 0x0
	s_and_not1_saveexec_b32 s1, s1
	s_cbranch_execz .LBB2_5
; %bb.4:
	s_clause 0x1
	flat_load_b128 v[10:13], v[2:3] offset:72
	flat_load_b128 v[4:7], v[2:3] offset:88
	s_wait_loadcnt_dscnt 0x0
	v_dual_add_nc_u32 v6, v9, v8 :: v_dual_lshrrev_b32 v14, 1, v7
	s_delay_alu instid0(VALU_DEP_1) | instskip(NEXT) | instid1(VALU_DEP_1)
	v_mad_nc_u64_u32 v[16:17], v12, v6, v[10:11]
	v_mad_u32 v8, v13, v6, v17
	v_ashrrev_i32_e32 v6, 31, v6
	s_delay_alu instid0(VALU_DEP_1)
	v_mad_u32 v17, v12, v6, v8
.LBB2_5:
	s_wait_xcnt 0x0
	s_or_b32 exec_lo, exec_lo, s1
.LBB2_6:
	s_and_not1_saveexec_b32 s0, s0
	s_cbranch_execz .LBB2_8
; %bb.7:
	s_clause 0x1
	flat_load_b64 v[6:7], v[2:3] offset:96
	flat_load_b64 v[4:5], v[2:3] offset:72
	v_mov_b64_e32 v[16:17], 0
	s_wait_loadcnt_dscnt 0x101
	v_lshlrev_b64_e32 v[14:15], 9, v[6:7]
.LBB2_8:
	s_wait_xcnt 0x0
	s_or_b32 exec_lo, exec_lo, s0
	s_trap 2
	ds_load_b64 v[6:7], v0
	s_mov_b32 s1, 0
	s_mov_b32 s2, exec_lo
	s_wait_dscnt 0x0
	v_cmp_ne_u32_e32 vcc_lo, -1, v6
	v_cndmask_b32_e64 v15, 0, 1, vcc_lo
	v_cmp_ne_u32_e32 vcc_lo, -1, v7
	s_delay_alu instid0(VALU_DEP_2) | instskip(NEXT) | instid1(VALU_DEP_1)
	v_add_co_ci_u32_e64 v8, null, 0, v15, vcc_lo
	v_lshlrev_b32_e32 v6, 1, v8
	s_delay_alu instid0(VALU_DEP_1)
	v_cmpx_le_u32_e64 v6, v1
	s_xor_b32 s44, exec_lo, s2
	s_cbranch_execnz .LBB2_9
; %bb.5905:
	s_add_pc_i64 .LBB2_5902-.Lpost_addpc0
.Lpost_addpc0:
.LBB2_9:
	s_clause 0x3
	flat_load_b128 v[10:13], v[2:3] offset:16
	flat_load_b64 v[32:33], v[2:3] offset:104
	flat_load_u16 v7, v[2:3] offset:8
	flat_load_b32 v6, v[2:3] offset:4
	s_trap 2
	s_load_b32 s0, s[8:9], 0x0
	s_bfe_u32 s2, ttmp6, 0x4000c
	s_and_b32 s3, ttmp6, 15
	s_add_co_i32 s2, s2, 1
	s_getreg_b32 s4, hwreg(HW_REG_IB_STS2, 6, 4)
	s_mul_i32 s2, ttmp9, s2
	v_dual_mov_b32 v9, 0 :: v_dual_mov_b32 v30, 4
	s_add_co_i32 s3, s3, s2
	s_cmp_eq_u32 s4, 0
	s_cselect_b32 s2, ttmp9, s3
	s_wait_kmcnt 0x0
	s_cmp_lt_u32 s2, s0
	s_cselect_b32 s0, 12, 18
	s_delay_alu instid0(SALU_CYCLE_1)
	s_add_nc_u64 s[0:1], s[8:9], s[0:1]
	global_load_u16 v18, v9, s[0:1]
	s_wait_xcnt 0x0
	ds_load_b32 v9, v0
	s_mov_b32 s1, exec_lo
	s_wait_dscnt 0x0
	v_readfirstlane_b32 s7, v9
	v_cmpx_ge_i32_e64 v0, v15
	s_cbranch_execz .LBB2_19
; %bb.10:
	v_cmp_ge_u32_e64 s0, v0, v8
                                        ; implicit-def: $vgpr30
	s_and_saveexec_b32 s2, s0
	s_delay_alu instid0(SALU_CYCLE_1)
	s_xor_b32 s0, exec_lo, s2
	s_cbranch_execz .LBB2_16
; %bb.11:
	v_cndmask_b32_e64 v9, 0, 1, vcc_lo
	s_mov_b32 s2, exec_lo
	s_delay_alu instid0(VALU_DEP_1) | instskip(NEXT) | instid1(VALU_DEP_1)
	v_sub_nc_u32_e32 v9, v1, v9
	v_cmpx_ge_u32_e64 v0, v9
	s_xor_b32 s2, exec_lo, s2
; %bb.12:
                                        ; implicit-def: $vgpr8
; %bb.13:
	s_delay_alu instid0(SALU_CYCLE_1)
	s_or_saveexec_b32 s2, s2
	v_mov_b32_e32 v30, 16
	s_xor_b32 exec_lo, exec_lo, s2
; %bb.14:
	v_sub_nc_u32_e32 v8, v1, v8
	s_delay_alu instid0(VALU_DEP_1)
	v_cmp_lt_i32_e32 vcc_lo, v0, v8
	v_cndmask_b32_e64 v30, 32, 0, vcc_lo
; %bb.15:
	s_or_b32 exec_lo, exec_lo, s2
.LBB2_16:
	s_and_not1_saveexec_b32 s0, s0
; %bb.17:
	v_mov_b32_e32 v30, 8
; %bb.18:
	s_or_b32 exec_lo, exec_lo, s0
.LBB2_19:
	s_delay_alu instid0(SALU_CYCLE_1) | instskip(NEXT) | instid1(VALU_DEP_1)
	s_or_b32 exec_lo, exec_lo, s1
	v_dual_mov_b32 v19, -1 :: v_dual_bitop2_b32 v8, 36, v30 bitop3:0x40
	s_delay_alu instid0(VALU_DEP_1)
	v_cmp_ne_u32_e32 vcc_lo, 0, v8
	s_and_saveexec_b32 s0, vcc_lo
	s_cbranch_execz .LBB2_21
; %bb.20:
	s_trap 2
	ds_load_b32 v19, v0
.LBB2_21:
	s_or_b32 exec_lo, exec_lo, s0
	v_and_b32_e32 v8, 24, v30
	s_mov_b32 s1, exec_lo
	s_delay_alu instid0(VALU_DEP_1)
	v_cmpx_ne_u32_e32 0, v8
	s_cbranch_execz .LBB2_23
; %bb.22:
	s_trap 2
	s_wait_dscnt 0x0
	ds_load_b32 v19, v0
.LBB2_23:
	s_or_b32 exec_lo, exec_lo, s1
	s_wait_loadcnt 0x1
	v_lshrrev_b64 v[6:7], 31, v[6:7]
	v_mov_b64_e32 v[36:37], 0
                                        ; implicit-def: $vgpr24
                                        ; implicit-def: $vgpr98_vgpr99
                                        ; implicit-def: $vgpr26_vgpr27
                                        ; implicit-def: $vgpr34_vgpr35
                                        ; implicit-def: $vgpr22_vgpr23
	s_delay_alu instid0(VALU_DEP_2) | instskip(SKIP_1) | instid1(VALU_DEP_2)
	v_and_b32_e32 v8, 3, v6
	v_mov_b64_e32 v[6:7], 0
	v_and_b32_e32 v25, 0xffff, v8
                                        ; implicit-def: $vgpr8_vgpr9
                                        ; kill: killed $vgpr8_vgpr9
	s_and_saveexec_b32 s0, vcc_lo
	s_cbranch_execz .LBB2_33
; %bb.24:
	s_trap 2
	ds_load_b64 v[6:7], v0
	s_wait_dscnt 0x0
	v_readfirstlane_b32 s2, v6
	v_readfirstlane_b32 s3, v7
	flat_load_b64 v[6:7], v19, s[2:3] scale_offset
	s_wait_loadcnt_dscnt 0x0
	v_mad_nc_u64_u32 v[8:9], 0xa8, v25, v[6:7]
	flat_load_b32 v6, v[8:9] offset:640
	s_wait_loadcnt_dscnt 0x0
	v_cmp_eq_u32_e32 vcc_lo, 1, v6
                                        ; implicit-def: $vgpr6_vgpr7
                                        ; kill: killed $vgpr6_vgpr7
	s_wait_xcnt 0x0
	s_and_saveexec_b32 s1, vcc_lo
	s_cbranch_execz .LBB2_26
; %bb.25:
	flat_load_b64 v[20:21], v[8:9] offset:648
	v_or_b32_e32 v30, 0x2000, v30
	s_wait_loadcnt_dscnt 0x0
	flat_load_b64 v[6:7], v[20:21]
	s_trap 2
	scratch_store_b64 off, v[20:21], s33 offset:196 ; 8-byte Folded Spill
	s_wait_loadcnt_dscnt 0x0
	ds_store_b64 v0, v[6:7]
	flat_load_b64 v[6:7], v[20:21] offset:8
	s_wait_loadcnt_dscnt 0x0
	ds_store_b64 v0, v[6:7]
	flat_load_b64 v[6:7], v[20:21] offset:16
	s_wait_loadcnt_dscnt 0x0
	ds_store_b64 v0, v[6:7]
.LBB2_26:
	s_wait_xcnt 0x0
	s_or_b32 exec_lo, exec_lo, s1
	flat_load_b64 v[6:7], v[8:9] offset:608
	s_mov_b32 s1, exec_lo
                                        ; implicit-def: $vgpr22_vgpr23
	s_wait_loadcnt_dscnt 0x0
	v_add_nc_u64_e32 v[98:99], 3, v[6:7]
	v_and_b32_e32 v6, 32, v30
	s_delay_alu instid0(VALU_DEP_2) | instskip(SKIP_1) | instid1(VALU_DEP_2)
	v_and_b32_e32 v98, -4, v98
	s_wait_xcnt 0x0
	v_cmpx_ne_u32_e32 0, v6
	s_cbranch_execz .LBB2_28
; %bb.27:
	flat_load_b64 v[22:23], v[8:9] offset:560
	global_wb scope:SCOPE_SYS
	s_wait_storecnt 0x0
	s_wait_xcnt 0x0
	s_wait_loadcnt_dscnt 0x0
	flat_store_b64 v[22:23], v[98:99] scope:SCOPE_SYS
.LBB2_28:
	s_wait_xcnt 0x0
	s_or_b32 exec_lo, exec_lo, s1
	v_add_nc_u64_e32 v[36:37], 0x1f8, v[8:9]
	v_mov_b64_e32 v[6:7], 0
	v_and_b32_e32 v20, 4, v30
	s_mov_b32 s1, exec_lo
                                        ; implicit-def: $vgpr24
                                        ; implicit-def: $vgpr26_vgpr27
                                        ; implicit-def: $vgpr34_vgpr35
	s_delay_alu instid0(VALU_DEP_1)
	v_cmpx_ne_u32_e32 0, v20
	s_cbranch_execz .LBB2_32
; %bb.29:
	v_and_b32_e32 v6, 0x800, v30
	s_mov_b32 s2, exec_lo
	s_delay_alu instid0(VALU_DEP_1)
	v_cmpx_eq_u32_e32 0, v6
	s_cbranch_execz .LBB2_31
; %bb.30:
	s_trap 2
	ds_store_b64 v0, v[36:37]
.LBB2_31:
	s_or_b32 exec_lo, exec_lo, s2
	flat_load_b64 v[22:23], v[8:9] offset:552
	s_wait_loadcnt_dscnt 0x0
	flat_load_b64 v[34:35], v[22:23] scope:SCOPE_SYS
	s_clause 0x2
	flat_load_b64 v[6:7], v[8:9] offset:600
	flat_load_b32 v24, v[8:9] offset:576
	flat_load_b64 v[26:27], v[8:9] offset:520
	s_wait_xcnt 0x0
	v_or_b32_e32 v8, 0x100, v30
	s_wait_loadcnt_dscnt 0x202
	v_cmp_eq_u64_e32 vcc_lo, 0, v[6:7]
	s_delay_alu instid0(VALU_DEP_2)
	v_cndmask_b32_e32 v30, v8, v30, vcc_lo
.LBB2_32:
	s_or_b32 exec_lo, exec_lo, s1
.LBB2_33:
	s_delay_alu instid0(SALU_CYCLE_1) | instskip(NEXT) | instid1(VALU_DEP_1)
	s_or_b32 exec_lo, exec_lo, s0
	v_and_b32_e32 v8, 24, v30
	s_mov_b32 s0, exec_lo
                                        ; implicit-def: $vgpr28_vgpr29
	s_delay_alu instid0(VALU_DEP_1)
	v_cmpx_ne_u32_e32 0, v8
	s_cbranch_execz .LBB2_41
; %bb.34:
	s_trap 2
	ds_load_b64 v[6:7], v0
	s_mov_b32 s1, exec_lo
                                        ; implicit-def: $vgpr28_vgpr29
	s_wait_dscnt 0x0
	v_readfirstlane_b32 s2, v6
	v_readfirstlane_b32 s3, v7
	flat_load_b64 v[6:7], v19, s[2:3] scale_offset
	s_wait_xcnt 0x0
	v_or_b32_e32 v19, 0x100, v30
	s_wait_loadcnt_dscnt 0x0
	v_mad_nc_u64_u32 v[36:37], 0xa8, v25, v[6:7]
	flat_load_b128 v[6:9], v[36:37] offset:96
	s_wait_loadcnt_dscnt 0x0
	v_cmp_eq_u64_e32 vcc_lo, 0, v[6:7]
	v_cndmask_b32_e32 v30, v19, v30, vcc_lo
	s_delay_alu instid0(VALU_DEP_1) | instskip(SKIP_1) | instid1(VALU_DEP_1)
	v_and_b32_e32 v19, 16, v30
	s_wait_xcnt 0x0
	v_cmpx_ne_u32_e32 0, v19
	s_cbranch_execz .LBB2_36
; %bb.35:
	s_clause 0x2
	flat_load_b64 v[22:23], v[36:37] offset:48
	flat_load_b64 v[28:29], v[36:37] offset:120
	;; [unrolled: 1-line block ×3, first 2 shown]
.LBB2_36:
	s_wait_xcnt 0x0
	s_or_b32 exec_lo, exec_lo, s1
	v_add_nc_u64_e32 v[98:99], 3, v[8:9]
	v_and_b32_e32 v8, 8, v30
	s_mov_b32 s1, exec_lo
	s_delay_alu instid0(VALU_DEP_2) | instskip(NEXT) | instid1(VALU_DEP_2)
	v_and_b32_e32 v98, -4, v98
	v_cmpx_ne_u32_e32 0, v8
	s_cbranch_execz .LBB2_40
; %bb.37:
	v_and_b32_e32 v8, 0x800, v30
	s_mov_b32 s2, exec_lo
	s_delay_alu instid0(VALU_DEP_1)
	v_cmpx_eq_u32_e32 0, v8
	s_cbranch_execz .LBB2_39
; %bb.38:
	s_trap 2
	ds_store_b64 v0, v[36:37]
.LBB2_39:
	s_or_b32 exec_lo, exec_lo, s2
	s_wait_loadcnt_dscnt 0x202
	flat_load_b64 v[22:23], v[36:37] offset:56
	s_wait_loadcnt_dscnt 0x0
	flat_load_b64 v[34:35], v[22:23] scope:SCOPE_SYS
	s_clause 0x1
	flat_load_b32 v24, v[36:37] offset:72
	flat_load_b64 v[26:27], v[36:37] offset:16
.LBB2_40:
	s_wait_xcnt 0x0
	s_or_b32 exec_lo, exec_lo, s1
.LBB2_41:
	s_delay_alu instid0(SALU_CYCLE_1)
	s_or_b32 exec_lo, exec_lo, s0
	v_cmp_eq_u32_e64 s0, 0, v0
	s_and_saveexec_b32 s1, s0
	s_cbranch_execz .LBB2_43
; %bb.42:
	flat_load_b64 v[8:9], v[2:3] offset:32
	ds_store_2addr_b64 v0, v[12:13], v[10:11] offset1:1
	s_trap 2
	s_wait_loadcnt_dscnt 0x1
	ds_store_b64 v0, v[8:9]
	ds_store_b64 v0, v[32:33]
.LBB2_43:
	s_wait_xcnt 0x0
	s_or_b32 exec_lo, exec_lo, s1
	v_mov_b64_e32 v[32:33], 0
	s_wait_loadcnt 0x0
	v_and_b32_e32 v106, 0xffff, v18
	s_mov_b32 s45, exec_lo
	v_cmpx_lt_i64_e32 0, v[4:5]
	s_cbranch_execnz .LBB2_44
; %bb.5907:
	s_add_pc_i64 .LBB2_5868-.Lpost_addpc1
.Lpost_addpc1:
.LBB2_44:
	flat_load_b32 v8, v[2:3] offset:4
	s_wait_xcnt 0x0
	v_and_b32_e32 v2, 0x3ffffe00, v14
	v_dual_mov_b32 v3, 0 :: v_dual_bitop2_b32 v9, 31, v31 bitop3:0x40
	s_ashr_i32 s17, s16, 31
	s_add_co_i32 s46, s16, s16
	s_not_b32 s6, s16
	v_dual_ashrrev_i32 v10, 31, v0 :: v_dual_lshlrev_b32 v50, 4, v0
	s_cmp_gt_i32 s16, 0
	v_mul_u64_e32 v[54:55], s[16:17], v[2:3]
	s_cselect_b32 s6, s6, -1
	scratch_store_b64 off, v[36:37], s33 offset:188 ; 8-byte Folded Spill
	s_add_co_i32 s26, s6, s46
	v_cmp_eq_u32_e64 s6, 0, v9
	v_dual_lshrrev_b32 v9, 27, v10 :: v_dual_mov_b32 v65, v3
	s_wait_dscnt 0x2
	s_wait_xcnt 0x0
	v_dual_ashrrev_i32 v25, 31, v24 :: v_dual_lshrrev_b32 v36, 5, v1
	v_ashrrev_i32_e32 v51, 31, v50
	v_mov_b64_e32 v[96:97], v[2:3]
	v_add_nc_u32_e32 v2, v0, v9
	v_and_b32_e32 v38, 0x1fe0, v1
	v_dual_mov_b32 v111, 0x88 :: v_dual_lshlrev_b32 v66, 9, v36
	s_ashr_i32 s10, s7, 31
	s_delay_alu instid0(VALU_DEP_3)
	v_and_b32_e32 v9, 0xffffffe0, v2
	v_ashrrev_i32_e32 v120, 5, v2
	s_lshr_b32 s10, s10, 25
	v_subrev_nc_u32_e32 v70, 32, v38
	v_add_nc_u32_e32 v80, 0xfffffe00, v66
	s_add_co_i32 s7, s7, s10
	v_sub_nc_u32_e32 v121, v0, v9
	s_ashr_i32 s47, s7, 7
	s_ashr_i32 s27, s26, 31
	s_cmp_gt_i32 s16, 2
	v_dual_ashrrev_i32 v71, 31, v70 :: v_dual_ashrrev_i32 v81, 31, v80
	s_cselect_b32 s56, -1, 0
	s_add_co_i32 s13, s16, 1
	v_cmp_ge_i32_e32 vcc_lo, v0, v1
	v_mov_b64_e32 v[48:49], 0
	v_cmp_eq_u64_e64 s4, 0, v[28:29]
	v_cmp_ne_u64_e64 s5, 0, v[28:29]
	v_mov_b64_e32 v[52:53], 0
	v_mov_b64_e32 v[32:33], 0
	v_add_nc_u64_e32 v[82:83], 32, v[70:71]
	v_add_nc_u64_e32 v[84:85], 0x200, v[80:81]
	v_cmp_eq_u32_e64 s1, 32, v1
	v_cmp_ne_u32_e64 s2, 32, v1
	v_cmp_ne_u32_e64 s3, v1, v106
	v_dual_mov_b32 v107, 1 :: v_dual_mov_b32 v108, 0x90
	v_dual_mov_b32 v109, 0x7f800000 :: v_dual_lshlrev_b32 v64, 10, v36
	v_dual_mov_b32 v110, 0x7c :: v_dual_mov_b32 v37, v3
	v_dual_mov_b32 v67, v3 :: v_dual_lshlrev_b32 v68, 8, v36
	v_dual_mov_b32 v69, v3 :: v_dual_mov_b32 v39, v3
	s_mov_b32 s19, 0
	s_mov_b64 s[20:21], 0xffffffff
	s_mov_b64 s[22:23], 0xffffffffffffff
	s_add_nc_u64 s[24:25], s[16:17], -1
	s_mov_b32 s61, 0
	s_trap 2
	s_wait_loadcnt_dscnt 0x0
	v_and_b32_e32 v2, 1, v8
	v_lshlrev_b32_e32 v8, 10, v120
	v_cmp_gt_i32_e64 s10, 1, v121
	v_cmp_lt_i32_e64 s11, v121, v15
	v_cmp_le_i32_e64 s12, v121, v15
	v_cmp_eq_u32_e64 s7, 1, v2
	v_lshl_add_u32 v86, v121, 4, v8
	v_sub_nc_u32_e32 v122, 0, v120
	s_xor_b32 s57, s7, -1
	s_cmp_ge_i32 s13, s16
	s_delay_alu instid0(VALU_DEP_2)
	v_ashrrev_i32_e32 v87, 31, v86
	s_cselect_b32 s14, s16, 0
	s_add_co_i32 s58, s16, -2
	s_sub_co_i32 s40, s13, s14
	s_xor_b32 s59, vcc_lo, -1
	s_ashr_i32 s28, s17, 31
	s_sub_co_i32 s60, 0, s16
	s_ashr_i32 s41, s40, 31
	s_branch .LBB2_47
.LBB2_45:                               ;   in Loop: Header=BB2_47 Depth=1
	s_or_b32 exec_lo, exec_lo, s15
.LBB2_46:                               ;   in Loop: Header=BB2_47 Depth=1
	s_delay_alu instid0(SALU_CYCLE_1) | instskip(SKIP_1) | instid1(VALU_DEP_1)
	s_or_b32 exec_lo, exec_lo, s14
	v_add_nc_u64_e32 v[52:53], v[52:53], v[54:55]
	v_cmp_ge_i64_e32 vcc_lo, v[52:53], v[4:5]
	s_or_b32 s61, vcc_lo, s61
	s_delay_alu instid0(SALU_CYCLE_1)
	s_and_not1_b32 exec_lo, exec_lo, s61
	s_cbranch_execnz .LBB2_47
; %bb.5909:
	s_add_pc_i64 .LBB2_5867-.Lpost_addpc2
.Lpost_addpc2:
.LBB2_47:                               ; =>This Loop Header: Depth=1
                                        ;     Child Loop BB2_57 Depth 2
                                        ;       Child Loop BB2_65 Depth 3
                                        ;       Child Loop BB2_89 Depth 3
	;; [unrolled: 1-line block ×9, first 2 shown]
                                        ;     Child Loop BB2_199 Depth 2
                                        ;       Child Loop BB2_205 Depth 3
                                        ;       Child Loop BB2_229 Depth 3
	;; [unrolled: 1-line block ×3, first 2 shown]
                                        ;     Child Loop BB2_271 Depth 2
                                        ;       Child Loop BB2_274 Depth 3
                                        ;         Child Loop BB2_282 Depth 4
                                        ;         Child Loop BB2_310 Depth 4
	;; [unrolled: 1-line block ×9, first 2 shown]
                                        ;       Child Loop BB2_1968 Depth 3
                                        ;         Child Loop BB2_1974 Depth 4
                                        ;         Child Loop BB2_2002 Depth 4
	;; [unrolled: 1-line block ×3, first 2 shown]
                                        ;     Child Loop BB2_2043 Depth 2
                                        ;       Child Loop BB2_2051 Depth 3
                                        ;       Child Loop BB2_2079 Depth 3
	;; [unrolled: 1-line block ×4, first 2 shown]
                                        ;         Child Loop BB2_2674 Depth 4
                                        ;       Child Loop BB2_2704 Depth 3
                                        ;         Child Loop BB2_3257 Depth 4
                                        ;       Child Loop BB2_3292 Depth 3
                                        ;       Child Loop BB2_3647 Depth 3
                                        ;         Child Loop BB2_3692 Depth 4
                                        ;       Child Loop BB2_3706 Depth 3
                                        ;       Child Loop BB2_4287 Depth 3
	;; [unrolled: 1-line block ×6, first 2 shown]
                                        ;     Child Loop BB2_5322 Depth 2
                                        ;       Child Loop BB2_5328 Depth 3
                                        ;       Child Loop BB2_5356 Depth 3
	;; [unrolled: 1-line block ×3, first 2 shown]
                                        ;     Child Loop BB2_5397 Depth 2
                                        ;       Child Loop BB2_5400 Depth 3
                                        ;         Child Loop BB2_5408 Depth 4
                                        ;         Child Loop BB2_5436 Depth 4
	;; [unrolled: 1-line block ×4, first 2 shown]
                                        ;           Child Loop BB2_5479 Depth 5
                                        ;         Child Loop BB2_5485 Depth 4
                                        ;           Child Loop BB2_5486 Depth 5
                                        ;         Child Loop BB2_5495 Depth 4
                                        ;         Child Loop BB2_5500 Depth 4
                                        ;           Child Loop BB2_5501 Depth 5
                                        ;         Child Loop BB2_5513 Depth 4
                                        ;         Child Loop BB2_5518 Depth 4
	;; [unrolled: 1-line block ×6, first 2 shown]
                                        ;       Child Loop BB2_5583 Depth 3
                                        ;         Child Loop BB2_5589 Depth 4
                                        ;         Child Loop BB2_5617 Depth 4
	;; [unrolled: 1-line block ×3, first 2 shown]
                                        ;     Child Loop BB2_5661 Depth 2
                                        ;       Child Loop BB2_5669 Depth 3
                                        ;       Child Loop BB2_5693 Depth 3
	;; [unrolled: 1-line block ×9, first 2 shown]
                                        ;     Child Loop BB2_5801 Depth 2
                                        ;       Child Loop BB2_5807 Depth 3
                                        ;       Child Loop BB2_5831 Depth 3
	;; [unrolled: 1-line block ×3, first 2 shown]
	v_sub_nc_u64_e32 v[100:101], v[4:5], v[52:53]
	s_mov_b32 s42, exec_lo
	s_delay_alu instid0(VALU_DEP_1)
	v_cmpx_lt_i64_e64 v[100:101], v[54:55]
	s_cbranch_execz .LBB2_53
; %bb.48:                               ;   in Loop: Header=BB2_47 Depth=1
	v_add_nc_u64_e32 v[8:9], s[24:25], v[100:101]
	s_delay_alu instid0(VALU_DEP_1) | instskip(NEXT) | instid1(VALU_DEP_1)
	v_dual_mov_b32 v10, v3 :: v_dual_bitop2_b32 v11, s17, v9 bitop3:0x54
	v_cmp_ne_u64_e32 vcc_lo, 0, v[10:11]
                                        ; implicit-def: $vgpr10_vgpr11
	s_and_saveexec_b32 s13, vcc_lo
	s_delay_alu instid0(SALU_CYCLE_1)
	s_xor_b32 s43, exec_lo, s13
	s_cbranch_execz .LBB2_50
; %bb.49:                               ;   in Loop: Header=BB2_47 Depth=1
	s_mov_b32 s29, s28
	v_dual_mov_b32 v15, v3 :: v_dual_ashrrev_i32 v10, 31, v9
	s_add_nc_u64 s[14:15], s[16:17], s[28:29]
	v_mov_b32_e32 v97, v3
	s_xor_b64 s[14:15], s[14:15], s[28:29]
	s_delay_alu instid0(VALU_DEP_2) | instskip(SKIP_3) | instid1(VALU_DEP_1)
	v_mov_b32_e32 v11, v10
	s_cvt_f32_u32 s13, s14
	s_cvt_f32_u32 s18, s15
	s_sub_nc_u64 s[72:73], 0, s[14:15]
	v_add_nc_u64_e32 v[8:9], v[8:9], v[10:11]
	s_delay_alu instid0(SALU_CYCLE_1) | instskip(NEXT) | instid1(SALU_CYCLE_3)
	s_fmamk_f32 s13, s18, 0x4f800000, s13
	v_s_rcp_f32 s13, s13
	s_delay_alu instid0(VALU_DEP_1) | instskip(NEXT) | instid1(VALU_DEP_2)
	v_xor_b32_e32 v2, v8, v10
	v_xor_b32_e32 v14, v9, v10
	;; [unrolled: 1-line block ×3, first 2 shown]
	s_delay_alu instid0(TRANS32_DEP_1) | instskip(NEXT) | instid1(SALU_CYCLE_3)
	s_mul_f32 s13, s13, 0x5f7ffffc
	s_mul_f32 s18, s13, 0x2f800000
	s_delay_alu instid0(SALU_CYCLE_3) | instskip(NEXT) | instid1(SALU_CYCLE_3)
	s_trunc_f32 s18, s18
	s_fmamk_f32 s13, s18, 0xcf800000, s13
	s_cvt_u32_f32 s63, s18
	s_delay_alu instid0(SALU_CYCLE_2) | instskip(NEXT) | instid1(SALU_CYCLE_3)
	s_cvt_u32_f32 s62, s13
	s_mul_u64 s[74:75], s[72:73], s[62:63]
	s_delay_alu instid0(SALU_CYCLE_1)
	s_mul_hi_u32 s77, s62, s75
	s_mul_i32 s76, s62, s75
	s_mul_hi_u32 s18, s62, s74
	s_mul_i32 s29, s63, s74
	s_add_nc_u64 s[76:77], s[18:19], s[76:77]
	s_mul_hi_u32 s13, s63, s74
	s_mul_hi_u32 s78, s63, s75
	s_add_co_u32 s18, s76, s29
	s_add_co_ci_u32 s18, s77, s13
	s_mul_i32 s74, s63, s75
	s_add_co_ci_u32 s75, s78, 0
	s_delay_alu instid0(SALU_CYCLE_1) | instskip(NEXT) | instid1(SALU_CYCLE_1)
	s_add_nc_u64 s[74:75], s[18:19], s[74:75]
	s_add_co_u32 s62, s62, s74
	s_cselect_b32 s13, -1, 0
	s_delay_alu instid0(SALU_CYCLE_1) | instskip(SKIP_1) | instid1(SALU_CYCLE_1)
	s_cmp_lg_u32 s13, 0
	s_add_co_ci_u32 s63, s63, s75
	s_mul_u64 s[72:73], s[72:73], s[62:63]
	s_delay_alu instid0(SALU_CYCLE_1)
	s_mul_hi_u32 s75, s62, s73
	s_mul_i32 s74, s62, s73
	s_mul_hi_u32 s18, s62, s72
	s_mul_i32 s29, s63, s72
	s_add_nc_u64 s[74:75], s[18:19], s[74:75]
	s_mul_hi_u32 s13, s63, s72
	s_mul_hi_u32 s76, s63, s73
	s_add_co_u32 s18, s74, s29
	s_add_co_ci_u32 s18, s75, s13
	s_mul_i32 s72, s63, s73
	s_add_co_ci_u32 s73, s76, 0
	s_delay_alu instid0(SALU_CYCLE_1) | instskip(NEXT) | instid1(SALU_CYCLE_1)
	s_add_nc_u64 s[72:73], s[18:19], s[72:73]
	s_add_co_u32 s62, s62, s72
	s_cselect_b32 s13, -1, 0
	v_mul_hi_u32 v96, v2, s62
	s_cmp_lg_u32 s13, 0
	s_add_co_ci_u32 s18, s63, s73
	s_and_b64 s[72:73], s[62:63], s[20:21]
	v_mul_u64_e32 v[12:13], s[18:19], v[2:3]
	v_mul_u64_e32 v[8:9], s[72:73], v[14:15]
	;; [unrolled: 1-line block ×3, first 2 shown]
	s_delay_alu instid0(VALU_DEP_3) | instskip(NEXT) | instid1(VALU_DEP_1)
	v_add_nc_u64_e32 v[12:13], v[96:97], v[12:13]
	v_add_co_u32 v8, vcc_lo, v12, v8
	s_delay_alu instid0(VALU_DEP_2) | instskip(NEXT) | instid1(VALU_DEP_4)
	v_add_co_ci_u32_e32 v96, vcc_lo, v13, v9, vcc_lo
	v_add_co_ci_u32_e32 v19, vcc_lo, 0, v19, vcc_lo
	s_delay_alu instid0(VALU_DEP_1) | instskip(NEXT) | instid1(VALU_DEP_1)
	v_add_nc_u64_e32 v[8:9], v[96:97], v[18:19]
	v_mul_u64_e32 v[12:13], s[14:15], v[8:9]
	s_delay_alu instid0(VALU_DEP_1) | instskip(NEXT) | instid1(VALU_DEP_2)
	v_sub_nc_u32_e32 v11, v14, v13
	v_sub_co_u32 v2, vcc_lo, v2, v12
	s_delay_alu instid0(VALU_DEP_1) | instskip(NEXT) | instid1(VALU_DEP_3)
	v_sub_co_ci_u32_e64 v18, null, v14, v13, vcc_lo
	v_subrev_co_ci_u32_e64 v11, null, s15, v11, vcc_lo
	s_delay_alu instid0(VALU_DEP_3) | instskip(SKIP_1) | instid1(VALU_DEP_3)
	v_sub_co_u32 v12, s13, v2, s14
	v_add_nc_u64_e32 v[14:15], 1, v[8:9]
	v_subrev_co_ci_u32_e64 v11, null, 0, v11, s13
	s_delay_alu instid0(VALU_DEP_3) | instskip(SKIP_1) | instid1(VALU_DEP_3)
	v_cmp_le_u32_e32 vcc_lo, s14, v12
	v_cndmask_b32_e64 v12, 0, -1, vcc_lo
	v_cmp_le_u32_e32 vcc_lo, s15, v11
	v_cndmask_b32_e64 v13, 0, -1, vcc_lo
	;; [unrolled: 2-line block ×4, first 2 shown]
	v_cmp_eq_u32_e32 vcc_lo, s15, v11
	v_cndmask_b32_e32 v11, v13, v12, vcc_lo
	v_cmp_eq_u32_e32 vcc_lo, s15, v18
	v_add_nc_u64_e32 v[12:13], 2, v[8:9]
	v_cndmask_b32_e32 v2, v19, v2, vcc_lo
	s_delay_alu instid0(VALU_DEP_4) | instskip(NEXT) | instid1(VALU_DEP_2)
	v_cmp_ne_u32_e32 vcc_lo, 0, v11
	v_cmp_ne_u32_e64 s13, 0, v2
	s_delay_alu instid0(VALU_DEP_4) | instskip(NEXT) | instid1(VALU_DEP_1)
	v_dual_cndmask_b32 v11, v15, v13 :: v_dual_cndmask_b32 v2, v14, v12
	v_dual_cndmask_b32 v9, v9, v11, s13 :: v_dual_cndmask_b32 v2, v8, v2, s13
	s_delay_alu instid0(VALU_DEP_1) | instskip(NEXT) | instid1(VALU_DEP_2)
	v_dual_mov_b32 v11, v10 :: v_dual_bitop2_b32 v9, v9, v10 bitop3:0x14
	v_xor_b32_e32 v8, v2, v10
	s_delay_alu instid0(VALU_DEP_1)
	v_sub_nc_u64_e32 v[10:11], v[8:9], v[10:11]
                                        ; implicit-def: $vgpr8_vgpr9
.LBB2_50:                               ;   in Loop: Header=BB2_47 Depth=1
	s_and_not1_saveexec_b32 s13, s43
	s_cbranch_execz .LBB2_52
; %bb.51:                               ;   in Loop: Header=BB2_47 Depth=1
	v_cvt_f32_u32_e32 v2, s16
	s_delay_alu instid0(VALU_DEP_1) | instskip(SKIP_1) | instid1(TRANS32_DEP_1)
	v_rcp_iflag_f32_e32 v2, v2
	v_nop
	v_mul_f32_e32 v2, 0x4f7ffffe, v2
	s_delay_alu instid0(VALU_DEP_1) | instskip(NEXT) | instid1(VALU_DEP_1)
	v_cvt_u32_f32_e32 v2, v2
	v_mul_lo_u32 v9, s60, v2
	s_delay_alu instid0(VALU_DEP_1) | instskip(NEXT) | instid1(VALU_DEP_1)
	v_mul_hi_u32 v9, v2, v9
	v_add_nc_u32_e32 v2, v2, v9
	s_delay_alu instid0(VALU_DEP_1) | instskip(NEXT) | instid1(VALU_DEP_1)
	v_mul_hi_u32 v2, v8, v2
	v_mul_lo_u32 v9, v2, s16
	s_delay_alu instid0(VALU_DEP_1) | instskip(NEXT) | instid1(VALU_DEP_1)
	v_dual_sub_nc_u32 v8, v8, v9 :: v_dual_add_nc_u32 v9, 1, v2
	v_subrev_nc_u32_e32 v10, s16, v8
	v_cmp_le_u32_e32 vcc_lo, s16, v8
	s_delay_alu instid0(VALU_DEP_2) | instskip(NEXT) | instid1(VALU_DEP_1)
	v_dual_cndmask_b32 v8, v8, v10, vcc_lo :: v_dual_cndmask_b32 v2, v2, v9, vcc_lo
	v_cmp_le_u32_e32 vcc_lo, s16, v8
	s_delay_alu instid0(VALU_DEP_2) | instskip(NEXT) | instid1(VALU_DEP_1)
	v_add_nc_u32_e32 v9, 1, v2
	v_cndmask_b32_e32 v2, v2, v9, vcc_lo
	s_delay_alu instid0(VALU_DEP_1)
	v_mov_b64_e32 v[10:11], v[2:3]
.LBB2_52:                               ;   in Loop: Header=BB2_47 Depth=1
	s_or_b32 exec_lo, exec_lo, s13
	s_delay_alu instid0(VALU_DEP_1) | instskip(NEXT) | instid1(VALU_DEP_1)
	v_add_nc_u64_e32 v[96:97], 15, v[10:11]
	v_and_b32_e32 v96, -16, v96
.LBB2_53:                               ;   in Loop: Header=BB2_47 Depth=1
	s_or_b32 exec_lo, exec_lo, s42
	s_delay_alu instid0(VALU_DEP_1) | instskip(SKIP_2) | instid1(VALU_DEP_3)
	v_mul_u64_e32 v[12:13], s[26:27], v[96:97]
	v_add_nc_u64_e32 v[102:103], v[52:53], v[16:17]
	v_mov_b32_e32 v10, 0
	v_sub_nc_u64_e32 v[8:9], v[100:101], v[12:13]
	s_delay_alu instid0(VALU_DEP_1) | instskip(NEXT) | instid1(VALU_DEP_1)
	v_min_i64 v[8:9], v[96:97], v[8:9]
	v_max_i32_e32 v18, 0, v8
	v_cmp_lt_i32_e32 vcc_lo, 0, v8
	s_delay_alu instid0(VALU_DEP_2) | instskip(SKIP_1) | instid1(VALU_DEP_1)
	v_add_nc_u32_e32 v2, 31, v18
	s_and_b32 s13, s59, vcc_lo
	v_lshrrev_b32_e32 v2, 1, v2
	s_delay_alu instid0(VALU_DEP_1) | instskip(NEXT) | instid1(VALU_DEP_1)
	v_and_b32_e32 v9, 0x3ffffff0, v2
	v_dual_mov_b32 v2, 0 :: v_dual_max_i32 v8, s47, v9
	s_and_saveexec_b32 s14, s13
	s_cbranch_execz .LBB2_195
; %bb.54:                               ;   in Loop: Header=BB2_47 Depth=1
	v_mov_b32_e32 v10, 0
	s_mov_b32 s29, 1
	s_mov_b32 s18, -1
	s_mov_b32 s15, 0
	s_branch .LBB2_57
.LBB2_55:                               ;   in Loop: Header=BB2_57 Depth=2
	s_wait_xcnt 0x0
	s_or_b32 exec_lo, exec_lo, s42
	v_add_nc_u64_e32 v[98:99], 2, v[98:99]
	global_wb scope:SCOPE_SYS
	s_wait_storecnt 0x0
	s_wait_loadcnt_dscnt 0x0
	flat_store_b64 v[22:23], v[98:99] scope:SCOPE_SYS
.LBB2_56:                               ;   in Loop: Header=BB2_57 Depth=2
	s_wait_xcnt 0x0
	s_or_b32 exec_lo, exec_lo, s13
	v_dual_add_nc_u32 v10, v8, v10 :: v_dual_mov_b32 v2, s29
	s_xor_b32 s13, s18, -1
	s_mov_b32 s18, 0
	s_mov_b32 s29, 2
	s_delay_alu instid0(VALU_DEP_1) | instskip(SKIP_1) | instid1(SALU_CYCLE_1)
	v_cmp_ge_i32_e32 vcc_lo, v10, v18
	s_or_b32 s13, s13, vcc_lo
	s_and_b32 s13, exec_lo, s13
	s_delay_alu instid0(SALU_CYCLE_1) | instskip(NEXT) | instid1(SALU_CYCLE_1)
	s_or_b32 s15, s13, s15
	s_and_not1_b32 exec_lo, exec_lo, s15
	s_cbranch_execz .LBB2_194
.LBB2_57:                               ;   Parent Loop BB2_47 Depth=1
                                        ; =>  This Loop Header: Depth=2
                                        ;       Child Loop BB2_65 Depth 3
                                        ;       Child Loop BB2_89 Depth 3
	;; [unrolled: 1-line block ×9, first 2 shown]
	s_and_saveexec_b32 s13, s0
	s_cbranch_execz .LBB2_59
; %bb.58:                               ;   in Loop: Header=BB2_57 Depth=2
	s_trap 2
	ds_load_b64 v[14:15], v0
	v_ashrrev_i32_e32 v11, 31, v10
	s_wait_dscnt 0x0
	v_add_nc_u64_e32 v[14:15], v[14:15], v[102:103]
	s_delay_alu instid0(VALU_DEP_1) | instskip(NEXT) | instid1(VALU_DEP_1)
	v_add_nc_u64_e32 v[14:15], v[14:15], v[12:13]
	v_add_nc_u64_e32 v[14:15], v[14:15], v[10:11]
	ds_store_b64 v0, v[14:15]
	ds_store_b64 v0, v[48:49]
.LBB2_59:                               ;   in Loop: Header=BB2_57 Depth=2
	s_or_b32 exec_lo, exec_lo, s13
	v_sub_nc_u32_e32 v2, v18, v10
	v_and_b32_e32 v9, 8, v30
	s_mov_b32 s42, exec_lo
	s_delay_alu instid0(VALU_DEP_2) | instskip(NEXT) | instid1(VALU_DEP_2)
	v_min_i32_e32 v8, v8, v2
	v_cmpx_ne_u32_e32 0, v9
	s_cbranch_execz .LBB2_81
; %bb.60:                               ;   in Loop: Header=BB2_57 Depth=2
	s_wait_loadcnt_dscnt 0x1
	v_add_nc_u64_e32 v[112:113], 8, v[34:35]
	v_add_nc_u64_e32 v[14:15], 2, v[98:99]
	s_mov_b32 s43, exec_lo
	s_delay_alu instid0(VALU_DEP_1)
	v_cmpx_lt_u64_e64 v[112:113], v[14:15]
	s_cbranch_execz .LBB2_72
; %bb.61:                               ;   in Loop: Header=BB2_57 Depth=2
	v_and_b32_e32 v2, 64, v30
	s_mov_b32 s62, 0
	s_mov_b32 s74, 0
                                        ; implicit-def: $sgpr63
                                        ; implicit-def: $sgpr72
                                        ; implicit-def: $sgpr73
	s_delay_alu instid0(VALU_DEP_1)
	v_cmp_eq_u32_e32 vcc_lo, 0, v2
	s_branch .LBB2_65
.LBB2_62:                               ;   in Loop: Header=BB2_65 Depth=3
	s_wait_loadcnt_dscnt 0x0
	v_add_nc_u64_e32 v[112:113], 8, v[34:35]
	s_or_b32 s77, s77, exec_lo
	s_delay_alu instid0(VALU_DEP_1)
	v_cmp_ge_u64_e64 s13, v[112:113], v[14:15]
	s_or_not1_b32 s76, s13, exec_lo
.LBB2_63:                               ;   in Loop: Header=BB2_65 Depth=3
	s_or_b32 exec_lo, exec_lo, s79
	s_delay_alu instid0(SALU_CYCLE_1)
	s_and_not1_b32 s13, s73, exec_lo
	s_and_b32 s73, s77, exec_lo
	s_and_not1_b32 s72, s72, exec_lo
	s_and_b32 s76, s76, exec_lo
	s_or_b32 s73, s13, s73
	s_or_b32 s72, s72, s76
.LBB2_64:                               ;   in Loop: Header=BB2_65 Depth=3
	s_or_b32 exec_lo, exec_lo, s75
	s_delay_alu instid0(SALU_CYCLE_1) | instskip(NEXT) | instid1(SALU_CYCLE_1)
	s_and_b32 s13, exec_lo, s72
	s_or_b32 s62, s13, s62
	s_and_not1_b32 s13, s63, exec_lo
	s_and_b32 s63, s73, exec_lo
	s_delay_alu instid0(SALU_CYCLE_1)
	s_or_b32 s63, s13, s63
	s_and_not1_b32 exec_lo, exec_lo, s62
	s_cbranch_execz .LBB2_69
.LBB2_65:                               ;   Parent Loop BB2_47 Depth=1
                                        ;     Parent Loop BB2_57 Depth=2
                                        ; =>    This Inner Loop Header: Depth=3
	s_sleep 1
	s_wait_loadcnt_dscnt 0x0
	flat_load_b64 v[34:35], v[22:23] scope:SCOPE_SYS
	s_or_b32 s73, s73, exec_lo
	s_or_b32 s72, s72, exec_lo
                                        ; implicit-def: $vgpr2
	s_wait_xcnt 0x0
	s_and_saveexec_b32 s75, vcc_lo
	s_cbranch_execz .LBB2_64
; %bb.66:                               ;   in Loop: Header=BB2_65 Depth=3
	s_cmp_lt_i32 s74, 0x270f
	s_mov_b32 s76, -1
	s_cselect_b32 s78, -1, 0
	s_cmp_gt_i32 s74, 0x270e
	s_cbranch_scc0 .LBB2_68
; %bb.67:                               ;   in Loop: Header=BB2_65 Depth=3
	s_trap 2
	ds_load_b64 v[112:113], v0
	s_and_not1_b32 s74, s78, exec_lo
	s_mov_b32 s77, 0
	s_wait_storecnt 0x0
	s_wait_loadcnt_dscnt 0x0
	flat_load_b32 v2, v[112:113] scope:SCOPE_SYS
	s_wait_loadcnt_dscnt 0x0
	global_inv scope:SCOPE_SYS
	v_cmp_eq_u32_e64 s13, 0, v2
	s_and_b32 s13, s13, exec_lo
	s_delay_alu instid0(SALU_CYCLE_1)
	s_or_b32 s78, s74, s13
	s_mov_b32 s74, 0
	s_and_saveexec_b32 s79, s78
	s_cbranch_execz .LBB2_63
	s_branch .LBB2_62
.LBB2_68:                               ;   in Loop: Header=BB2_65 Depth=3
	s_add_co_i32 s74, s74, 1
	s_mov_b32 s77, -1
                                        ; implicit-def: $vgpr2
	s_and_saveexec_b32 s79, s78
	s_cbranch_execz .LBB2_63
	s_branch .LBB2_62
.LBB2_69:                               ;   in Loop: Header=BB2_57 Depth=2
	s_or_b32 exec_lo, exec_lo, s62
	s_xor_b32 s13, s63, -1
	s_delay_alu instid0(SALU_CYCLE_1) | instskip(NEXT) | instid1(SALU_CYCLE_1)
	s_and_saveexec_b32 s62, s13
	s_xor_b32 s13, exec_lo, s62
	s_cbranch_execz .LBB2_71
; %bb.70:                               ;   in Loop: Header=BB2_57 Depth=2
	v_or_b32_e32 v30, 64, v30
	s_wait_storecnt 0x0
	s_wait_loadcnt_dscnt 0x0
	ds_store_b32 v0, v2
	s_trap 2
.LBB2_71:                               ;   in Loop: Header=BB2_57 Depth=2
	s_or_b32 exec_lo, exec_lo, s13
.LBB2_72:                               ;   in Loop: Header=BB2_57 Depth=2
	s_delay_alu instid0(SALU_CYCLE_1) | instskip(SKIP_3) | instid1(VALU_DEP_1)
	s_or_b32 exec_lo, exec_lo, s43
	v_and_b32_e32 v2, 0x100, v30
	s_mov_b32 s13, -1
	;;#ASMSTART
	s_wakeup
	;;#ASMEND
	v_cmp_ne_u32_e32 vcc_lo, 0, v2
	v_and_b32_e32 v2, 7, v98
                                        ; implicit-def: $vgpr98_vgpr99
	s_and_saveexec_b32 s43, vcc_lo
	s_cbranch_execz .LBB2_76
; %bb.73:                               ;   in Loop: Header=BB2_57 Depth=2
	s_delay_alu instid0(VALU_DEP_1)
	v_mad_nc_u64_u32 v[112:113], v2, 24, v[6:7]
	v_ashrrev_i32_e32 v9, 31, v8
	s_mov_b32 s62, exec_lo
                                        ; implicit-def: $vgpr98_vgpr99
	s_clause 0x1
	flat_load_b32 v11, v[112:113]
	flat_store_b64 v[112:113], v[8:9] offset:8
	s_wait_loadcnt_dscnt 0x1
	v_cmp_ne_u32_e32 vcc_lo, 1, v11
	s_wait_xcnt 0x0
	v_cmpx_eq_u32_e32 1, v11
	s_cbranch_execz .LBB2_75
; %bb.74:                               ;   in Loop: Header=BB2_57 Depth=2
	flat_load_b32 v98, v[112:113] offset:4 scope:SCOPE_SYS
	s_wait_loadcnt_dscnt 0x0
	v_ashrrev_i32_e32 v99, 31, v98
.LBB2_75:                               ;   in Loop: Header=BB2_57 Depth=2
	s_wait_xcnt 0x0
	s_or_b32 exec_lo, exec_lo, s62
	s_delay_alu instid0(SALU_CYCLE_1)
	s_or_not1_b32 s13, vcc_lo, exec_lo
.LBB2_76:                               ;   in Loop: Header=BB2_57 Depth=2
	s_or_b32 exec_lo, exec_lo, s43
	s_and_saveexec_b32 s43, s13
; %bb.77:                               ;   in Loop: Header=BB2_57 Depth=2
	v_mul_u64_e32 v[98:99], v[2:3], v[24:25]
; %bb.78:                               ;   in Loop: Header=BB2_57 Depth=2
	s_or_b32 exec_lo, exec_lo, s43
	s_delay_alu instid0(VALU_DEP_1)
	v_add_nc_u64_e32 v[98:99], v[26:27], v[98:99]
	v_and_b32_e32 v2, 0x2000, v30
	s_mov_b32 s13, exec_lo
	ds_store_b64 v0, v[98:99] offset:784
	v_cmpx_ne_u32_e32 0, v2
	s_cbranch_execz .LBB2_80
; %bb.79:                               ;   in Loop: Header=BB2_57 Depth=2
	ds_load_b64 v[98:99], v0 offset:872
	s_wait_dscnt 0x0
	v_add_nc_u64_e32 v[98:99], 1, v[98:99]
	ds_store_b64 v0, v[98:99] offset:872
.LBB2_80:                               ;   in Loop: Header=BB2_57 Depth=2
	s_or_b32 exec_lo, exec_lo, s13
	v_mov_b64_e32 v[98:99], v[14:15]
.LBB2_81:                               ;   in Loop: Header=BB2_57 Depth=2
	s_or_b32 exec_lo, exec_lo, s42
	s_and_saveexec_b32 s13, s2
	s_cbranch_execz .LBB2_100
; %bb.82:                               ;   in Loop: Header=BB2_57 Depth=2
	s_and_saveexec_b32 s42, s3
	s_delay_alu instid0(SALU_CYCLE_1)
	s_xor_b32 s42, exec_lo, s42
	s_cbranch_execz .LBB2_97
; %bb.83:                               ;   in Loop: Header=BB2_57 Depth=2
	s_and_saveexec_b32 s43, s6
	s_cbranch_execz .LBB2_96
; %bb.84:                               ;   in Loop: Header=BB2_57 Depth=2
	s_mov_b32 s63, exec_lo
	s_mov_b32 s62, exec_lo
	v_mbcnt_lo_u32_b32 v2, s63, 0
	global_wb scope:SCOPE_DEV
	s_wait_storecnt 0x0
	s_wait_loadcnt_dscnt 0x0
	global_inv scope:SCOPE_DEV
	v_cmpx_eq_u32_e32 0, v2
	s_cbranch_execz .LBB2_86
; %bb.85:                               ;   in Loop: Header=BB2_57 Depth=2
	s_bcnt1_i32_b32 s63, s63
	s_delay_alu instid0(SALU_CYCLE_1)
	v_mov_b32_e32 v2, s63
	s_wait_loadcnt 0x0
	ds_add_u64 v0, v[2:3]
	s_trap 2
.LBB2_86:                               ;   in Loop: Header=BB2_57 Depth=2
	s_or_b32 exec_lo, exec_lo, s62
	s_trap 2
	ds_load_b64 v[14:15], v0
	s_wait_dscnt 0x0
	v_add_nc_u64_e32 v[32:33], v[32:33], v[36:37]
	s_mov_b32 s62, exec_lo
	s_delay_alu instid0(VALU_DEP_1)
	v_cmpx_lt_u64_e64 v[14:15], v[32:33]
	s_cbranch_execz .LBB2_95
; %bb.87:                               ;   in Loop: Header=BB2_57 Depth=2
	s_mov_b32 s63, 0
	s_mov_b32 s74, 0
                                        ; implicit-def: $sgpr72
                                        ; implicit-def: $sgpr73
	s_branch .LBB2_89
.LBB2_88:                               ;   in Loop: Header=BB2_89 Depth=3
	s_or_b32 exec_lo, exec_lo, s76
	s_delay_alu instid0(SALU_CYCLE_1) | instskip(NEXT) | instid1(SALU_CYCLE_1)
	s_and_b32 s75, exec_lo, s77
	s_or_b32 s63, s75, s63
	s_and_not1_b32 s72, s72, exec_lo
	s_and_b32 s75, s73, exec_lo
	s_delay_alu instid0(SALU_CYCLE_1)
	s_or_b32 s72, s72, s75
	s_and_not1_b32 exec_lo, exec_lo, s63
	s_cbranch_execz .LBB2_93
.LBB2_89:                               ;   Parent Loop BB2_47 Depth=1
                                        ;     Parent Loop BB2_57 Depth=2
                                        ; =>    This Inner Loop Header: Depth=3
	s_add_co_i32 s74, s74, 1
	s_delay_alu instid0(SALU_CYCLE_1) | instskip(SKIP_1) | instid1(SALU_CYCLE_1)
	s_cmp_lg_u32 s74, 0x2710
	s_cselect_b32 s75, -1, 0
	s_and_b32 vcc_lo, exec_lo, s75
	s_cbranch_vccz .LBB2_91
; %bb.90:                               ;   in Loop: Header=BB2_89 Depth=3
	s_mov_b32 s77, -1
	s_or_b32 s73, s73, exec_lo
	s_and_saveexec_b32 s76, s75
	s_cbranch_execz .LBB2_88
	s_branch .LBB2_92
.LBB2_91:                               ;   in Loop: Header=BB2_89 Depth=3
	s_trap 2
	ds_load_b64 v[14:15], v0
	s_and_not1_b32 s75, s75, exec_lo
	s_mov_b32 s74, 0
	s_wait_loadcnt_dscnt 0x0
	flat_load_b32 v2, v[14:15] scope:SCOPE_SYS
	s_wait_loadcnt_dscnt 0x0
	global_inv scope:SCOPE_SYS
	v_cmp_eq_u32_e32 vcc_lo, 0, v2
	s_and_b32 s76, vcc_lo, exec_lo
	s_delay_alu instid0(SALU_CYCLE_1)
	s_or_b32 s75, s75, s76
	s_mov_b32 s77, -1
	s_or_b32 s73, s73, exec_lo
	s_and_saveexec_b32 s76, s75
	s_cbranch_execz .LBB2_88
.LBB2_92:                               ;   in Loop: Header=BB2_89 Depth=3
	s_sleep 1
	s_trap 2
	ds_load_b64 v[14:15], v0
	s_wait_dscnt 0x0
	s_and_not1_b32 s73, s73, exec_lo
	v_cmp_ge_u64_e32 vcc_lo, v[14:15], v[32:33]
	s_or_not1_b32 s77, vcc_lo, exec_lo
	s_branch .LBB2_88
.LBB2_93:                               ;   in Loop: Header=BB2_57 Depth=2
	s_or_b32 exec_lo, exec_lo, s63
	s_and_saveexec_b32 s63, s72
	s_delay_alu instid0(SALU_CYCLE_1)
	s_xor_b32 s63, exec_lo, s63
	s_cbranch_execz .LBB2_95
; %bb.94:                               ;   in Loop: Header=BB2_57 Depth=2
	ds_store_b32 v0, v107
	s_trap 2
.LBB2_95:                               ;   in Loop: Header=BB2_57 Depth=2
	s_or_b32 exec_lo, exec_lo, s62
	;;#ASMSTART
	s_wakeup
	;;#ASMEND
.LBB2_96:                               ;   in Loop: Header=BB2_57 Depth=2
	s_or_b32 exec_lo, exec_lo, s43
.LBB2_97:                               ;   in Loop: Header=BB2_57 Depth=2
	s_and_not1_saveexec_b32 s42, s42
	s_cbranch_execz .LBB2_99
; %bb.98:                               ;   in Loop: Header=BB2_57 Depth=2
	global_wb scope:SCOPE_DEV
	s_wait_storecnt 0x0
	s_wait_loadcnt_dscnt 0x0
	global_inv scope:SCOPE_DEV
	s_barrier_signal -1
	s_barrier_wait -1
.LBB2_99:                               ;   in Loop: Header=BB2_57 Depth=2
	s_or_b32 exec_lo, exec_lo, s42
.LBB2_100:                              ;   in Loop: Header=BB2_57 Depth=2
	s_delay_alu instid0(SALU_CYCLE_1) | instskip(SKIP_4) | instid1(VALU_DEP_1)
	s_or_b32 exec_lo, exec_lo, s13
	s_trap 2
	ds_load_b32 v9, v0
	v_and_b32_e32 v2, 0x4000, v30
	s_xor_b32 s13, s1, -1
	v_cmp_ne_u32_e32 vcc_lo, 0, v2
	s_and_b32 s42, s13, vcc_lo
	s_delay_alu instid0(SALU_CYCLE_1)
	s_and_saveexec_b32 s13, s42
	s_cbranch_execz .LBB2_119
; %bb.101:                              ;   in Loop: Header=BB2_57 Depth=2
	s_and_saveexec_b32 s42, s3
	s_delay_alu instid0(SALU_CYCLE_1)
	s_xor_b32 s42, exec_lo, s42
	s_cbranch_execz .LBB2_116
; %bb.102:                              ;   in Loop: Header=BB2_57 Depth=2
	s_and_saveexec_b32 s43, s6
	s_cbranch_execz .LBB2_115
; %bb.103:                              ;   in Loop: Header=BB2_57 Depth=2
	s_mov_b32 s63, exec_lo
	s_mov_b32 s62, exec_lo
	v_mbcnt_lo_u32_b32 v2, s63, 0
	global_wb scope:SCOPE_DEV
	s_wait_storecnt 0x0
	s_wait_loadcnt_dscnt 0x0
	global_inv scope:SCOPE_DEV
	v_cmpx_eq_u32_e32 0, v2
	s_cbranch_execz .LBB2_105
; %bb.104:                              ;   in Loop: Header=BB2_57 Depth=2
	s_bcnt1_i32_b32 s63, s63
	s_delay_alu instid0(SALU_CYCLE_1)
	v_mov_b32_e32 v2, s63
	s_wait_loadcnt 0x0
	ds_add_u64 v0, v[2:3]
	s_trap 2
.LBB2_105:                              ;   in Loop: Header=BB2_57 Depth=2
	s_or_b32 exec_lo, exec_lo, s62
	s_trap 2
	ds_load_b64 v[14:15], v0
	s_wait_dscnt 0x0
	v_add_nc_u64_e32 v[32:33], v[32:33], v[36:37]
	s_mov_b32 s62, exec_lo
	s_delay_alu instid0(VALU_DEP_1)
	v_cmpx_lt_u64_e64 v[14:15], v[32:33]
	s_cbranch_execz .LBB2_114
; %bb.106:                              ;   in Loop: Header=BB2_57 Depth=2
	s_mov_b32 s63, 0
	s_mov_b32 s74, 0
                                        ; implicit-def: $sgpr72
                                        ; implicit-def: $sgpr73
	s_branch .LBB2_108
.LBB2_107:                              ;   in Loop: Header=BB2_108 Depth=3
	s_or_b32 exec_lo, exec_lo, s76
	s_delay_alu instid0(SALU_CYCLE_1) | instskip(NEXT) | instid1(SALU_CYCLE_1)
	s_and_b32 s75, exec_lo, s77
	s_or_b32 s63, s75, s63
	s_and_not1_b32 s72, s72, exec_lo
	s_and_b32 s75, s73, exec_lo
	s_delay_alu instid0(SALU_CYCLE_1)
	s_or_b32 s72, s72, s75
	s_and_not1_b32 exec_lo, exec_lo, s63
	s_cbranch_execz .LBB2_112
.LBB2_108:                              ;   Parent Loop BB2_47 Depth=1
                                        ;     Parent Loop BB2_57 Depth=2
                                        ; =>    This Inner Loop Header: Depth=3
	s_add_co_i32 s74, s74, 1
	s_delay_alu instid0(SALU_CYCLE_1) | instskip(SKIP_1) | instid1(SALU_CYCLE_1)
	s_cmp_lg_u32 s74, 0x2710
	s_cselect_b32 s75, -1, 0
	s_and_b32 vcc_lo, exec_lo, s75
	s_cbranch_vccz .LBB2_110
; %bb.109:                              ;   in Loop: Header=BB2_108 Depth=3
	s_mov_b32 s77, -1
	s_or_b32 s73, s73, exec_lo
	s_and_saveexec_b32 s76, s75
	s_cbranch_execz .LBB2_107
	s_branch .LBB2_111
.LBB2_110:                              ;   in Loop: Header=BB2_108 Depth=3
	s_trap 2
	ds_load_b64 v[14:15], v0
	s_and_not1_b32 s75, s75, exec_lo
	s_mov_b32 s74, 0
	s_wait_loadcnt_dscnt 0x0
	flat_load_b32 v2, v[14:15] scope:SCOPE_SYS
	s_wait_loadcnt_dscnt 0x0
	global_inv scope:SCOPE_SYS
	v_cmp_eq_u32_e32 vcc_lo, 0, v2
	s_and_b32 s76, vcc_lo, exec_lo
	s_delay_alu instid0(SALU_CYCLE_1)
	s_or_b32 s75, s75, s76
	s_mov_b32 s77, -1
	s_or_b32 s73, s73, exec_lo
	s_and_saveexec_b32 s76, s75
	s_cbranch_execz .LBB2_107
.LBB2_111:                              ;   in Loop: Header=BB2_108 Depth=3
	s_sleep 1
	s_trap 2
	ds_load_b64 v[14:15], v0
	s_wait_dscnt 0x0
	s_and_not1_b32 s73, s73, exec_lo
	v_cmp_ge_u64_e32 vcc_lo, v[14:15], v[32:33]
	s_or_not1_b32 s77, vcc_lo, exec_lo
	s_branch .LBB2_107
.LBB2_112:                              ;   in Loop: Header=BB2_57 Depth=2
	s_or_b32 exec_lo, exec_lo, s63
	s_and_saveexec_b32 s63, s72
	s_delay_alu instid0(SALU_CYCLE_1)
	s_xor_b32 s63, exec_lo, s63
	s_cbranch_execz .LBB2_114
; %bb.113:                              ;   in Loop: Header=BB2_57 Depth=2
	ds_store_b32 v0, v107
	s_trap 2
.LBB2_114:                              ;   in Loop: Header=BB2_57 Depth=2
	s_or_b32 exec_lo, exec_lo, s62
	;;#ASMSTART
	s_wakeup
	;;#ASMEND
.LBB2_115:                              ;   in Loop: Header=BB2_57 Depth=2
	s_or_b32 exec_lo, exec_lo, s43
.LBB2_116:                              ;   in Loop: Header=BB2_57 Depth=2
	s_and_not1_saveexec_b32 s42, s42
	s_cbranch_execz .LBB2_118
; %bb.117:                              ;   in Loop: Header=BB2_57 Depth=2
	global_wb scope:SCOPE_DEV
	s_wait_storecnt 0x0
	s_wait_loadcnt_dscnt 0x0
	global_inv scope:SCOPE_DEV
	s_barrier_signal -1
	s_barrier_wait -1
.LBB2_118:                              ;   in Loop: Header=BB2_57 Depth=2
	s_or_b32 exec_lo, exec_lo, s42
.LBB2_119:                              ;   in Loop: Header=BB2_57 Depth=2
	s_delay_alu instid0(SALU_CYCLE_1)
	s_or_b32 exec_lo, exec_lo, s13
	s_trap 2
	ds_load_b64 v[14:15], v0
	s_wait_dscnt 0x0
	v_cmp_eq_u64_e32 vcc_lo, 0, v[14:15]
	s_cbranch_vccnz .LBB2_127
; %bb.120:                              ;   in Loop: Header=BB2_57 Depth=2
	s_trap 2
	ds_load_b64 v[112:113], v0
	s_wait_dscnt 0x0
	v_cmp_eq_u64_e32 vcc_lo, 0, v[112:113]
	s_cbranch_vccnz .LBB2_127
; %bb.121:                              ;   in Loop: Header=BB2_57 Depth=2
	s_mov_b32 s13, -1
	s_and_saveexec_b32 s42, s10
	s_cbranch_execz .LBB2_123
; %bb.122:                              ;   in Loop: Header=BB2_57 Depth=2
	ds_load_b32 v2, v0 offset:720
	s_wait_dscnt 0x0
	v_and_b32_e32 v2, 15, v2
	s_delay_alu instid0(VALU_DEP_1)
	v_cmp_eq_u32_e32 vcc_lo, 0, v2
	s_or_not1_b32 s13, vcc_lo, exec_lo
.LBB2_123:                              ;   in Loop: Header=BB2_57 Depth=2
	s_or_b32 exec_lo, exec_lo, s42
	s_and_saveexec_b32 s42, s11
	s_cbranch_execz .LBB2_125
; %bb.124:                              ;   in Loop: Header=BB2_57 Depth=2
	ds_load_b32 v2, v0 offset:784
	s_wait_dscnt 0x0
	v_and_b32_e32 v2, 15, v2
	s_delay_alu instid0(VALU_DEP_1) | instskip(SKIP_3) | instid1(SALU_CYCLE_1)
	v_cmp_eq_u32_e32 vcc_lo, 0, v2
	s_and_b32 s43, s13, vcc_lo
	s_and_not1_b32 s13, s13, exec_lo
	s_and_b32 s43, s43, exec_lo
	s_or_b32 s13, s13, s43
.LBB2_125:                              ;   in Loop: Header=BB2_57 Depth=2
	s_or_b32 exec_lo, exec_lo, s42
	v_cmp_eq_u32_e32 vcc_lo, 0, v9
	s_xor_b32 s13, s13, -1
	v_mov_b32_e32 v114, v120
	v_cndmask_b32_e64 v11, 0, 1, s13
	s_mov_b32 s43, -1
	v_dual_cndmask_b32 v2, 0, v8 :: v_dual_mov_b32 v9, 0
	v_mov_b32_e32 v19, v0
	s_delay_alu instid0(VALU_DEP_3) | instskip(NEXT) | instid1(VALU_DEP_3)
	v_cmp_ne_u32_e32 vcc_lo, 0, v11
	v_mov_b32_e32 v11, v2
	s_cbranch_vccz .LBB2_128
; %bb.126:                              ;   in Loop: Header=BB2_57 Depth=2
	s_and_saveexec_b32 s13, s43
	s_cbranch_execnz .LBB2_141
	s_branch .LBB2_149
.LBB2_127:                              ;   in Loop: Header=BB2_57 Depth=2
	s_mov_b32 s13, 0
	s_and_saveexec_b32 s42, s2
	s_cbranch_execnz .LBB2_150
	s_branch .LBB2_168
.LBB2_128:                              ;   in Loop: Header=BB2_57 Depth=2
	v_ashrrev_i32_e32 v9, 31, v2
	s_mov_b32 s13, exec_lo
	s_delay_alu instid0(VALU_DEP_1) | instskip(NEXT) | instid1(VALU_DEP_1)
	v_lshrrev_b32_e32 v9, 22, v9
	v_add_nc_u32_e32 v9, v2, v9
	s_delay_alu instid0(VALU_DEP_1) | instskip(NEXT) | instid1(VALU_DEP_1)
	v_ashrrev_i32_e32 v9, 10, v9
	v_sub_nc_u32_e32 v117, v9, v120
	s_delay_alu instid0(VALU_DEP_1)
	v_cmpx_lt_i32_e32 0, v117
	s_cbranch_execz .LBB2_132
; %bb.129:                              ;   in Loop: Header=BB2_57 Depth=2
	v_mov_b64_e32 v[114:115], v[86:87]
	s_mov_b32 s42, 0
.LBB2_130:                              ;   Parent Loop BB2_47 Depth=1
                                        ;     Parent Loop BB2_57 Depth=2
                                        ; =>    This Inner Loop Header: Depth=3
	s_delay_alu instid0(VALU_DEP_1)
	v_add_nc_u64_e32 v[118:119], v[14:15], v[114:115]
	v_sub_nc_u32_e32 v117, v117, v36
	s_clause 0x1
	global_load_b128 v[40:43], v[118:119], off th:TH_LOAD_NT
	global_load_b128 v[44:47], v[118:119], off offset:512 th:TH_LOAD_NT
	s_wait_xcnt 0x0
	v_add_nc_u64_e32 v[118:119], v[112:113], v[114:115]
	v_cmp_gt_i32_e32 vcc_lo, 1, v117
	v_add_nc_u64_e32 v[114:115], v[114:115], v[64:65]
	s_wait_loadcnt 0x1
	global_store_b128 v[118:119], v[40:43], off th:TH_STORE_NT
	s_wait_loadcnt 0x0
	global_store_b128 v[118:119], v[44:47], off offset:512 th:TH_STORE_NT
	s_or_b32 s42, vcc_lo, s42
	s_wait_xcnt 0x0
	s_and_not1_b32 exec_lo, exec_lo, s42
	s_cbranch_execnz .LBB2_130
; %bb.131:                              ;   in Loop: Header=BB2_57 Depth=2
	s_or_b32 exec_lo, exec_lo, s42
.LBB2_132:                              ;   in Loop: Header=BB2_57 Depth=2
	s_delay_alu instid0(SALU_CYCLE_1) | instskip(SKIP_3) | instid1(VALU_DEP_1)
	s_or_b32 exec_lo, exec_lo, s13
	v_dual_mov_b32 v9, 0 :: v_dual_lshlrev_b32 v116, 10, v9
	s_mov_b32 s43, 0
	s_mov_b32 s42, exec_lo
                                        ; implicit-def: $vgpr11
                                        ; implicit-def: $vgpr19
                                        ; implicit-def: $vgpr114
	v_cmpx_ne_u32_e64 v2, v116
	s_cbranch_execz .LBB2_140
; %bb.133:                              ;   in Loop: Header=BB2_57 Depth=2
	v_dual_lshlrev_b32 v9, 5, v117 :: v_dual_sub_nc_u32 v19, v2, v116
	s_mov_b32 s43, exec_lo
	s_delay_alu instid0(VALU_DEP_1) | instskip(NEXT) | instid1(VALU_DEP_1)
	v_dual_sub_nc_u32 v9, v121, v9 :: v_dual_ashrrev_i32 v20, 31, v19
	v_dual_ashrrev_i32 v11, 31, v9 :: v_dual_lshrrev_b32 v20, 23, v20
	s_delay_alu instid0(VALU_DEP_1) | instskip(NEXT) | instid1(VALU_DEP_1)
	v_lshrrev_b32_e32 v11, 27, v11
	v_add_nc_u32_e32 v11, v9, v11
	s_delay_alu instid0(VALU_DEP_1) | instskip(NEXT) | instid1(VALU_DEP_1)
	v_and_b32_e32 v21, 0xffffffe0, v11
	v_dual_add_nc_u32 v20, v19, v20 :: v_dual_sub_nc_u32 v118, v9, v21
	s_delay_alu instid0(VALU_DEP_1) | instskip(SKIP_1) | instid1(VALU_DEP_2)
	v_and_b32_e32 v117, 0xfffffe00, v20
	v_dual_ashrrev_i32 v21, 5, v11 :: v_dual_ashrrev_i32 v20, 9, v20
	v_dual_lshlrev_b32 v9, 4, v118 :: v_dual_sub_nc_u32 v119, v19, v117
	s_delay_alu instid0(VALU_DEP_1) | instskip(NEXT) | instid1(VALU_DEP_2)
	v_lshl_add_u32 v11, v21, 9, v9
	v_cmp_lt_i32_e32 vcc_lo, 15, v119
	s_delay_alu instid0(VALU_DEP_4) | instskip(NEXT) | instid1(VALU_DEP_1)
	v_add_co_ci_u32_e64 v20, null, 0, v20, vcc_lo
	v_dual_sub_nc_u32 v9, v19, v11 :: v_dual_sub_nc_u32 v40, v20, v21
	s_delay_alu instid0(VALU_DEP_1)
	v_cmpx_lt_i32_e32 15, v9
	s_cbranch_execz .LBB2_137
; %bb.134:                              ;   in Loop: Header=BB2_57 Depth=2
	v_add_nc_u32_e32 v114, v11, v116
	s_mov_b32 s62, 0
	s_delay_alu instid0(VALU_DEP_1)
	v_ashrrev_i32_e32 v115, 31, v114
.LBB2_135:                              ;   Parent Loop BB2_47 Depth=1
                                        ;     Parent Loop BB2_57 Depth=2
                                        ; =>    This Inner Loop Header: Depth=3
	s_delay_alu instid0(VALU_DEP_1) | instskip(SKIP_3) | instid1(VALU_DEP_3)
	v_add_nc_u64_e32 v[42:43], v[14:15], v[114:115]
	v_dual_sub_nc_u32 v9, v9, v66 :: v_dual_sub_nc_u32 v40, v40, v36
	v_add_nc_u64_e32 v[46:47], v[112:113], v[114:115]
	v_add_nc_u64_e32 v[114:115], v[114:115], v[66:67]
	v_cmp_gt_i32_e64 s13, 16, v9
	global_load_b128 v[42:45], v[42:43], off th:TH_LOAD_NT
	s_or_b32 s62, s13, s62
	s_wait_loadcnt 0x0
	global_store_b128 v[46:47], v[42:45], off th:TH_STORE_NT
	s_wait_xcnt 0x0
	s_and_not1_b32 exec_lo, exec_lo, s62
	s_cbranch_execnz .LBB2_135
; %bb.136:                              ;   in Loop: Header=BB2_57 Depth=2
	s_or_b32 exec_lo, exec_lo, s62
.LBB2_137:                              ;   in Loop: Header=BB2_57 Depth=2
	s_delay_alu instid0(SALU_CYCLE_1) | instskip(SKIP_3) | instid1(VALU_DEP_1)
	s_or_b32 exec_lo, exec_lo, s43
	v_dual_mov_b32 v9, 0 :: v_dual_bitop2_b32 v115, 15, v2 bitop3:0x40
	s_mov_b32 s43, 0
	s_mov_b32 s62, exec_lo
                                        ; implicit-def: $vgpr19
                                        ; implicit-def: $vgpr114
	v_cndmask_b32_e32 v11, v119, v115, vcc_lo
	s_delay_alu instid0(VALU_DEP_1)
	v_cmpx_ne_u32_e32 0, v11
	s_cbranch_execz .LBB2_139
; %bb.138:                              ;   in Loop: Header=BB2_57 Depth=2
	v_cmp_lt_i32_e64 s13, 0, v40
	s_mov_b32 s43, exec_lo
	v_dual_sub_nc_u32 v20, v119, v115 :: v_dual_cndmask_b32 v9, 0, v36, s13
	s_delay_alu instid0(VALU_DEP_1) | instskip(NEXT) | instid1(VALU_DEP_2)
	v_cndmask_b32_e32 v20, 0, v20, vcc_lo
	v_sub_nc_u32_e32 v9, v9, v40
	s_delay_alu instid0(VALU_DEP_1) | instskip(NEXT) | instid1(VALU_DEP_1)
	v_lshl_add_u32 v19, v9, 5, v118
	v_ashrrev_i32_e32 v9, 31, v19
	s_delay_alu instid0(VALU_DEP_1) | instskip(NEXT) | instid1(VALU_DEP_1)
	v_lshrrev_b32_e32 v9, 27, v9
	v_add_nc_u32_e32 v21, v19, v9
	v_add3_u32 v9, v117, v116, v20
	s_delay_alu instid0(VALU_DEP_2)
	v_ashrrev_i32_e32 v114, 5, v21
.LBB2_139:                              ;   in Loop: Header=BB2_57 Depth=2
	s_or_b32 exec_lo, exec_lo, s62
	s_delay_alu instid0(SALU_CYCLE_1)
	s_and_b32 s43, s43, exec_lo
.LBB2_140:                              ;   in Loop: Header=BB2_57 Depth=2
	s_or_b32 exec_lo, exec_lo, s42
	s_and_saveexec_b32 s13, s43
	s_cbranch_execz .LBB2_149
.LBB2_141:                              ;   in Loop: Header=BB2_57 Depth=2
	v_ashrrev_i32_e32 v20, 31, v11
	s_mov_b32 s42, exec_lo
	s_delay_alu instid0(VALU_DEP_1) | instskip(NEXT) | instid1(VALU_DEP_1)
	v_lshrrev_b32_e32 v20, 24, v20
	v_add_nc_u32_e32 v20, v11, v20
	s_delay_alu instid0(VALU_DEP_1) | instskip(NEXT) | instid1(VALU_DEP_1)
	v_dual_ashrrev_i32 v118, 8, v20 :: v_dual_ashrrev_i32 v20, 31, v19
	v_dual_sub_nc_u32 v116, v118, v114 :: v_dual_lshrrev_b32 v117, 27, v20
	s_delay_alu instid0(VALU_DEP_1)
	v_cmpx_lt_i32_e32 0, v116
	s_cbranch_execz .LBB2_145
; %bb.142:                              ;   in Loop: Header=BB2_57 Depth=2
	s_delay_alu instid0(VALU_DEP_2) | instskip(SKIP_1) | instid1(VALU_DEP_1)
	v_dual_add_nc_u32 v20, v19, v117 :: v_dual_lshlrev_b32 v21, 8, v114
	s_mov_b32 s43, 0
	v_and_b32_e32 v20, 0xffffffe0, v20
	s_delay_alu instid0(VALU_DEP_1) | instskip(NEXT) | instid1(VALU_DEP_1)
	v_sub_nc_u32_e32 v20, v19, v20
	v_add3_u32 v114, v9, v20, v21
	s_delay_alu instid0(VALU_DEP_1)
	v_ashrrev_i32_e32 v115, 31, v114
.LBB2_143:                              ;   Parent Loop BB2_47 Depth=1
                                        ;     Parent Loop BB2_57 Depth=2
                                        ; =>    This Inner Loop Header: Depth=3
	s_delay_alu instid0(VALU_DEP_1)
	v_add_nc_u64_e32 v[40:41], v[114:115], v[14:15]
	v_sub_nc_u32_e32 v116, v116, v36
	v_add_nc_u64_e32 v[14:15], v[14:15], v[68:69]
	s_clause 0x7
	flat_load_u8 v20, v[40:41] th:TH_LOAD_NT
	flat_load_u8 v21, v[40:41] offset:32 th:TH_LOAD_NT
	flat_load_u8 v119, v[40:41] offset:64 th:TH_LOAD_NT
	flat_load_u8 v42, v[40:41] offset:96 th:TH_LOAD_NT
	flat_load_u8 v43, v[40:41] offset:128 th:TH_LOAD_NT
	flat_load_u8 v44, v[40:41] offset:160 th:TH_LOAD_NT
	flat_load_u8 v45, v[40:41] offset:192 th:TH_LOAD_NT
	flat_load_u8 v46, v[40:41] offset:224 th:TH_LOAD_NT
	s_wait_xcnt 0x0
	v_add_nc_u64_e32 v[40:41], v[114:115], v[112:113]
	v_add_nc_u64_e32 v[112:113], v[112:113], v[68:69]
	v_cmp_gt_i32_e32 vcc_lo, 1, v116
	s_wait_loadcnt_dscnt 0x707
	flat_store_b8 v[40:41], v20 th:TH_STORE_NT
	s_wait_loadcnt_dscnt 0x607
	flat_store_b8 v[40:41], v21 offset:32 th:TH_STORE_NT
	s_wait_loadcnt_dscnt 0x507
	flat_store_b8 v[40:41], v119 offset:64 th:TH_STORE_NT
	;; [unrolled: 2-line block ×7, first 2 shown]
	s_or_b32 s43, vcc_lo, s43
	s_wait_xcnt 0x0
	s_and_not1_b32 exec_lo, exec_lo, s43
	s_cbranch_execnz .LBB2_143
; %bb.144:                              ;   in Loop: Header=BB2_57 Depth=2
	s_or_b32 exec_lo, exec_lo, s43
.LBB2_145:                              ;   in Loop: Header=BB2_57 Depth=2
	s_delay_alu instid0(SALU_CYCLE_1) | instskip(SKIP_1) | instid1(VALU_DEP_1)
	s_or_b32 exec_lo, exec_lo, s42
	v_lshlrev_b32_e32 v14, 8, v118
	v_cmp_ne_u32_e32 vcc_lo, v11, v14
	s_and_b32 exec_lo, exec_lo, vcc_lo
	s_cbranch_execz .LBB2_149
; %bb.146:                              ;   in Loop: Header=BB2_57 Depth=2
	v_add_nc_u32_e32 v15, v19, v117
	s_delay_alu instid0(VALU_DEP_1) | instskip(NEXT) | instid1(VALU_DEP_1)
	v_and_b32_e32 v15, 0xffffffe0, v15
	v_dual_sub_nc_u32 v15, v19, v15 :: v_dual_lshlrev_b32 v19, 5, v116
	s_delay_alu instid0(VALU_DEP_1) | instskip(NEXT) | instid1(VALU_DEP_1)
	v_sub_nc_u32_e32 v15, v15, v19
	v_add_nc_u32_e32 v19, v14, v15
	s_delay_alu instid0(VALU_DEP_1) | instskip(NEXT) | instid1(VALU_DEP_1)
	v_sub_nc_u32_e32 v11, v11, v19
	v_cmp_lt_i32_e32 vcc_lo, 0, v11
	s_and_b32 exec_lo, exec_lo, vcc_lo
	s_cbranch_execz .LBB2_149
; %bb.147:                              ;   in Loop: Header=BB2_57 Depth=2
	s_trap 2
	ds_load_b64 v[14:15], v0
	v_add_nc_u32_e32 v112, v19, v9
	s_mov_b32 s42, 0
	s_delay_alu instid0(VALU_DEP_1)
	v_ashrrev_i32_e32 v113, 31, v112
.LBB2_148:                              ;   Parent Loop BB2_47 Depth=1
                                        ;     Parent Loop BB2_57 Depth=2
                                        ; =>    This Inner Loop Header: Depth=3
	s_wait_dscnt 0x0
	s_delay_alu instid0(VALU_DEP_1) | instskip(SKIP_2) | instid1(VALU_DEP_2)
	v_add_nc_u64_e32 v[114:115], v[14:15], v[112:113]
	v_sub_nc_u32_e32 v11, v11, v38
	v_add_nc_u64_e32 v[112:113], v[112:113], v[38:39]
	v_cmp_gt_i32_e32 vcc_lo, 1, v11
	flat_load_u8 v9, v[114:115] th:TH_LOAD_NT
	s_or_b32 s42, vcc_lo, s42
	s_wait_loadcnt_dscnt 0x0
	flat_store_b8 v[114:115], v9 th:TH_STORE_NT
	s_wait_xcnt 0x0
	s_and_not1_b32 exec_lo, exec_lo, s42
	s_cbranch_execnz .LBB2_148
.LBB2_149:                              ;   in Loop: Header=BB2_57 Depth=2
	s_or_b32 exec_lo, exec_lo, s13
	v_cmp_lt_i32_e64 s13, 0, v2
	s_and_saveexec_b32 s42, s2
	s_cbranch_execz .LBB2_168
.LBB2_150:                              ;   in Loop: Header=BB2_57 Depth=2
	s_and_saveexec_b32 s43, s3
	s_delay_alu instid0(SALU_CYCLE_1)
	s_xor_b32 s43, exec_lo, s43
	s_cbranch_execz .LBB2_165
; %bb.151:                              ;   in Loop: Header=BB2_57 Depth=2
	s_and_saveexec_b32 s62, s6
	s_cbranch_execz .LBB2_164
; %bb.152:                              ;   in Loop: Header=BB2_57 Depth=2
	s_mov_b32 s72, exec_lo
	s_mov_b32 s63, exec_lo
	v_mbcnt_lo_u32_b32 v2, s72, 0
	global_wb scope:SCOPE_DEV
	s_wait_storecnt 0x0
	s_wait_loadcnt_dscnt 0x0
	global_inv scope:SCOPE_DEV
	v_cmpx_eq_u32_e32 0, v2
	s_cbranch_execz .LBB2_154
; %bb.153:                              ;   in Loop: Header=BB2_57 Depth=2
	s_bcnt1_i32_b32 s72, s72
	s_delay_alu instid0(SALU_CYCLE_1)
	v_mov_b32_e32 v2, s72
	s_wait_loadcnt 0x0
	ds_add_u64 v0, v[2:3]
	s_trap 2
.LBB2_154:                              ;   in Loop: Header=BB2_57 Depth=2
	s_or_b32 exec_lo, exec_lo, s63
	s_trap 2
	ds_load_b64 v[14:15], v0
	s_wait_dscnt 0x0
	v_add_nc_u64_e32 v[32:33], v[32:33], v[36:37]
	s_mov_b32 s63, exec_lo
	s_delay_alu instid0(VALU_DEP_1)
	v_cmpx_lt_u64_e64 v[14:15], v[32:33]
	s_cbranch_execz .LBB2_163
; %bb.155:                              ;   in Loop: Header=BB2_57 Depth=2
	s_mov_b32 s72, 0
	s_mov_b32 s75, 0
                                        ; implicit-def: $sgpr73
                                        ; implicit-def: $sgpr74
	s_branch .LBB2_157
.LBB2_156:                              ;   in Loop: Header=BB2_157 Depth=3
	s_or_b32 exec_lo, exec_lo, s77
	s_delay_alu instid0(SALU_CYCLE_1) | instskip(NEXT) | instid1(SALU_CYCLE_1)
	s_and_b32 s76, exec_lo, s78
	s_or_b32 s72, s76, s72
	s_and_not1_b32 s73, s73, exec_lo
	s_and_b32 s76, s74, exec_lo
	s_delay_alu instid0(SALU_CYCLE_1)
	s_or_b32 s73, s73, s76
	s_and_not1_b32 exec_lo, exec_lo, s72
	s_cbranch_execz .LBB2_161
.LBB2_157:                              ;   Parent Loop BB2_47 Depth=1
                                        ;     Parent Loop BB2_57 Depth=2
                                        ; =>    This Inner Loop Header: Depth=3
	s_add_co_i32 s75, s75, 1
	s_delay_alu instid0(SALU_CYCLE_1) | instskip(SKIP_1) | instid1(SALU_CYCLE_1)
	s_cmp_lg_u32 s75, 0x2710
	s_cselect_b32 s76, -1, 0
	s_and_b32 vcc_lo, exec_lo, s76
	s_cbranch_vccz .LBB2_159
; %bb.158:                              ;   in Loop: Header=BB2_157 Depth=3
	s_mov_b32 s78, -1
	s_or_b32 s74, s74, exec_lo
	s_and_saveexec_b32 s77, s76
	s_cbranch_execz .LBB2_156
	s_branch .LBB2_160
.LBB2_159:                              ;   in Loop: Header=BB2_157 Depth=3
	s_trap 2
	ds_load_b64 v[14:15], v0
	s_and_not1_b32 s76, s76, exec_lo
	s_mov_b32 s75, 0
	s_wait_loadcnt_dscnt 0x0
	flat_load_b32 v2, v[14:15] scope:SCOPE_SYS
	s_wait_loadcnt_dscnt 0x0
	global_inv scope:SCOPE_SYS
	v_cmp_eq_u32_e32 vcc_lo, 0, v2
	s_and_b32 s77, vcc_lo, exec_lo
	s_delay_alu instid0(SALU_CYCLE_1)
	s_or_b32 s76, s76, s77
	s_mov_b32 s78, -1
	s_or_b32 s74, s74, exec_lo
	s_and_saveexec_b32 s77, s76
	s_cbranch_execz .LBB2_156
.LBB2_160:                              ;   in Loop: Header=BB2_157 Depth=3
	s_sleep 1
	s_trap 2
	ds_load_b64 v[14:15], v0
	s_wait_dscnt 0x0
	s_and_not1_b32 s74, s74, exec_lo
	v_cmp_ge_u64_e32 vcc_lo, v[14:15], v[32:33]
	s_or_not1_b32 s78, vcc_lo, exec_lo
	s_branch .LBB2_156
.LBB2_161:                              ;   in Loop: Header=BB2_57 Depth=2
	s_or_b32 exec_lo, exec_lo, s72
	s_and_saveexec_b32 s72, s73
	s_delay_alu instid0(SALU_CYCLE_1)
	s_xor_b32 s72, exec_lo, s72
	s_cbranch_execz .LBB2_163
; %bb.162:                              ;   in Loop: Header=BB2_57 Depth=2
	ds_store_b32 v0, v107
	s_trap 2
.LBB2_163:                              ;   in Loop: Header=BB2_57 Depth=2
	s_or_b32 exec_lo, exec_lo, s63
	;;#ASMSTART
	s_wakeup
	;;#ASMEND
.LBB2_164:                              ;   in Loop: Header=BB2_57 Depth=2
	s_or_b32 exec_lo, exec_lo, s62
.LBB2_165:                              ;   in Loop: Header=BB2_57 Depth=2
	s_and_not1_saveexec_b32 s43, s43
	s_cbranch_execz .LBB2_167
; %bb.166:                              ;   in Loop: Header=BB2_57 Depth=2
	global_wb scope:SCOPE_DEV
	s_wait_storecnt 0x0
	s_wait_loadcnt_dscnt 0x0
	global_inv scope:SCOPE_DEV
	s_barrier_signal -1
	s_barrier_wait -1
.LBB2_167:                              ;   in Loop: Header=BB2_57 Depth=2
	s_or_b32 exec_lo, exec_lo, s43
.LBB2_168:                              ;   in Loop: Header=BB2_57 Depth=2
	s_delay_alu instid0(SALU_CYCLE_1) | instskip(SKIP_2) | instid1(SALU_CYCLE_1)
	s_or_b32 exec_lo, exec_lo, s42
	v_and_b32_e32 v9, 16, v30
	s_and_saveexec_b32 s42, s7
	s_xor_b32 s42, exec_lo, s42
	s_cbranch_execz .LBB2_172
; %bb.169:                              ;   in Loop: Header=BB2_57 Depth=2
	v_and_b32_e32 v2, 16, v30
	v_and_b32_e32 v9, 16, v30
	s_delay_alu instid0(VALU_DEP_2) | instskip(SKIP_1) | instid1(SALU_CYCLE_1)
	v_cmp_ne_u32_e32 vcc_lo, 0, v2
	s_and_b32 s43, vcc_lo, s13
	s_and_saveexec_b32 s13, s43
	s_cbranch_execz .LBB2_171
; %bb.170:                              ;   in Loop: Header=BB2_57 Depth=2
	v_mov_b32_e32 v9, 1
	global_wb scope:SCOPE_SYS
	s_wait_storecnt 0x0
	s_wait_loadcnt_dscnt 0x0
	global_inv scope:SCOPE_SYS
.LBB2_171:                              ;   in Loop: Header=BB2_57 Depth=2
	s_or_b32 exec_lo, exec_lo, s13
.LBB2_172:                              ;   in Loop: Header=BB2_57 Depth=2
	s_and_not1_saveexec_b32 s13, s42
	s_cbranch_execz .LBB2_191
; %bb.173:                              ;   in Loop: Header=BB2_57 Depth=2
	s_and_saveexec_b32 s42, s3
	s_delay_alu instid0(SALU_CYCLE_1)
	s_xor_b32 s42, exec_lo, s42
	s_cbranch_execz .LBB2_188
; %bb.174:                              ;   in Loop: Header=BB2_57 Depth=2
	s_and_saveexec_b32 s43, s6
	s_cbranch_execz .LBB2_187
; %bb.175:                              ;   in Loop: Header=BB2_57 Depth=2
	s_mov_b32 s63, exec_lo
	s_mov_b32 s62, exec_lo
	v_mbcnt_lo_u32_b32 v2, s63, 0
	;;#ASMSTART
	s_waitcnt lgkmcnt(0) vmcnt(0)
	;;#ASMEND
	s_delay_alu instid0(VALU_DEP_1)
	v_cmpx_eq_u32_e32 0, v2
	s_cbranch_execz .LBB2_177
; %bb.176:                              ;   in Loop: Header=BB2_57 Depth=2
	s_bcnt1_i32_b32 s63, s63
	s_delay_alu instid0(SALU_CYCLE_1)
	v_mov_b32_e32 v2, s63
	s_wait_storecnt 0x0
	s_wait_loadcnt_dscnt 0x0
	ds_add_u64 v0, v[2:3]
	s_trap 2
.LBB2_177:                              ;   in Loop: Header=BB2_57 Depth=2
	s_or_b32 exec_lo, exec_lo, s62
	s_trap 2
	ds_load_b64 v[14:15], v0
	s_wait_dscnt 0x0
	v_add_nc_u64_e32 v[32:33], v[32:33], v[36:37]
	s_mov_b32 s62, exec_lo
	s_delay_alu instid0(VALU_DEP_1)
	v_cmpx_lt_u64_e64 v[14:15], v[32:33]
	s_cbranch_execz .LBB2_186
; %bb.178:                              ;   in Loop: Header=BB2_57 Depth=2
	s_mov_b32 s63, 0
	s_mov_b32 s74, 0
                                        ; implicit-def: $sgpr72
                                        ; implicit-def: $sgpr73
	s_branch .LBB2_180
.LBB2_179:                              ;   in Loop: Header=BB2_180 Depth=3
	s_or_b32 exec_lo, exec_lo, s76
	s_delay_alu instid0(SALU_CYCLE_1) | instskip(NEXT) | instid1(SALU_CYCLE_1)
	s_and_b32 s75, exec_lo, s77
	s_or_b32 s63, s75, s63
	s_and_not1_b32 s72, s72, exec_lo
	s_and_b32 s75, s73, exec_lo
	s_delay_alu instid0(SALU_CYCLE_1)
	s_or_b32 s72, s72, s75
	s_and_not1_b32 exec_lo, exec_lo, s63
	s_cbranch_execz .LBB2_184
.LBB2_180:                              ;   Parent Loop BB2_47 Depth=1
                                        ;     Parent Loop BB2_57 Depth=2
                                        ; =>    This Inner Loop Header: Depth=3
	s_add_co_i32 s74, s74, 1
	s_delay_alu instid0(SALU_CYCLE_1) | instskip(SKIP_1) | instid1(SALU_CYCLE_1)
	s_cmp_lg_u32 s74, 0x2710
	s_cselect_b32 s75, -1, 0
	s_and_b32 vcc_lo, exec_lo, s75
	s_cbranch_vccz .LBB2_182
; %bb.181:                              ;   in Loop: Header=BB2_180 Depth=3
	s_mov_b32 s77, -1
	s_or_b32 s73, s73, exec_lo
	s_and_saveexec_b32 s76, s75
	s_cbranch_execz .LBB2_179
	s_branch .LBB2_183
.LBB2_182:                              ;   in Loop: Header=BB2_180 Depth=3
	s_trap 2
	ds_load_b64 v[14:15], v0
	s_and_not1_b32 s75, s75, exec_lo
	s_mov_b32 s74, 0
	s_wait_storecnt 0x0
	s_wait_loadcnt_dscnt 0x0
	flat_load_b32 v2, v[14:15] scope:SCOPE_SYS
	s_wait_loadcnt_dscnt 0x0
	global_inv scope:SCOPE_SYS
	v_cmp_eq_u32_e32 vcc_lo, 0, v2
	s_and_b32 s76, vcc_lo, exec_lo
	s_delay_alu instid0(SALU_CYCLE_1)
	s_or_b32 s75, s75, s76
	s_mov_b32 s77, -1
	s_or_b32 s73, s73, exec_lo
	s_and_saveexec_b32 s76, s75
	s_cbranch_execz .LBB2_179
.LBB2_183:                              ;   in Loop: Header=BB2_180 Depth=3
	s_sleep 1
	s_trap 2
	ds_load_b64 v[14:15], v0
	s_wait_dscnt 0x0
	s_and_not1_b32 s73, s73, exec_lo
	v_cmp_ge_u64_e32 vcc_lo, v[14:15], v[32:33]
	s_or_not1_b32 s77, vcc_lo, exec_lo
	s_branch .LBB2_179
.LBB2_184:                              ;   in Loop: Header=BB2_57 Depth=2
	s_or_b32 exec_lo, exec_lo, s63
	s_and_saveexec_b32 s63, s72
	s_delay_alu instid0(SALU_CYCLE_1)
	s_xor_b32 s63, exec_lo, s63
	s_cbranch_execz .LBB2_186
; %bb.185:                              ;   in Loop: Header=BB2_57 Depth=2
	ds_store_b32 v0, v107
	s_trap 2
.LBB2_186:                              ;   in Loop: Header=BB2_57 Depth=2
	s_or_b32 exec_lo, exec_lo, s62
	;;#ASMSTART
	s_wakeup
	;;#ASMEND
.LBB2_187:                              ;   in Loop: Header=BB2_57 Depth=2
	s_or_b32 exec_lo, exec_lo, s43
.LBB2_188:                              ;   in Loop: Header=BB2_57 Depth=2
	s_and_not1_saveexec_b32 s42, s42
	s_cbranch_execz .LBB2_190
; %bb.189:                              ;   in Loop: Header=BB2_57 Depth=2
	;;#ASMSTART
	s_waitcnt lgkmcnt(0) vmcnt(0)
	;;#ASMEND
	s_barrier_signal -1
	s_barrier_wait -1
.LBB2_190:                              ;   in Loop: Header=BB2_57 Depth=2
	s_or_b32 exec_lo, exec_lo, s42
.LBB2_191:                              ;   in Loop: Header=BB2_57 Depth=2
	s_delay_alu instid0(SALU_CYCLE_1) | instskip(NEXT) | instid1(SALU_CYCLE_1)
	s_or_b32 exec_lo, exec_lo, s13
	s_mov_b32 s13, exec_lo
	v_cmpx_ne_u32_e32 0, v9
	s_cbranch_execz .LBB2_56
; %bb.192:                              ;   in Loop: Header=BB2_57 Depth=2
	s_and_saveexec_b32 s42, s5
	s_cbranch_execz .LBB2_55
; %bb.193:                              ;   in Loop: Header=BB2_57 Depth=2
	global_wb scope:SCOPE_SYS
	s_wait_storecnt 0x0
	s_wait_loadcnt_dscnt 0x0
	flat_store_b32 v[28:29], v107 scope:SCOPE_SYS
	s_branch .LBB2_55
.LBB2_194:                              ;   in Loop: Header=BB2_47 Depth=1
	s_or_b32 exec_lo, exec_lo, s15
.LBB2_195:                              ;   in Loop: Header=BB2_47 Depth=1
	s_delay_alu instid0(SALU_CYCLE_1) | instskip(NEXT) | instid1(SALU_CYCLE_1)
	s_or_b32 exec_lo, exec_lo, s14
	s_mov_b32 s14, exec_lo
	v_cmpx_gt_i32_e32 2, v2
	s_cbranch_execz .LBB2_267
; %bb.196:                              ;   in Loop: Header=BB2_47 Depth=1
	v_cmp_eq_u32_e64 s18, 0, v2
	s_mov_b32 s15, 0
	s_branch .LBB2_199
.LBB2_197:                              ;   in Loop: Header=BB2_199 Depth=2
	s_wait_xcnt 0x0
	s_or_b32 exec_lo, exec_lo, s18
	v_add_nc_u64_e32 v[98:99], 2, v[98:99]
	global_wb scope:SCOPE_SYS
	s_wait_storecnt 0x0
	s_wait_loadcnt_dscnt 0x0
	flat_store_b64 v[22:23], v[98:99] scope:SCOPE_SYS
.LBB2_198:                              ;   in Loop: Header=BB2_199 Depth=2
	s_wait_xcnt 0x0
	s_or_b32 exec_lo, exec_lo, s13
	v_add_nc_u32_e32 v10, v8, v10
	s_mov_b32 s18, 0
	s_and_not1_b32 exec_lo, exec_lo, s15
	s_cbranch_execz .LBB2_266
.LBB2_199:                              ;   Parent Loop BB2_47 Depth=1
                                        ; =>  This Loop Header: Depth=2
                                        ;       Child Loop BB2_205 Depth 3
                                        ;       Child Loop BB2_229 Depth 3
	;; [unrolled: 1-line block ×3, first 2 shown]
	s_delay_alu instid0(VALU_DEP_1) | instskip(SKIP_2) | instid1(VALU_DEP_2)
	v_sub_nc_u32_e32 v2, v18, v10
	v_and_b32_e32 v9, 8, v30
	s_mov_b32 s29, exec_lo
	v_min_i32_e32 v8, v8, v2
	s_delay_alu instid0(VALU_DEP_2)
	v_cmpx_ne_u32_e32 0, v9
	s_cbranch_execz .LBB2_221
; %bb.200:                              ;   in Loop: Header=BB2_199 Depth=2
	s_wait_loadcnt_dscnt 0x1
	v_add_nc_u64_e32 v[14:15], 8, v[34:35]
	v_add_nc_u64_e32 v[12:13], 2, v[98:99]
	s_mov_b32 s42, exec_lo
	s_delay_alu instid0(VALU_DEP_1)
	v_cmpx_lt_u64_e64 v[14:15], v[12:13]
	s_cbranch_execz .LBB2_212
; %bb.201:                              ;   in Loop: Header=BB2_199 Depth=2
	v_and_b32_e32 v2, 64, v30
	s_mov_b32 s43, 0
	s_mov_b32 s73, 0
                                        ; implicit-def: $sgpr62
                                        ; implicit-def: $sgpr63
                                        ; implicit-def: $sgpr72
	s_delay_alu instid0(VALU_DEP_1)
	v_cmp_eq_u32_e32 vcc_lo, 0, v2
	s_branch .LBB2_205
.LBB2_202:                              ;   in Loop: Header=BB2_205 Depth=3
	s_wait_loadcnt_dscnt 0x0
	v_add_nc_u64_e32 v[14:15], 8, v[34:35]
	s_or_b32 s76, s76, exec_lo
	s_delay_alu instid0(VALU_DEP_1)
	v_cmp_ge_u64_e64 s13, v[14:15], v[12:13]
	s_or_not1_b32 s75, s13, exec_lo
.LBB2_203:                              ;   in Loop: Header=BB2_205 Depth=3
	s_or_b32 exec_lo, exec_lo, s78
	s_delay_alu instid0(SALU_CYCLE_1)
	s_and_not1_b32 s13, s72, exec_lo
	s_and_b32 s72, s76, exec_lo
	s_and_not1_b32 s63, s63, exec_lo
	s_and_b32 s75, s75, exec_lo
	s_or_b32 s72, s13, s72
	s_or_b32 s63, s63, s75
.LBB2_204:                              ;   in Loop: Header=BB2_205 Depth=3
	s_or_b32 exec_lo, exec_lo, s74
	s_delay_alu instid0(SALU_CYCLE_1) | instskip(NEXT) | instid1(SALU_CYCLE_1)
	s_and_b32 s13, exec_lo, s63
	s_or_b32 s43, s13, s43
	s_and_not1_b32 s13, s62, exec_lo
	s_and_b32 s62, s72, exec_lo
	s_delay_alu instid0(SALU_CYCLE_1)
	s_or_b32 s62, s13, s62
	s_and_not1_b32 exec_lo, exec_lo, s43
	s_cbranch_execz .LBB2_209
.LBB2_205:                              ;   Parent Loop BB2_47 Depth=1
                                        ;     Parent Loop BB2_199 Depth=2
                                        ; =>    This Inner Loop Header: Depth=3
	s_sleep 1
	s_wait_loadcnt_dscnt 0x0
	flat_load_b64 v[34:35], v[22:23] scope:SCOPE_SYS
	s_or_b32 s72, s72, exec_lo
	s_or_b32 s63, s63, exec_lo
                                        ; implicit-def: $vgpr2
	s_wait_xcnt 0x0
	s_and_saveexec_b32 s74, vcc_lo
	s_cbranch_execz .LBB2_204
; %bb.206:                              ;   in Loop: Header=BB2_205 Depth=3
	s_cmp_lt_i32 s73, 0x270f
	s_mov_b32 s75, -1
	s_cselect_b32 s77, -1, 0
	s_cmp_gt_i32 s73, 0x270e
	s_cbranch_scc0 .LBB2_208
; %bb.207:                              ;   in Loop: Header=BB2_205 Depth=3
	s_trap 2
	ds_load_b64 v[14:15], v0
	s_and_not1_b32 s73, s77, exec_lo
	s_mov_b32 s76, 0
	s_wait_storecnt 0x0
	s_wait_loadcnt_dscnt 0x0
	flat_load_b32 v2, v[14:15] scope:SCOPE_SYS
	s_wait_loadcnt_dscnt 0x0
	global_inv scope:SCOPE_SYS
	v_cmp_eq_u32_e64 s13, 0, v2
	s_and_b32 s13, s13, exec_lo
	s_delay_alu instid0(SALU_CYCLE_1)
	s_or_b32 s77, s73, s13
	s_mov_b32 s73, 0
	s_and_saveexec_b32 s78, s77
	s_cbranch_execz .LBB2_203
	s_branch .LBB2_202
.LBB2_208:                              ;   in Loop: Header=BB2_205 Depth=3
	s_add_co_i32 s73, s73, 1
	s_mov_b32 s76, -1
                                        ; implicit-def: $vgpr2
	s_and_saveexec_b32 s78, s77
	s_cbranch_execz .LBB2_203
	s_branch .LBB2_202
.LBB2_209:                              ;   in Loop: Header=BB2_199 Depth=2
	s_or_b32 exec_lo, exec_lo, s43
	s_xor_b32 s13, s62, -1
	s_delay_alu instid0(SALU_CYCLE_1) | instskip(NEXT) | instid1(SALU_CYCLE_1)
	s_and_saveexec_b32 s43, s13
	s_xor_b32 s13, exec_lo, s43
	s_cbranch_execz .LBB2_211
; %bb.210:                              ;   in Loop: Header=BB2_199 Depth=2
	v_or_b32_e32 v30, 64, v30
	s_wait_storecnt 0x0
	s_wait_loadcnt_dscnt 0x0
	ds_store_b32 v0, v2
	s_trap 2
.LBB2_211:                              ;   in Loop: Header=BB2_199 Depth=2
	s_or_b32 exec_lo, exec_lo, s13
.LBB2_212:                              ;   in Loop: Header=BB2_199 Depth=2
	s_delay_alu instid0(SALU_CYCLE_1) | instskip(SKIP_3) | instid1(VALU_DEP_1)
	s_or_b32 exec_lo, exec_lo, s42
	v_and_b32_e32 v2, 0x100, v30
	s_mov_b32 s13, -1
	;;#ASMSTART
	s_wakeup
	;;#ASMEND
                                        ; implicit-def: $vgpr14_vgpr15
	v_cmp_ne_u32_e32 vcc_lo, 0, v2
	v_and_b32_e32 v2, 7, v98
	s_and_saveexec_b32 s42, vcc_lo
	s_cbranch_execz .LBB2_216
; %bb.213:                              ;   in Loop: Header=BB2_199 Depth=2
	s_delay_alu instid0(VALU_DEP_1)
	v_mad_nc_u64_u32 v[98:99], v2, 24, v[6:7]
	v_ashrrev_i32_e32 v9, 31, v8
	s_mov_b32 s43, exec_lo
                                        ; implicit-def: $vgpr14_vgpr15
	s_clause 0x1
	flat_load_b32 v11, v[98:99]
	flat_store_b64 v[98:99], v[8:9] offset:8
	s_wait_loadcnt_dscnt 0x1
	v_cmp_ne_u32_e32 vcc_lo, 1, v11
	s_wait_xcnt 0x0
	v_cmpx_eq_u32_e32 1, v11
	s_cbranch_execz .LBB2_215
; %bb.214:                              ;   in Loop: Header=BB2_199 Depth=2
	flat_load_b32 v14, v[98:99] offset:4 scope:SCOPE_SYS
	s_wait_loadcnt_dscnt 0x0
	v_ashrrev_i32_e32 v15, 31, v14
.LBB2_215:                              ;   in Loop: Header=BB2_199 Depth=2
	s_wait_xcnt 0x0
	s_or_b32 exec_lo, exec_lo, s43
	s_delay_alu instid0(SALU_CYCLE_1)
	s_or_not1_b32 s13, vcc_lo, exec_lo
.LBB2_216:                              ;   in Loop: Header=BB2_199 Depth=2
	s_or_b32 exec_lo, exec_lo, s42
	s_and_saveexec_b32 s42, s13
; %bb.217:                              ;   in Loop: Header=BB2_199 Depth=2
	v_mul_u64_e32 v[14:15], v[2:3], v[24:25]
; %bb.218:                              ;   in Loop: Header=BB2_199 Depth=2
	s_or_b32 exec_lo, exec_lo, s42
	s_delay_alu instid0(VALU_DEP_1)
	v_add_nc_u64_e32 v[14:15], v[26:27], v[14:15]
	v_and_b32_e32 v2, 0x2000, v30
	s_mov_b32 s13, exec_lo
	ds_store_b64 v0, v[14:15] offset:784
	v_cmpx_ne_u32_e32 0, v2
	s_cbranch_execz .LBB2_220
; %bb.219:                              ;   in Loop: Header=BB2_199 Depth=2
	ds_load_b64 v[14:15], v0 offset:872
	s_wait_dscnt 0x0
	v_add_nc_u64_e32 v[14:15], 1, v[14:15]
	ds_store_b64 v0, v[14:15] offset:872
.LBB2_220:                              ;   in Loop: Header=BB2_199 Depth=2
	s_or_b32 exec_lo, exec_lo, s13
	v_mov_b64_e32 v[98:99], v[12:13]
.LBB2_221:                              ;   in Loop: Header=BB2_199 Depth=2
	s_or_b32 exec_lo, exec_lo, s29
	s_xor_b32 s13, s18, -1
	s_delay_alu instid0(SALU_CYCLE_1) | instskip(NEXT) | instid1(SALU_CYCLE_1)
	s_and_b32 s13, exec_lo, s13
	s_or_b32 s15, s13, s15
	s_and_saveexec_b32 s13, s2
	s_cbranch_execz .LBB2_240
; %bb.222:                              ;   in Loop: Header=BB2_199 Depth=2
	s_and_saveexec_b32 s18, s3
	s_delay_alu instid0(SALU_CYCLE_1)
	s_xor_b32 s18, exec_lo, s18
	s_cbranch_execz .LBB2_237
; %bb.223:                              ;   in Loop: Header=BB2_199 Depth=2
	s_and_saveexec_b32 s29, s6
	s_cbranch_execz .LBB2_236
; %bb.224:                              ;   in Loop: Header=BB2_199 Depth=2
	s_mov_b32 s43, exec_lo
	s_mov_b32 s42, exec_lo
	v_mbcnt_lo_u32_b32 v2, s43, 0
	global_wb scope:SCOPE_DEV
	s_wait_storecnt 0x0
	s_wait_loadcnt_dscnt 0x0
	global_inv scope:SCOPE_DEV
	v_cmpx_eq_u32_e32 0, v2
	s_cbranch_execz .LBB2_226
; %bb.225:                              ;   in Loop: Header=BB2_199 Depth=2
	s_bcnt1_i32_b32 s43, s43
	s_delay_alu instid0(SALU_CYCLE_1)
	v_mov_b32_e32 v2, s43
	s_wait_loadcnt 0x0
	ds_add_u64 v0, v[2:3]
	s_trap 2
.LBB2_226:                              ;   in Loop: Header=BB2_199 Depth=2
	s_or_b32 exec_lo, exec_lo, s42
	s_trap 2
	ds_load_b64 v[12:13], v0
	s_wait_dscnt 0x0
	v_add_nc_u64_e32 v[32:33], v[32:33], v[36:37]
	s_mov_b32 s42, exec_lo
	s_delay_alu instid0(VALU_DEP_1)
	v_cmpx_lt_u64_e64 v[12:13], v[32:33]
	s_cbranch_execz .LBB2_235
; %bb.227:                              ;   in Loop: Header=BB2_199 Depth=2
	s_mov_b32 s43, 0
	s_mov_b32 s72, 0
                                        ; implicit-def: $sgpr62
                                        ; implicit-def: $sgpr63
	s_branch .LBB2_229
.LBB2_228:                              ;   in Loop: Header=BB2_229 Depth=3
	s_or_b32 exec_lo, exec_lo, s74
	s_delay_alu instid0(SALU_CYCLE_1) | instskip(NEXT) | instid1(SALU_CYCLE_1)
	s_and_b32 s73, exec_lo, s75
	s_or_b32 s43, s73, s43
	s_and_not1_b32 s62, s62, exec_lo
	s_and_b32 s73, s63, exec_lo
	s_delay_alu instid0(SALU_CYCLE_1)
	s_or_b32 s62, s62, s73
	s_and_not1_b32 exec_lo, exec_lo, s43
	s_cbranch_execz .LBB2_233
.LBB2_229:                              ;   Parent Loop BB2_47 Depth=1
                                        ;     Parent Loop BB2_199 Depth=2
                                        ; =>    This Inner Loop Header: Depth=3
	s_add_co_i32 s72, s72, 1
	s_delay_alu instid0(SALU_CYCLE_1) | instskip(SKIP_1) | instid1(SALU_CYCLE_1)
	s_cmp_lg_u32 s72, 0x2710
	s_cselect_b32 s73, -1, 0
	s_and_b32 vcc_lo, exec_lo, s73
	s_cbranch_vccz .LBB2_231
; %bb.230:                              ;   in Loop: Header=BB2_229 Depth=3
	s_mov_b32 s75, -1
	s_or_b32 s63, s63, exec_lo
	s_and_saveexec_b32 s74, s73
	s_cbranch_execz .LBB2_228
	s_branch .LBB2_232
.LBB2_231:                              ;   in Loop: Header=BB2_229 Depth=3
	s_trap 2
	ds_load_b64 v[12:13], v0
	s_and_not1_b32 s73, s73, exec_lo
	s_mov_b32 s72, 0
	s_wait_loadcnt_dscnt 0x0
	flat_load_b32 v2, v[12:13] scope:SCOPE_SYS
	s_wait_loadcnt_dscnt 0x0
	global_inv scope:SCOPE_SYS
	v_cmp_eq_u32_e32 vcc_lo, 0, v2
	s_and_b32 s74, vcc_lo, exec_lo
	s_delay_alu instid0(SALU_CYCLE_1)
	s_or_b32 s73, s73, s74
	s_mov_b32 s75, -1
	s_or_b32 s63, s63, exec_lo
	s_and_saveexec_b32 s74, s73
	s_cbranch_execz .LBB2_228
.LBB2_232:                              ;   in Loop: Header=BB2_229 Depth=3
	s_sleep 1
	s_trap 2
	ds_load_b64 v[12:13], v0
	s_wait_dscnt 0x0
	s_and_not1_b32 s63, s63, exec_lo
	v_cmp_ge_u64_e32 vcc_lo, v[12:13], v[32:33]
	s_or_not1_b32 s75, vcc_lo, exec_lo
	s_branch .LBB2_228
.LBB2_233:                              ;   in Loop: Header=BB2_199 Depth=2
	s_or_b32 exec_lo, exec_lo, s43
	s_and_saveexec_b32 s43, s62
	s_delay_alu instid0(SALU_CYCLE_1)
	s_xor_b32 s43, exec_lo, s43
	s_cbranch_execz .LBB2_235
; %bb.234:                              ;   in Loop: Header=BB2_199 Depth=2
	ds_store_b32 v0, v107
	s_trap 2
.LBB2_235:                              ;   in Loop: Header=BB2_199 Depth=2
	s_or_b32 exec_lo, exec_lo, s42
	;;#ASMSTART
	s_wakeup
	;;#ASMEND
.LBB2_236:                              ;   in Loop: Header=BB2_199 Depth=2
	s_or_b32 exec_lo, exec_lo, s29
.LBB2_237:                              ;   in Loop: Header=BB2_199 Depth=2
	s_and_not1_saveexec_b32 s18, s18
	s_cbranch_execz .LBB2_239
; %bb.238:                              ;   in Loop: Header=BB2_199 Depth=2
	global_wb scope:SCOPE_DEV
	s_wait_storecnt 0x0
	s_wait_loadcnt_dscnt 0x0
	global_inv scope:SCOPE_DEV
	s_barrier_signal -1
	s_barrier_wait -1
.LBB2_239:                              ;   in Loop: Header=BB2_199 Depth=2
	s_or_b32 exec_lo, exec_lo, s18
.LBB2_240:                              ;   in Loop: Header=BB2_199 Depth=2
	s_delay_alu instid0(SALU_CYCLE_1) | instskip(SKIP_2) | instid1(SALU_CYCLE_1)
	s_or_b32 exec_lo, exec_lo, s13
	v_and_b32_e32 v9, 16, v30
	s_and_saveexec_b32 s13, s7
	s_xor_b32 s18, exec_lo, s13
	s_cbranch_execz .LBB2_244
; %bb.241:                              ;   in Loop: Header=BB2_199 Depth=2
	s_trap 2
	ds_load_b32 v2, v0
	v_cmp_lt_i32_e32 vcc_lo, 0, v8
	v_and_b32_e32 v9, 16, v30
	s_wait_dscnt 0x0
	v_readfirstlane_b32 s13, v2
	v_and_b32_e32 v2, 16, v30
	s_cmp_eq_u32 s13, 0
	s_delay_alu instid0(VALU_DEP_1) | instskip(SKIP_1) | instid1(SALU_CYCLE_1)
	v_cmp_ne_u32_e64 s13, 0, v2
	s_cselect_b32 s29, -1, 0
	s_and_b32 s29, vcc_lo, s29
	s_delay_alu instid0(SALU_CYCLE_1) | instskip(NEXT) | instid1(SALU_CYCLE_1)
	s_and_b32 s29, s13, s29
	s_and_saveexec_b32 s13, s29
	s_cbranch_execz .LBB2_243
; %bb.242:                              ;   in Loop: Header=BB2_199 Depth=2
	v_mov_b32_e32 v9, 1
	global_wb scope:SCOPE_SYS
	s_wait_loadcnt 0x0
	s_wait_storecnt 0x0
	global_inv scope:SCOPE_SYS
.LBB2_243:                              ;   in Loop: Header=BB2_199 Depth=2
	s_or_b32 exec_lo, exec_lo, s13
.LBB2_244:                              ;   in Loop: Header=BB2_199 Depth=2
	s_and_not1_saveexec_b32 s13, s18
	s_cbranch_execz .LBB2_263
; %bb.245:                              ;   in Loop: Header=BB2_199 Depth=2
	s_and_saveexec_b32 s18, s3
	s_delay_alu instid0(SALU_CYCLE_1)
	s_xor_b32 s18, exec_lo, s18
	s_cbranch_execz .LBB2_260
; %bb.246:                              ;   in Loop: Header=BB2_199 Depth=2
	s_and_saveexec_b32 s29, s6
	s_cbranch_execz .LBB2_259
; %bb.247:                              ;   in Loop: Header=BB2_199 Depth=2
	s_mov_b32 s43, exec_lo
	s_mov_b32 s42, exec_lo
	v_mbcnt_lo_u32_b32 v2, s43, 0
	;;#ASMSTART
	s_waitcnt lgkmcnt(0) vmcnt(0)
	;;#ASMEND
	s_delay_alu instid0(VALU_DEP_1)
	v_cmpx_eq_u32_e32 0, v2
	s_cbranch_execz .LBB2_249
; %bb.248:                              ;   in Loop: Header=BB2_199 Depth=2
	s_bcnt1_i32_b32 s43, s43
	s_delay_alu instid0(SALU_CYCLE_1)
	v_mov_b32_e32 v2, s43
	s_wait_storecnt 0x0
	s_wait_loadcnt_dscnt 0x0
	ds_add_u64 v0, v[2:3]
	s_trap 2
.LBB2_249:                              ;   in Loop: Header=BB2_199 Depth=2
	s_or_b32 exec_lo, exec_lo, s42
	s_trap 2
	ds_load_b64 v[12:13], v0
	s_wait_dscnt 0x0
	v_add_nc_u64_e32 v[32:33], v[32:33], v[36:37]
	s_mov_b32 s42, exec_lo
	s_delay_alu instid0(VALU_DEP_1)
	v_cmpx_lt_u64_e64 v[12:13], v[32:33]
	s_cbranch_execz .LBB2_258
; %bb.250:                              ;   in Loop: Header=BB2_199 Depth=2
	s_mov_b32 s43, 0
	s_mov_b32 s72, 0
                                        ; implicit-def: $sgpr62
                                        ; implicit-def: $sgpr63
	s_branch .LBB2_252
.LBB2_251:                              ;   in Loop: Header=BB2_252 Depth=3
	s_or_b32 exec_lo, exec_lo, s74
	s_delay_alu instid0(SALU_CYCLE_1) | instskip(NEXT) | instid1(SALU_CYCLE_1)
	s_and_b32 s73, exec_lo, s75
	s_or_b32 s43, s73, s43
	s_and_not1_b32 s62, s62, exec_lo
	s_and_b32 s73, s63, exec_lo
	s_delay_alu instid0(SALU_CYCLE_1)
	s_or_b32 s62, s62, s73
	s_and_not1_b32 exec_lo, exec_lo, s43
	s_cbranch_execz .LBB2_256
.LBB2_252:                              ;   Parent Loop BB2_47 Depth=1
                                        ;     Parent Loop BB2_199 Depth=2
                                        ; =>    This Inner Loop Header: Depth=3
	s_add_co_i32 s72, s72, 1
	s_delay_alu instid0(SALU_CYCLE_1) | instskip(SKIP_1) | instid1(SALU_CYCLE_1)
	s_cmp_lg_u32 s72, 0x2710
	s_cselect_b32 s73, -1, 0
	s_and_b32 vcc_lo, exec_lo, s73
	s_cbranch_vccz .LBB2_254
; %bb.253:                              ;   in Loop: Header=BB2_252 Depth=3
	s_mov_b32 s75, -1
	s_or_b32 s63, s63, exec_lo
	s_and_saveexec_b32 s74, s73
	s_cbranch_execz .LBB2_251
	s_branch .LBB2_255
.LBB2_254:                              ;   in Loop: Header=BB2_252 Depth=3
	s_trap 2
	ds_load_b64 v[12:13], v0
	s_and_not1_b32 s73, s73, exec_lo
	s_mov_b32 s72, 0
	s_wait_storecnt 0x0
	s_wait_loadcnt_dscnt 0x0
	flat_load_b32 v2, v[12:13] scope:SCOPE_SYS
	s_wait_loadcnt_dscnt 0x0
	global_inv scope:SCOPE_SYS
	v_cmp_eq_u32_e32 vcc_lo, 0, v2
	s_and_b32 s74, vcc_lo, exec_lo
	s_delay_alu instid0(SALU_CYCLE_1)
	s_or_b32 s73, s73, s74
	s_mov_b32 s75, -1
	s_or_b32 s63, s63, exec_lo
	s_and_saveexec_b32 s74, s73
	s_cbranch_execz .LBB2_251
.LBB2_255:                              ;   in Loop: Header=BB2_252 Depth=3
	s_sleep 1
	s_trap 2
	ds_load_b64 v[12:13], v0
	s_wait_dscnt 0x0
	s_and_not1_b32 s63, s63, exec_lo
	v_cmp_ge_u64_e32 vcc_lo, v[12:13], v[32:33]
	s_or_not1_b32 s75, vcc_lo, exec_lo
	s_branch .LBB2_251
.LBB2_256:                              ;   in Loop: Header=BB2_199 Depth=2
	s_or_b32 exec_lo, exec_lo, s43
	s_and_saveexec_b32 s43, s62
	s_delay_alu instid0(SALU_CYCLE_1)
	s_xor_b32 s43, exec_lo, s43
	s_cbranch_execz .LBB2_258
; %bb.257:                              ;   in Loop: Header=BB2_199 Depth=2
	ds_store_b32 v0, v107
	s_trap 2
.LBB2_258:                              ;   in Loop: Header=BB2_199 Depth=2
	s_or_b32 exec_lo, exec_lo, s42
	;;#ASMSTART
	s_wakeup
	;;#ASMEND
.LBB2_259:                              ;   in Loop: Header=BB2_199 Depth=2
	s_or_b32 exec_lo, exec_lo, s29
.LBB2_260:                              ;   in Loop: Header=BB2_199 Depth=2
	s_and_not1_saveexec_b32 s18, s18
	s_cbranch_execz .LBB2_262
; %bb.261:                              ;   in Loop: Header=BB2_199 Depth=2
	;;#ASMSTART
	s_waitcnt lgkmcnt(0) vmcnt(0)
	;;#ASMEND
	s_barrier_signal -1
	s_barrier_wait -1
.LBB2_262:                              ;   in Loop: Header=BB2_199 Depth=2
	s_or_b32 exec_lo, exec_lo, s18
.LBB2_263:                              ;   in Loop: Header=BB2_199 Depth=2
	s_delay_alu instid0(SALU_CYCLE_1) | instskip(NEXT) | instid1(SALU_CYCLE_1)
	s_or_b32 exec_lo, exec_lo, s13
	s_mov_b32 s13, exec_lo
	v_cmpx_ne_u32_e32 0, v9
	s_cbranch_execz .LBB2_198
; %bb.264:                              ;   in Loop: Header=BB2_199 Depth=2
	s_and_saveexec_b32 s18, s5
	s_cbranch_execz .LBB2_197
; %bb.265:                              ;   in Loop: Header=BB2_199 Depth=2
	global_wb scope:SCOPE_SYS
	s_wait_storecnt 0x0
	s_wait_loadcnt_dscnt 0x0
	flat_store_b32 v[28:29], v107 scope:SCOPE_SYS
	s_branch .LBB2_197
.LBB2_266:                              ;   in Loop: Header=BB2_47 Depth=1
	s_or_b32 exec_lo, exec_lo, s15
.LBB2_267:                              ;   in Loop: Header=BB2_47 Depth=1
	s_delay_alu instid0(SALU_CYCLE_1) | instskip(NEXT) | instid1(SALU_CYCLE_1)
	s_or_b32 exec_lo, exec_lo, s14
	s_and_not1_b32 vcc_lo, exec_lo, s56
	s_cbranch_vccnz .LBB2_2040
; %bb.268:                              ;   in Loop: Header=BB2_47 Depth=1
	s_mov_b32 s15, 2
	s_branch .LBB2_271
.LBB2_269:                              ;   in Loop: Header=BB2_271 Depth=2
	s_or_b32 exec_lo, exec_lo, s18
.LBB2_270:                              ;   in Loop: Header=BB2_271 Depth=2
	s_delay_alu instid0(SALU_CYCLE_1) | instskip(SKIP_1) | instid1(SALU_CYCLE_1)
	s_or_b32 exec_lo, exec_lo, s14
	s_add_co_i32 s15, s15, 1
	s_cmp_eq_u32 s15, s16
	s_cbranch_scc1 .LBB2_2040
.LBB2_271:                              ;   Parent Loop BB2_47 Depth=1
                                        ; =>  This Loop Header: Depth=2
                                        ;       Child Loop BB2_274 Depth 3
                                        ;         Child Loop BB2_282 Depth 4
                                        ;         Child Loop BB2_310 Depth 4
	;; [unrolled: 1-line block ×9, first 2 shown]
                                        ;       Child Loop BB2_1968 Depth 3
                                        ;         Child Loop BB2_1974 Depth 4
                                        ;         Child Loop BB2_2002 Depth 4
	;; [unrolled: 1-line block ×3, first 2 shown]
	s_sub_co_i32 s13, s46, s15
	s_mov_b32 s29, 0
	s_cmp_ge_i32 s13, s16
	v_mov_b32_e32 v114, 0
	s_cselect_b32 s14, s16, 0
	s_delay_alu instid0(SALU_CYCLE_1) | instskip(NEXT) | instid1(SALU_CYCLE_1)
	s_sub_co_i32 s42, s13, s14
	s_ashr_i32 s43, s42, 31
	s_delay_alu instid0(SALU_CYCLE_1) | instskip(NEXT) | instid1(VALU_DEP_1)
	v_mul_u64_e32 v[116:117], s[42:43], v[96:97]
	v_sub_nc_u64_e32 v[8:9], v[100:101], v[116:117]
	s_delay_alu instid0(VALU_DEP_1) | instskip(NEXT) | instid1(VALU_DEP_1)
	v_min_i64 v[8:9], v[96:97], v[8:9]
	v_max_i32_e32 v92, 0, v8
	v_cmp_lt_i32_e32 vcc_lo, 0, v8
	s_delay_alu instid0(VALU_DEP_2) | instskip(SKIP_1) | instid1(VALU_DEP_1)
	v_add_nc_u32_e32 v2, 31, v92
	s_and_b32 s13, s59, vcc_lo
	v_lshrrev_b32_e32 v2, 1, v2
	s_delay_alu instid0(VALU_DEP_1) | instskip(NEXT) | instid1(VALU_DEP_1)
	v_and_b32_e32 v9, 0x3ffffff0, v2
	v_dual_mov_b32 v2, 0 :: v_dual_max_i32 v112, s47, v9
	s_and_saveexec_b32 s18, s13
	s_cbranch_execz .LBB2_1965
; %bb.272:                              ;   in Loop: Header=BB2_271 Depth=2
	v_mov_b32_e32 v114, 0
	s_mov_b32 s43, 1
	s_mov_b32 s42, -1
	s_branch .LBB2_274
.LBB2_273:                              ;   in Loop: Header=BB2_274 Depth=3
	s_wait_xcnt 0x0
	s_or_b32 exec_lo, exec_lo, s13
	v_dual_add_nc_u32 v114, v112, v114 :: v_dual_mov_b32 v2, s43
	s_xor_b32 s13, s42, -1
	s_mov_b32 s42, 0
	s_mov_b32 s43, 2
	s_delay_alu instid0(VALU_DEP_1) | instskip(SKIP_1) | instid1(SALU_CYCLE_1)
	v_cmp_ge_i32_e32 vcc_lo, v114, v92
	s_or_b32 s13, s13, vcc_lo
	s_and_b32 s13, exec_lo, s13
	s_delay_alu instid0(SALU_CYCLE_1) | instskip(NEXT) | instid1(SALU_CYCLE_1)
	s_or_b32 s29, s13, s29
	s_and_not1_b32 exec_lo, exec_lo, s29
	s_cbranch_execz .LBB2_1964
.LBB2_274:                              ;   Parent Loop BB2_47 Depth=1
                                        ;     Parent Loop BB2_271 Depth=2
                                        ; =>    This Loop Header: Depth=3
                                        ;         Child Loop BB2_282 Depth 4
                                        ;         Child Loop BB2_310 Depth 4
	;; [unrolled: 1-line block ×9, first 2 shown]
	s_and_saveexec_b32 s13, s0
	s_cbranch_execz .LBB2_276
; %bb.275:                              ;   in Loop: Header=BB2_274 Depth=3
	s_trap 2
	ds_load_b64 v[8:9], v0
	v_ashrrev_i32_e32 v115, 31, v114
	s_wait_dscnt 0x0
	v_add_nc_u64_e32 v[8:9], v[8:9], v[102:103]
	s_delay_alu instid0(VALU_DEP_1) | instskip(NEXT) | instid1(VALU_DEP_1)
	v_add_nc_u64_e32 v[8:9], v[8:9], v[116:117]
	v_add_nc_u64_e32 v[8:9], v[8:9], v[114:115]
	ds_store_b64 v0, v[8:9]
	ds_store_b64 v0, v[48:49]
.LBB2_276:                              ;   in Loop: Header=BB2_274 Depth=3
	s_or_b32 exec_lo, exec_lo, s13
	v_sub_nc_u32_e32 v2, v92, v114
	v_and_b32_e32 v8, 12, v30
	s_mov_b32 s14, exec_lo
	s_delay_alu instid0(VALU_DEP_2) | instskip(NEXT) | instid1(VALU_DEP_2)
	v_min_i32_e32 v112, v112, v2
	v_cmpx_ne_u32_e32 0, v8
	s_cbranch_execz .LBB2_302
; %bb.277:                              ;   in Loop: Header=BB2_274 Depth=3
	v_and_b32_e32 v2, 8, v30
	v_add_nc_u64_e32 v[8:9], 2, v[98:99]
	s_mov_b32 s62, exec_lo
	s_wait_loadcnt_dscnt 0x1
	s_delay_alu instid0(VALU_DEP_2) | instskip(NEXT) | instid1(VALU_DEP_1)
	v_add_nc_u64_e32 v[10:11], v[34:35], v[2:3]
	v_cmpx_lt_u64_e64 v[10:11], v[8:9]
	s_cbranch_execz .LBB2_289
; %bb.278:                              ;   in Loop: Header=BB2_274 Depth=3
	v_and_b32_e32 v10, 64, v30
	s_mov_b32 s63, 0
	s_mov_b32 s75, 0
                                        ; implicit-def: $sgpr72
                                        ; implicit-def: $sgpr73
                                        ; implicit-def: $sgpr74
	s_delay_alu instid0(VALU_DEP_1)
	v_cmp_eq_u32_e32 vcc_lo, 0, v10
	s_branch .LBB2_282
.LBB2_279:                              ;   in Loop: Header=BB2_282 Depth=4
	s_wait_loadcnt_dscnt 0x0
	v_add_nc_u64_e32 v[12:13], v[34:35], v[2:3]
	s_or_b32 s78, s78, exec_lo
	s_delay_alu instid0(VALU_DEP_1)
	v_cmp_ge_u64_e64 s13, v[12:13], v[8:9]
	s_or_not1_b32 s77, s13, exec_lo
.LBB2_280:                              ;   in Loop: Header=BB2_282 Depth=4
	s_or_b32 exec_lo, exec_lo, s88
	s_delay_alu instid0(SALU_CYCLE_1)
	s_and_not1_b32 s13, s74, exec_lo
	s_and_b32 s74, s78, exec_lo
	s_and_not1_b32 s73, s73, exec_lo
	s_and_b32 s77, s77, exec_lo
	s_or_b32 s74, s13, s74
	s_or_b32 s73, s73, s77
.LBB2_281:                              ;   in Loop: Header=BB2_282 Depth=4
	s_or_b32 exec_lo, exec_lo, s76
	s_delay_alu instid0(SALU_CYCLE_1) | instskip(NEXT) | instid1(SALU_CYCLE_1)
	s_and_b32 s13, exec_lo, s73
	s_or_b32 s63, s13, s63
	s_and_not1_b32 s13, s72, exec_lo
	s_and_b32 s72, s74, exec_lo
	s_delay_alu instid0(SALU_CYCLE_1)
	s_or_b32 s72, s13, s72
	s_and_not1_b32 exec_lo, exec_lo, s63
	s_cbranch_execz .LBB2_286
.LBB2_282:                              ;   Parent Loop BB2_47 Depth=1
                                        ;     Parent Loop BB2_271 Depth=2
                                        ;       Parent Loop BB2_274 Depth=3
                                        ; =>      This Inner Loop Header: Depth=4
	s_sleep 1
	s_wait_loadcnt_dscnt 0x0
	flat_load_b64 v[34:35], v[22:23] scope:SCOPE_SYS
	s_or_b32 s74, s74, exec_lo
	s_or_b32 s73, s73, exec_lo
                                        ; implicit-def: $vgpr10
	s_wait_xcnt 0x0
	s_and_saveexec_b32 s76, vcc_lo
	s_cbranch_execz .LBB2_281
; %bb.283:                              ;   in Loop: Header=BB2_282 Depth=4
	s_cmp_lt_i32 s75, 0x270f
	s_mov_b32 s77, -1
	s_cselect_b32 s79, -1, 0
	s_cmp_gt_i32 s75, 0x270e
	s_cbranch_scc0 .LBB2_285
; %bb.284:                              ;   in Loop: Header=BB2_282 Depth=4
	s_trap 2
	ds_load_b64 v[10:11], v0
	s_and_not1_b32 s75, s79, exec_lo
	s_mov_b32 s78, 0
	s_wait_storecnt 0x0
	s_wait_loadcnt_dscnt 0x0
	flat_load_b32 v10, v[10:11] scope:SCOPE_SYS
	s_wait_loadcnt_dscnt 0x0
	global_inv scope:SCOPE_SYS
	v_cmp_eq_u32_e64 s13, 0, v10
	s_and_b32 s13, s13, exec_lo
	s_delay_alu instid0(SALU_CYCLE_1)
	s_or_b32 s79, s75, s13
	s_mov_b32 s75, 0
	s_and_saveexec_b32 s88, s79
	s_cbranch_execz .LBB2_280
	s_branch .LBB2_279
.LBB2_285:                              ;   in Loop: Header=BB2_282 Depth=4
	s_add_co_i32 s75, s75, 1
	s_mov_b32 s78, -1
                                        ; implicit-def: $vgpr10
	s_and_saveexec_b32 s88, s79
	s_cbranch_execz .LBB2_280
	s_branch .LBB2_279
.LBB2_286:                              ;   in Loop: Header=BB2_274 Depth=3
	s_or_b32 exec_lo, exec_lo, s63
	s_xor_b32 s13, s72, -1
	s_delay_alu instid0(SALU_CYCLE_1) | instskip(NEXT) | instid1(SALU_CYCLE_1)
	s_and_saveexec_b32 s63, s13
	s_xor_b32 s13, exec_lo, s63
	s_cbranch_execz .LBB2_288
; %bb.287:                              ;   in Loop: Header=BB2_274 Depth=3
	v_or_b32_e32 v30, 64, v30
	s_wait_storecnt 0x0
	s_wait_loadcnt_dscnt 0x0
	ds_store_b32 v0, v10
	s_trap 2
.LBB2_288:                              ;   in Loop: Header=BB2_274 Depth=3
	s_or_b32 exec_lo, exec_lo, s13
.LBB2_289:                              ;   in Loop: Header=BB2_274 Depth=3
	s_delay_alu instid0(SALU_CYCLE_1) | instskip(SKIP_2) | instid1(VALU_DEP_1)
	s_or_b32 exec_lo, exec_lo, s62
	v_and_b32_e32 v10, 0x108, v30
	;;#ASMSTART
	s_wakeup
	;;#ASMEND
	v_cmp_ne_u32_e32 vcc_lo, 0x108, v10
                                        ; implicit-def: $vgpr10_vgpr11
	s_and_saveexec_b32 s13, vcc_lo
	s_delay_alu instid0(SALU_CYCLE_1)
	s_xor_b32 s13, exec_lo, s13
; %bb.290:                              ;   in Loop: Header=BB2_274 Depth=3
	v_dual_mov_b32 v11, v3 :: v_dual_bitop2_b32 v10, 7, v98 bitop3:0x40
                                        ; implicit-def: $vgpr98_vgpr99
; %bb.291:                              ;   in Loop: Header=BB2_274 Depth=3
	s_and_not1_saveexec_b32 s13, s13
	s_cbranch_execz .LBB2_293
; %bb.292:                              ;   in Loop: Header=BB2_274 Depth=3
	v_dual_ashrrev_i32 v113, 31, v112 :: v_dual_bitop2_b32 v10, 7, v98 bitop3:0x40
	v_mov_b32_e32 v11, v3
	s_delay_alu instid0(VALU_DEP_2)
	v_mad_nc_u64_u32 v[12:13], v10, 24, v[6:7]
	flat_store_b64 v[12:13], v[112:113] offset:8
.LBB2_293:                              ;   in Loop: Header=BB2_274 Depth=3
	s_wait_xcnt 0x0
	s_or_b32 exec_lo, exec_lo, s13
	v_and_b32_e32 v12, 0x100, v30
	s_mov_b32 s13, -1
	s_delay_alu instid0(VALU_DEP_1)
	v_cmp_ne_u32_e32 vcc_lo, 0, v12
                                        ; implicit-def: $vgpr12_vgpr13
	s_and_saveexec_b32 s62, vcc_lo
	s_cbranch_execz .LBB2_297
; %bb.294:                              ;   in Loop: Header=BB2_274 Depth=3
	v_mad_nc_u64_u32 v[14:15], v10, 24, v[6:7]
	s_delay_alu instid0(VALU_DEP_1)
	v_mad_u32 v15, v11, 24, v15
	flat_load_b32 v12, v[14:15]
	s_wait_loadcnt_dscnt 0x0
	v_cmp_eq_u32_e64 s13, 1, v12
	v_cmp_ne_u32_e32 vcc_lo, 1, v12
                                        ; implicit-def: $vgpr12_vgpr13
	s_wait_xcnt 0x0
	s_and_saveexec_b32 s63, s13
	s_cbranch_execz .LBB2_296
; %bb.295:                              ;   in Loop: Header=BB2_274 Depth=3
	flat_load_b32 v12, v[14:15] offset:4 scope:SCOPE_SYS
	s_wait_loadcnt_dscnt 0x0
	v_ashrrev_i32_e32 v13, 31, v12
.LBB2_296:                              ;   in Loop: Header=BB2_274 Depth=3
	s_wait_xcnt 0x0
	s_or_b32 exec_lo, exec_lo, s63
	s_delay_alu instid0(SALU_CYCLE_1)
	s_or_not1_b32 s13, vcc_lo, exec_lo
.LBB2_297:                              ;   in Loop: Header=BB2_274 Depth=3
	s_or_b32 exec_lo, exec_lo, s62
	s_and_saveexec_b32 s62, s13
; %bb.298:                              ;   in Loop: Header=BB2_274 Depth=3
	v_mul_u64_e32 v[12:13], v[10:11], v[24:25]
; %bb.299:                              ;   in Loop: Header=BB2_274 Depth=3
	s_or_b32 exec_lo, exec_lo, s62
	v_cmp_eq_u32_e32 vcc_lo, 0, v2
	s_delay_alu instid0(VALU_DEP_2) | instskip(SKIP_3) | instid1(VALU_DEP_1)
	v_add_nc_u64_e32 v[10:11], v[26:27], v[12:13]
	v_and_b32_e32 v14, 0x2000, v30
	s_mov_b32 s13, exec_lo
	v_cndmask_b32_e32 v2, 0xc8, v108, vcc_lo
	v_add_nc_u32_e32 v2, v0, v2
	ds_store_b64 v2, v[10:11] offset:584
	v_cmpx_ne_u32_e32 0, v14
	s_cbranch_execz .LBB2_301
; %bb.300:                              ;   in Loop: Header=BB2_274 Depth=3
	ds_load_b64 v[10:11], v0 offset:872
	s_wait_dscnt 0x0
	v_add_nc_u64_e32 v[10:11], 1, v[10:11]
	ds_store_b64 v0, v[10:11] offset:872
.LBB2_301:                              ;   in Loop: Header=BB2_274 Depth=3
	s_or_b32 exec_lo, exec_lo, s13
	v_mov_b64_e32 v[98:99], v[8:9]
.LBB2_302:                              ;   in Loop: Header=BB2_274 Depth=3
	s_or_b32 exec_lo, exec_lo, s14
	s_and_saveexec_b32 s13, s2
	s_cbranch_execz .LBB2_321
; %bb.303:                              ;   in Loop: Header=BB2_274 Depth=3
	s_and_saveexec_b32 s14, s3
	s_delay_alu instid0(SALU_CYCLE_1)
	s_xor_b32 s14, exec_lo, s14
	s_cbranch_execz .LBB2_318
; %bb.304:                              ;   in Loop: Header=BB2_274 Depth=3
	s_and_saveexec_b32 s62, s6
	s_cbranch_execz .LBB2_317
; %bb.305:                              ;   in Loop: Header=BB2_274 Depth=3
	s_mov_b32 s72, exec_lo
	s_mov_b32 s63, exec_lo
	v_mbcnt_lo_u32_b32 v2, s72, 0
	global_wb scope:SCOPE_DEV
	s_wait_storecnt 0x0
	s_wait_loadcnt_dscnt 0x0
	global_inv scope:SCOPE_DEV
	v_cmpx_eq_u32_e32 0, v2
	s_cbranch_execz .LBB2_307
; %bb.306:                              ;   in Loop: Header=BB2_274 Depth=3
	s_bcnt1_i32_b32 s72, s72
	s_delay_alu instid0(SALU_CYCLE_1)
	v_mov_b32_e32 v2, s72
	s_wait_loadcnt 0x0
	ds_add_u64 v0, v[2:3]
	s_trap 2
.LBB2_307:                              ;   in Loop: Header=BB2_274 Depth=3
	s_or_b32 exec_lo, exec_lo, s63
	s_trap 2
	ds_load_b64 v[8:9], v0
	s_wait_dscnt 0x0
	v_add_nc_u64_e32 v[32:33], v[32:33], v[36:37]
	s_mov_b32 s63, exec_lo
	s_delay_alu instid0(VALU_DEP_1)
	v_cmpx_lt_u64_e64 v[8:9], v[32:33]
	s_cbranch_execz .LBB2_316
; %bb.308:                              ;   in Loop: Header=BB2_274 Depth=3
	s_mov_b32 s72, 0
	s_mov_b32 s75, 0
                                        ; implicit-def: $sgpr73
                                        ; implicit-def: $sgpr74
	s_branch .LBB2_310
.LBB2_309:                              ;   in Loop: Header=BB2_310 Depth=4
	s_or_b32 exec_lo, exec_lo, s77
	s_delay_alu instid0(SALU_CYCLE_1) | instskip(NEXT) | instid1(SALU_CYCLE_1)
	s_and_b32 s76, exec_lo, s78
	s_or_b32 s72, s76, s72
	s_and_not1_b32 s73, s73, exec_lo
	s_and_b32 s76, s74, exec_lo
	s_delay_alu instid0(SALU_CYCLE_1)
	s_or_b32 s73, s73, s76
	s_and_not1_b32 exec_lo, exec_lo, s72
	s_cbranch_execz .LBB2_314
.LBB2_310:                              ;   Parent Loop BB2_47 Depth=1
                                        ;     Parent Loop BB2_271 Depth=2
                                        ;       Parent Loop BB2_274 Depth=3
                                        ; =>      This Inner Loop Header: Depth=4
	s_add_co_i32 s75, s75, 1
	s_delay_alu instid0(SALU_CYCLE_1) | instskip(SKIP_1) | instid1(SALU_CYCLE_1)
	s_cmp_lg_u32 s75, 0x2710
	s_cselect_b32 s76, -1, 0
	s_and_b32 vcc_lo, exec_lo, s76
	s_cbranch_vccz .LBB2_312
; %bb.311:                              ;   in Loop: Header=BB2_310 Depth=4
	s_mov_b32 s78, -1
	s_or_b32 s74, s74, exec_lo
	s_and_saveexec_b32 s77, s76
	s_cbranch_execz .LBB2_309
	s_branch .LBB2_313
.LBB2_312:                              ;   in Loop: Header=BB2_310 Depth=4
	s_trap 2
	ds_load_b64 v[8:9], v0
	s_and_not1_b32 s76, s76, exec_lo
	s_mov_b32 s75, 0
	s_wait_loadcnt_dscnt 0x0
	flat_load_b32 v2, v[8:9] scope:SCOPE_SYS
	s_wait_loadcnt_dscnt 0x0
	global_inv scope:SCOPE_SYS
	v_cmp_eq_u32_e32 vcc_lo, 0, v2
	s_and_b32 s77, vcc_lo, exec_lo
	s_delay_alu instid0(SALU_CYCLE_1)
	s_or_b32 s76, s76, s77
	s_mov_b32 s78, -1
	s_or_b32 s74, s74, exec_lo
	s_and_saveexec_b32 s77, s76
	s_cbranch_execz .LBB2_309
.LBB2_313:                              ;   in Loop: Header=BB2_310 Depth=4
	s_sleep 1
	s_trap 2
	ds_load_b64 v[8:9], v0
	s_wait_dscnt 0x0
	s_and_not1_b32 s74, s74, exec_lo
	v_cmp_ge_u64_e32 vcc_lo, v[8:9], v[32:33]
	s_or_not1_b32 s78, vcc_lo, exec_lo
	s_branch .LBB2_309
.LBB2_314:                              ;   in Loop: Header=BB2_274 Depth=3
	s_or_b32 exec_lo, exec_lo, s72
	s_and_saveexec_b32 s72, s73
	s_delay_alu instid0(SALU_CYCLE_1)
	s_xor_b32 s72, exec_lo, s72
	s_cbranch_execz .LBB2_316
; %bb.315:                              ;   in Loop: Header=BB2_274 Depth=3
	ds_store_b32 v0, v107
	s_trap 2
.LBB2_316:                              ;   in Loop: Header=BB2_274 Depth=3
	s_or_b32 exec_lo, exec_lo, s63
	;;#ASMSTART
	s_wakeup
	;;#ASMEND
.LBB2_317:                              ;   in Loop: Header=BB2_274 Depth=3
	s_or_b32 exec_lo, exec_lo, s62
.LBB2_318:                              ;   in Loop: Header=BB2_274 Depth=3
	s_and_not1_saveexec_b32 s14, s14
	s_cbranch_execz .LBB2_320
; %bb.319:                              ;   in Loop: Header=BB2_274 Depth=3
	global_wb scope:SCOPE_DEV
	s_wait_storecnt 0x0
	s_wait_loadcnt_dscnt 0x0
	global_inv scope:SCOPE_DEV
	s_barrier_signal -1
	s_barrier_wait -1
.LBB2_320:                              ;   in Loop: Header=BB2_274 Depth=3
	s_or_b32 exec_lo, exec_lo, s14
.LBB2_321:                              ;   in Loop: Header=BB2_274 Depth=3
	s_delay_alu instid0(SALU_CYCLE_1) | instskip(SKIP_4) | instid1(VALU_DEP_1)
	s_or_b32 exec_lo, exec_lo, s13
	s_trap 2
	ds_load_b32 v8, v0
	v_and_b32_e32 v2, 0x4000, v30
	s_xor_b32 s13, s1, -1
	v_cmp_ne_u32_e32 vcc_lo, 0, v2
	s_and_b32 s14, s13, vcc_lo
	s_delay_alu instid0(SALU_CYCLE_1)
	s_and_saveexec_b32 s13, s14
	s_cbranch_execz .LBB2_340
; %bb.322:                              ;   in Loop: Header=BB2_274 Depth=3
	s_and_saveexec_b32 s14, s3
	s_delay_alu instid0(SALU_CYCLE_1)
	s_xor_b32 s14, exec_lo, s14
	s_cbranch_execz .LBB2_337
; %bb.323:                              ;   in Loop: Header=BB2_274 Depth=3
	s_and_saveexec_b32 s62, s6
	s_cbranch_execz .LBB2_336
; %bb.324:                              ;   in Loop: Header=BB2_274 Depth=3
	s_mov_b32 s72, exec_lo
	s_mov_b32 s63, exec_lo
	v_mbcnt_lo_u32_b32 v2, s72, 0
	global_wb scope:SCOPE_DEV
	s_wait_storecnt 0x0
	s_wait_loadcnt_dscnt 0x0
	global_inv scope:SCOPE_DEV
	v_cmpx_eq_u32_e32 0, v2
	s_cbranch_execz .LBB2_326
; %bb.325:                              ;   in Loop: Header=BB2_274 Depth=3
	s_bcnt1_i32_b32 s72, s72
	s_delay_alu instid0(SALU_CYCLE_1)
	v_mov_b32_e32 v2, s72
	s_wait_loadcnt 0x0
	ds_add_u64 v0, v[2:3]
	s_trap 2
.LBB2_326:                              ;   in Loop: Header=BB2_274 Depth=3
	s_or_b32 exec_lo, exec_lo, s63
	s_trap 2
	ds_load_b64 v[10:11], v0
	s_wait_dscnt 0x0
	v_add_nc_u64_e32 v[32:33], v[32:33], v[36:37]
	s_mov_b32 s63, exec_lo
	s_delay_alu instid0(VALU_DEP_1)
	v_cmpx_lt_u64_e64 v[10:11], v[32:33]
	s_cbranch_execz .LBB2_335
; %bb.327:                              ;   in Loop: Header=BB2_274 Depth=3
	s_mov_b32 s72, 0
	s_mov_b32 s75, 0
                                        ; implicit-def: $sgpr73
                                        ; implicit-def: $sgpr74
	s_branch .LBB2_329
.LBB2_328:                              ;   in Loop: Header=BB2_329 Depth=4
	s_or_b32 exec_lo, exec_lo, s77
	s_delay_alu instid0(SALU_CYCLE_1) | instskip(NEXT) | instid1(SALU_CYCLE_1)
	s_and_b32 s76, exec_lo, s78
	s_or_b32 s72, s76, s72
	s_and_not1_b32 s73, s73, exec_lo
	s_and_b32 s76, s74, exec_lo
	s_delay_alu instid0(SALU_CYCLE_1)
	s_or_b32 s73, s73, s76
	s_and_not1_b32 exec_lo, exec_lo, s72
	s_cbranch_execz .LBB2_333
.LBB2_329:                              ;   Parent Loop BB2_47 Depth=1
                                        ;     Parent Loop BB2_271 Depth=2
                                        ;       Parent Loop BB2_274 Depth=3
                                        ; =>      This Inner Loop Header: Depth=4
	s_add_co_i32 s75, s75, 1
	s_delay_alu instid0(SALU_CYCLE_1) | instskip(SKIP_1) | instid1(SALU_CYCLE_1)
	s_cmp_lg_u32 s75, 0x2710
	s_cselect_b32 s76, -1, 0
	s_and_b32 vcc_lo, exec_lo, s76
	s_cbranch_vccz .LBB2_331
; %bb.330:                              ;   in Loop: Header=BB2_329 Depth=4
	s_mov_b32 s78, -1
	s_or_b32 s74, s74, exec_lo
	s_and_saveexec_b32 s77, s76
	s_cbranch_execz .LBB2_328
	s_branch .LBB2_332
.LBB2_331:                              ;   in Loop: Header=BB2_329 Depth=4
	s_trap 2
	ds_load_b64 v[10:11], v0
	s_and_not1_b32 s76, s76, exec_lo
	s_mov_b32 s75, 0
	s_wait_loadcnt_dscnt 0x0
	flat_load_b32 v2, v[10:11] scope:SCOPE_SYS
	s_wait_loadcnt_dscnt 0x0
	global_inv scope:SCOPE_SYS
	v_cmp_eq_u32_e32 vcc_lo, 0, v2
	s_and_b32 s77, vcc_lo, exec_lo
	s_delay_alu instid0(SALU_CYCLE_1)
	s_or_b32 s76, s76, s77
	s_mov_b32 s78, -1
	s_or_b32 s74, s74, exec_lo
	s_and_saveexec_b32 s77, s76
	s_cbranch_execz .LBB2_328
.LBB2_332:                              ;   in Loop: Header=BB2_329 Depth=4
	s_sleep 1
	s_trap 2
	ds_load_b64 v[10:11], v0
	s_wait_dscnt 0x0
	s_and_not1_b32 s74, s74, exec_lo
	v_cmp_ge_u64_e32 vcc_lo, v[10:11], v[32:33]
	s_or_not1_b32 s78, vcc_lo, exec_lo
	s_branch .LBB2_328
.LBB2_333:                              ;   in Loop: Header=BB2_274 Depth=3
	s_or_b32 exec_lo, exec_lo, s72
	s_and_saveexec_b32 s72, s73
	s_delay_alu instid0(SALU_CYCLE_1)
	s_xor_b32 s72, exec_lo, s72
	s_cbranch_execz .LBB2_335
; %bb.334:                              ;   in Loop: Header=BB2_274 Depth=3
	ds_store_b32 v0, v107
	s_trap 2
.LBB2_335:                              ;   in Loop: Header=BB2_274 Depth=3
	s_or_b32 exec_lo, exec_lo, s63
	;;#ASMSTART
	s_wakeup
	;;#ASMEND
.LBB2_336:                              ;   in Loop: Header=BB2_274 Depth=3
	s_or_b32 exec_lo, exec_lo, s62
.LBB2_337:                              ;   in Loop: Header=BB2_274 Depth=3
	s_and_not1_saveexec_b32 s14, s14
	s_cbranch_execz .LBB2_339
; %bb.338:                              ;   in Loop: Header=BB2_274 Depth=3
	global_wb scope:SCOPE_DEV
	s_wait_storecnt 0x0
	s_wait_loadcnt_dscnt 0x0
	global_inv scope:SCOPE_DEV
	s_barrier_signal -1
	s_barrier_wait -1
.LBB2_339:                              ;   in Loop: Header=BB2_274 Depth=3
	s_or_b32 exec_lo, exec_lo, s14
.LBB2_340:                              ;   in Loop: Header=BB2_274 Depth=3
	s_delay_alu instid0(SALU_CYCLE_1)
	s_or_b32 exec_lo, exec_lo, s13
	s_trap 2
	ds_load_b64 v[118:119], v0
	s_wait_dscnt 0x0
	v_cmp_eq_u64_e32 vcc_lo, 0, v[118:119]
	s_cbranch_vccnz .LBB2_348
; %bb.341:                              ;   in Loop: Header=BB2_274 Depth=3
	s_trap 2
	ds_load_b64 v[40:41], v0
	s_wait_dscnt 0x0
	v_cmp_eq_u64_e32 vcc_lo, 0, v[40:41]
	s_cbranch_vccnz .LBB2_348
; %bb.342:                              ;   in Loop: Header=BB2_274 Depth=3
	s_mov_b32 s13, -1
	s_and_saveexec_b32 s14, s12
	s_cbranch_execz .LBB2_344
; %bb.343:                              ;   in Loop: Header=BB2_274 Depth=3
	ds_load_b32 v2, v0 offset:720
	s_wait_dscnt 0x0
	v_and_b32_e32 v2, 15, v2
	s_delay_alu instid0(VALU_DEP_1)
	v_cmp_eq_u32_e32 vcc_lo, 0, v2
	s_or_not1_b32 s13, vcc_lo, exec_lo
.LBB2_344:                              ;   in Loop: Header=BB2_274 Depth=3
	s_or_b32 exec_lo, exec_lo, s14
	s_and_saveexec_b32 s14, s11
	s_cbranch_execz .LBB2_346
; %bb.345:                              ;   in Loop: Header=BB2_274 Depth=3
	ds_load_b32 v2, v0 offset:784
	s_wait_dscnt 0x0
	v_and_b32_e32 v2, 15, v2
	s_delay_alu instid0(VALU_DEP_1) | instskip(SKIP_3) | instid1(SALU_CYCLE_1)
	v_cmp_eq_u32_e32 vcc_lo, 0, v2
	s_and_b32 s62, s13, vcc_lo
	s_and_not1_b32 s13, s13, exec_lo
	s_and_b32 s62, s62, exec_lo
	s_or_b32 s13, s13, s62
.LBB2_346:                              ;   in Loop: Header=BB2_274 Depth=3
	s_or_b32 exec_lo, exec_lo, s14
	v_cmp_eq_u32_e32 vcc_lo, 0, v8
	s_xor_b32 s13, s13, -1
	s_mov_b32 s63, -1
	v_cndmask_b32_e64 v2, 0, 1, s13
	v_dual_mov_b32 v93, 0 :: v_dual_cndmask_b32 v113, 0, v112, vcc_lo
	v_mov_b32_e32 v95, v0
	s_delay_alu instid0(VALU_DEP_3) | instskip(NEXT) | instid1(VALU_DEP_3)
	v_cmp_ne_u32_e32 vcc_lo, 0, v2
	v_dual_mov_b32 v2, v120 :: v_dual_mov_b32 v94, v113
	s_cbranch_vccz .LBB2_349
; %bb.347:                              ;   in Loop: Header=BB2_274 Depth=3
	s_and_saveexec_b32 s14, s63
	s_cbranch_execnz .LBB2_1514
	s_branch .LBB2_1918
.LBB2_348:                              ;   in Loop: Header=BB2_274 Depth=3
	s_mov_b32 s13, 0
	s_and_saveexec_b32 s14, s2
	s_cbranch_execnz .LBB2_1919
	s_branch .LBB2_1937
.LBB2_349:                              ;   in Loop: Header=BB2_274 Depth=3
	v_dual_ashrrev_i32 v2, 31, v113 :: v_dual_sub_nc_u32 v115, v113, v50
	s_mov_b32 s62, exec_lo
	s_delay_alu instid0(VALU_DEP_1) | instskip(NEXT) | instid1(VALU_DEP_1)
	v_lshrrev_b32_e32 v2, 23, v2
	v_add_nc_u32_e32 v2, v113, v2
	s_delay_alu instid0(VALU_DEP_1) | instskip(SKIP_1) | instid1(VALU_DEP_2)
	v_and_b32_e32 v62, 0xfffffe00, v2
	v_ashrrev_i32_e32 v2, 9, v2
	v_sub_nc_u32_e32 v63, v113, v62
	s_delay_alu instid0(VALU_DEP_1) | instskip(NEXT) | instid1(VALU_DEP_3)
	v_cmp_lt_i32_e32 vcc_lo, 15, v63
	v_add_co_ci_u32_e64 v72, null, v2, v122, vcc_lo
	v_cmpx_lt_i32_e32 15, v115
	s_cbranch_execz .LBB2_929
; %bb.350:                              ;   in Loop: Header=BB2_274 Depth=3
	s_trap 2
	ds_load_b64 v[8:9], v0
	v_add_nc_u64_e32 v[42:43], v[118:119], v[50:51]
	v_add_nc_u64_e32 v[46:47], v[40:41], v[50:51]
	s_mov_b32 s63, 0
	s_wait_dscnt 0x0
	v_add_nc_u64_e32 v[44:45], v[8:9], v[50:51]
	s_branch .LBB2_353
.LBB2_351:                              ;   in Loop: Header=BB2_353 Depth=4
	s_or_b32 exec_lo, exec_lo, s72
.LBB2_352:                              ;   in Loop: Header=BB2_353 Depth=4
	s_delay_alu instid0(SALU_CYCLE_1)
	s_or_b32 exec_lo, exec_lo, s14
	v_lshl_or_b32 v2, v61, 8, v60
	v_dual_lshlrev_b32 v9, 16, v58 :: v_dual_lshlrev_b32 v13, 16, v75
	v_dual_lshlrev_b32 v10, 24, v18 :: v_dual_lshlrev_b32 v14, 24, v76
	v_lshl_or_b32 v11, v74, 8, v73
	v_lshl_or_b32 v15, v59, 8, v19
	v_dual_lshlrev_b32 v18, 16, v77 :: v_dual_lshlrev_b32 v19, 24, v78
	v_dual_lshlrev_b32 v20, 24, v8 :: v_dual_sub_nc_u32 v115, v115, v66
	v_lshlrev_b32_e32 v12, 16, v12
	v_lshl_or_b32 v21, v57, 8, v56
	v_or3_b32 v9, v2, v9, v10
	v_or3_b32 v8, v11, v13, v14
	;; [unrolled: 1-line block ×3, first 2 shown]
	v_add_nc_u64_e32 v[42:43], v[42:43], v[66:67]
	v_or3_b32 v11, v21, v12, v20
	v_add_nc_u64_e32 v[44:45], v[44:45], v[66:67]
	v_cmp_gt_i32_e64 s13, 16, v115
	v_sub_nc_u32_e32 v72, v72, v36
	global_store_b128 v[46:47], v[8:11], off th:TH_STORE_NT
	s_wait_xcnt 0x0
	v_add_nc_u64_e32 v[46:47], v[46:47], v[66:67]
	s_or_b32 s63, s13, s63
	s_delay_alu instid0(SALU_CYCLE_1)
	s_and_not1_b32 exec_lo, exec_lo, s63
	s_cbranch_execz .LBB2_928
.LBB2_353:                              ;   Parent Loop BB2_47 Depth=1
                                        ;     Parent Loop BB2_271 Depth=2
                                        ;       Parent Loop BB2_274 Depth=3
                                        ; =>      This Inner Loop Header: Depth=4
	global_load_b128 v[12:15], v[42:43], off th:TH_LOAD_NT
	global_load_b128 v[8:11], v[44:45], off th:TH_LOAD_NT
	s_wait_loadcnt 0x1
	v_and_b32_e32 v2, 0xff, v12
	s_delay_alu instid0(VALU_DEP_1)
	v_cmp_ne_u16_e64 s13, 0, v2
	v_mov_b32_e32 v2, 0
	s_wait_xcnt 0x0
	s_and_saveexec_b32 s14, s13
	s_cbranch_execz .LBB2_363
; %bb.354:                              ;   in Loop: Header=BB2_353 Depth=4
	v_bfe_i32 v19, v12, 0, 8
	v_bfrev_b32_e32 v2, 1
	s_mov_b32 s72, exec_lo
	s_delay_alu instid0(VALU_DEP_2)
	v_cmpx_ne_u16_e32 0xff80, v19
	s_cbranch_execz .LBB2_362
; %bb.355:                              ;   in Loop: Header=BB2_353 Depth=4
	v_and_b32_e32 v2, 0x7c, v12
	v_and_b32_e32 v18, 3, v12
	s_delay_alu instid0(VALU_DEP_2) | instskip(SKIP_1) | instid1(SALU_CYCLE_1)
	v_cmp_ne_u32_e64 s13, 0x7c, v2
                                        ; implicit-def: $vgpr2
	s_and_saveexec_b32 s73, s13
	s_xor_b32 s73, exec_lo, s73
	s_cbranch_execz .LBB2_359
; %bb.356:                              ;   in Loop: Header=BB2_353 Depth=4
	v_bfe_u32 v2, v12, 2, 5
	s_mov_b32 s74, exec_lo
	s_delay_alu instid0(VALU_DEP_1)
	v_cmpx_eq_u32_e32 0, v2
; %bb.357:                              ;   in Loop: Header=BB2_353 Depth=4
	v_clz_i32_u32_e32 v2, v18
	s_delay_alu instid0(VALU_DEP_1) | instskip(NEXT) | instid1(VALU_DEP_1)
	v_min_u32_e32 v2, 32, v2
	v_subrev_nc_u32_e32 v18, 29, v2
	v_sub_nc_u32_e32 v2, 30, v2
	s_delay_alu instid0(VALU_DEP_2) | instskip(NEXT) | instid1(VALU_DEP_1)
	v_lshlrev_b64_e32 v[18:19], v18, v[12:13]
	v_and_b32_e32 v18, 3, v18
; %bb.358:                              ;   in Loop: Header=BB2_353 Depth=4
	s_or_b32 exec_lo, exec_lo, s74
	v_lshlrev_b32_e32 v19, 24, v12
	s_delay_alu instid0(VALU_DEP_1) | instskip(NEXT) | instid1(VALU_DEP_1)
	v_and_b32_e32 v19, 0x80000000, v19
	v_lshl_add_u32 v2, v2, 23, v19
                                        ; implicit-def: $vgpr19
	s_delay_alu instid0(VALU_DEP_1) | instskip(NEXT) | instid1(VALU_DEP_1)
	v_lshl_or_b32 v2, v18, 21, v2
                                        ; implicit-def: $vgpr18
	v_add_nc_u32_e32 v2, 0x38000000, v2
.LBB2_359:                              ;   in Loop: Header=BB2_353 Depth=4
	s_and_not1_saveexec_b32 s73, s73
; %bb.360:                              ;   in Loop: Header=BB2_353 Depth=4
	v_cmp_lt_i16_e64 s13, -1, v19
	s_delay_alu instid0(VALU_DEP_1) | instskip(SKIP_1) | instid1(VALU_DEP_1)
	v_cndmask_b32_e64 v2, 0xff800000, v109, s13
	v_cmp_eq_u32_e64 s13, 0, v18
	v_cndmask_b32_e64 v2, 0x7f800001, v2, s13
; %bb.361:                              ;   in Loop: Header=BB2_353 Depth=4
	s_or_b32 exec_lo, exec_lo, s73
.LBB2_362:                              ;   in Loop: Header=BB2_353 Depth=4
	s_delay_alu instid0(SALU_CYCLE_1)
	s_or_b32 exec_lo, exec_lo, s72
.LBB2_363:                              ;   in Loop: Header=BB2_353 Depth=4
	s_delay_alu instid0(SALU_CYCLE_1) | instskip(SKIP_4) | instid1(VALU_DEP_1)
	s_or_b32 exec_lo, exec_lo, s14
	s_wait_loadcnt 0x0
	v_and_b32_e32 v19, 0xff, v8
	s_mov_b32 s72, 0
	s_mov_b32 s14, exec_lo
	v_cmpx_lt_i16_e32 0x7f, v19
	s_xor_b32 s14, exec_lo, s14
	s_cbranch_execz .LBB2_904
; %bb.364:                              ;   in Loop: Header=BB2_353 Depth=4
	s_mov_b32 s72, -1
	s_mov_b32 s73, exec_lo
	v_cmpx_eq_u16_e32 0x80, v19
; %bb.365:                              ;   in Loop: Header=BB2_353 Depth=4
	s_xor_b32 s72, exec_lo, -1
; %bb.366:                              ;   in Loop: Header=BB2_353 Depth=4
	s_or_b32 exec_lo, exec_lo, s73
	s_delay_alu instid0(SALU_CYCLE_1)
	s_and_b32 s72, s72, exec_lo
                                        ; implicit-def: $vgpr19
	s_or_saveexec_b32 s14, s14
	v_bfrev_b32_e32 v18, 1
	s_xor_b32 exec_lo, exec_lo, s14
	s_cbranch_execnz .LBB2_905
.LBB2_367:                              ;   in Loop: Header=BB2_353 Depth=4
	s_or_b32 exec_lo, exec_lo, s14
	s_and_saveexec_b32 s14, s72
	s_cbranch_execz .LBB2_369
.LBB2_368:                              ;   in Loop: Header=BB2_353 Depth=4
	v_and_b32_e32 v20, 3, v8
	v_bfe_u32 v56, v8, 2, 5
	s_delay_alu instid0(VALU_DEP_2) | instskip(NEXT) | instid1(VALU_DEP_2)
	v_clz_i32_u32_e32 v18, v20
	v_cmp_eq_u32_e64 s13, 0, v56
	s_delay_alu instid0(VALU_DEP_2) | instskip(NEXT) | instid1(VALU_DEP_1)
	v_min_u32_e32 v21, 32, v18
	v_subrev_nc_u32_e32 v18, 29, v21
	s_delay_alu instid0(VALU_DEP_1) | instskip(SKIP_1) | instid1(VALU_DEP_1)
	v_lshlrev_b64_e32 v[18:19], v18, v[8:9]
	v_dual_lshlrev_b32 v19, 24, v8 :: v_dual_sub_nc_u32 v21, 30, v21
	v_and_b32_e32 v19, 0x80000000, v19
	s_delay_alu instid0(VALU_DEP_2) | instskip(SKIP_1) | instid1(VALU_DEP_2)
	v_dual_cndmask_b32 v21, v56, v21, s13 :: v_dual_bitop2_b32 v18, 3, v18 bitop3:0x40
	v_bfe_i32 v56, v8, 0, 8
	v_cndmask_b32_e64 v18, v20, v18, s13
	s_delay_alu instid0(VALU_DEP_3) | instskip(NEXT) | instid1(VALU_DEP_3)
	v_lshl_add_u32 v19, v21, 23, v19
	v_cmp_lt_i16_e64 s13, -1, v56
	s_delay_alu instid0(VALU_DEP_2) | instskip(NEXT) | instid1(VALU_DEP_2)
	v_lshl_or_b32 v18, v18, 21, v19
	v_cndmask_b32_e64 v21, 0xff800000, v109, s13
	v_and_b32_e32 v19, 0x7c, v8
	v_cmp_eq_u32_e64 s13, 0, v20
	s_delay_alu instid0(VALU_DEP_4) | instskip(NEXT) | instid1(VALU_DEP_2)
	v_add_nc_u32_e32 v18, 0x38000000, v18
	v_cndmask_b32_e64 v20, 0x7f800001, v21, s13
	s_delay_alu instid0(VALU_DEP_4) | instskip(NEXT) | instid1(VALU_DEP_1)
	v_cmp_eq_u32_e64 s13, 0x7c, v19
	v_cndmask_b32_e64 v18, v18, v20, s13
.LBB2_369:                              ;   in Loop: Header=BB2_353 Depth=4
	s_or_b32 exec_lo, exec_lo, s14
	s_delay_alu instid0(VALU_DEP_1) | instskip(SKIP_1) | instid1(VALU_DEP_1)
	v_dual_mul_f32 v19, v2, v18 :: v_dual_mov_b32 v21, v3
                                        ; implicit-def: $vgpr73
	s_mov_b32 s14, exec_lo
	v_and_b32_e32 v20, 0x7f800000, v19
	v_and_b32_e32 v2, 0x7fffff, v19
	v_lshrrev_b32_e32 v18, 24, v19
	s_delay_alu instid0(VALU_DEP_3)
	v_cmpx_ne_u64_e32 0x7f800000, v[20:21]
	s_xor_b32 s72, exec_lo, s14
	s_cbranch_execz .LBB2_383
; %bb.370:                              ;   in Loop: Header=BB2_353 Depth=4
	v_and_b32_e32 v20, 0x7fffffff, v19
	v_mov_b32_e32 v21, v3
	v_and_b32_e32 v18, 0x80, v18
                                        ; implicit-def: $vgpr73
	s_mov_b32 s14, exec_lo
	s_delay_alu instid0(VALU_DEP_2)
	v_cmpx_gt_u64_e32 0x47600001, v[20:21]
	s_xor_b32 s73, exec_lo, s14
	s_cbranch_execz .LBB2_380
; %bb.371:                              ;   in Loop: Header=BB2_353 Depth=4
	v_mov_b32_e32 v73, 0
	s_mov_b32 s74, exec_lo
	v_cmpx_ne_u32_e32 0, v19
	s_cbranch_execz .LBB2_379
; %bb.372:                              ;   in Loop: Header=BB2_353 Depth=4
	v_bfe_u32 v19, v19, 23, 8
	v_or_b32_e32 v56, 0x800000, v2
	s_delay_alu instid0(VALU_DEP_2) | instskip(SKIP_1) | instid1(VALU_DEP_1)
	v_sub_nc_u32_e32 v20, 0x71, v19
	v_cmp_gt_u32_e64 s13, 0x72, v19
	v_cndmask_b32_e64 v20, 0, v20, s13
	v_cmp_eq_u32_e64 s13, 0, v19
	s_delay_alu instid0(VALU_DEP_1) | instskip(NEXT) | instid1(VALU_DEP_3)
	v_cndmask_b32_e64 v2, v56, v2, s13
	v_cndmask_b32_e64 v60, v20, 0x70, s13
	s_delay_alu instid0(VALU_DEP_1) | instskip(NEXT) | instid1(VALU_DEP_1)
	v_dual_add_nc_u32 v20, 21, v60 :: v_dual_add_nc_u32 v57, 20, v60
	v_lshlrev_b64_e64 v[20:21], v20, -1
	s_delay_alu instid0(VALU_DEP_2) | instskip(SKIP_1) | instid1(VALU_DEP_3)
	v_lshlrev_b64_e64 v[58:59], v57, 1
	v_lshrrev_b64 v[56:57], v60, v[2:3]
	v_bfi_b32 v21, v21, 0, 0
	s_delay_alu instid0(VALU_DEP_4) | instskip(NEXT) | instid1(VALU_DEP_1)
	v_bfi_b32 v20, v20, 0, v2
	v_cmp_eq_u64_e64 s14, v[20:21], v[58:59]
	s_delay_alu instid0(VALU_DEP_4)
	v_mov_b64_e32 v[58:59], v[56:57]
	s_and_saveexec_b32 s75, s14
; %bb.373:                              ;   in Loop: Header=BB2_353 Depth=4
	v_bfe_u32 v2, v56, 21, 1
	s_delay_alu instid0(VALU_DEP_1) | instskip(NEXT) | instid1(VALU_DEP_1)
	v_add_nc_u64_e32 v[20:21], v[56:57], v[2:3]
	v_add_nc_u64_e32 v[58:59], -1, v[20:21]
; %bb.374:                              ;   in Loop: Header=BB2_353 Depth=4
	s_or_b32 exec_lo, exec_lo, s75
	v_add_nc_u32_e32 v2, 0xffffff81, v19
	v_lshrrev_b32_e32 v19, 23, v56
	s_mov_b32 s14, exec_lo
	s_delay_alu instid0(VALU_DEP_2) | instskip(NEXT) | instid1(VALU_DEP_1)
	v_cndmask_b32_e64 v2, v2, 0xffffff82, s13
	v_add3_u32 v59, v60, v2, v19
	v_and_b32_e32 v2, 0x1fffff, v58
                                        ; implicit-def: $vgpr19
	s_delay_alu instid0(VALU_DEP_1) | instskip(NEXT) | instid1(VALU_DEP_1)
	v_dual_add_nc_u32 v58, 14, v59 :: v_dual_add_nc_u32 v2, v2, v56
                                        ; implicit-def: $vgpr56_vgpr57
	v_cmpx_ne_u32_e32 0, v58
	s_xor_b32 s14, exec_lo, s14
; %bb.375:                              ;   in Loop: Header=BB2_353 Depth=4
	s_delay_alu instid0(VALU_DEP_2) | instskip(SKIP_1) | instid1(VALU_DEP_2)
	v_cmp_lt_u64_e64 s13, 0xffffff, v[2:3]
	v_add_nc_u32_e32 v19, 15, v59
	v_cndmask_b32_e64 v20, 0, 1, s13
	s_delay_alu instid0(VALU_DEP_2) | instskip(NEXT) | instid1(VALU_DEP_2)
	v_cndmask_b32_e64 v19, v58, v19, s13
	v_lshrrev_b64 v[56:57], v20, v[2:3]
; %bb.376:                              ;   in Loop: Header=BB2_353 Depth=4
	s_and_not1_saveexec_b32 s13, s14
; %bb.377:                              ;   in Loop: Header=BB2_353 Depth=4
	v_mov_b64_e32 v[56:57], v[2:3]
	v_bfe_u32 v19, v2, 23, 1
; %bb.378:                              ;   in Loop: Header=BB2_353 Depth=4
	s_or_b32 exec_lo, exec_lo, s13
	s_delay_alu instid0(VALU_DEP_2) | instskip(NEXT) | instid1(VALU_DEP_2)
	v_lshrrev_b64 v[20:21], 21, v[56:57]
	v_cmp_gt_i32_e64 s13, 32, v19
	v_min_i32_e32 v2, 31, v19
	v_cmp_eq_u32_e64 s14, 0, v19
	s_delay_alu instid0(VALU_DEP_2) | instskip(SKIP_1) | instid1(VALU_DEP_2)
	v_dual_cndmask_b32 v21, 0, v21, s13 :: v_dual_lshlrev_b32 v2, 2, v2
	v_cndmask_b32_e64 v20, 3, v20, s13
	v_and_b32_e32 v2, 0xfc, v2
	s_delay_alu instid0(VALU_DEP_2) | instskip(NEXT) | instid1(VALU_DEP_2)
	v_cmp_eq_u64_e64 s13, 0, v[20:21]
	v_and_or_b32 v2, v20, 3, v2
	s_and_b32 s13, s14, s13
	s_delay_alu instid0(VALU_DEP_1) | instid1(SALU_CYCLE_1)
	v_cndmask_b32_e64 v2, v2, 0, s13
	s_delay_alu instid0(VALU_DEP_1)
	v_or_b32_e32 v73, v2, v18
.LBB2_379:                              ;   in Loop: Header=BB2_353 Depth=4
	s_or_b32 exec_lo, exec_lo, s74
                                        ; implicit-def: $vgpr18
.LBB2_380:                              ;   in Loop: Header=BB2_353 Depth=4
	s_and_not1_saveexec_b32 s13, s73
; %bb.381:                              ;   in Loop: Header=BB2_353 Depth=4
	v_or_b32_e32 v73, 0x7b, v18
; %bb.382:                              ;   in Loop: Header=BB2_353 Depth=4
	s_or_b32 exec_lo, exec_lo, s13
                                        ; implicit-def: $vgpr19
                                        ; implicit-def: $vgpr18
.LBB2_383:                              ;   in Loop: Header=BB2_353 Depth=4
	s_and_not1_saveexec_b32 s14, s72
	s_cbranch_execz .LBB2_389
; %bb.384:                              ;   in Loop: Header=BB2_353 Depth=4
	v_cmp_ne_u64_e64 s13, 0, v[2:3]
                                        ; implicit-def: $vgpr73
	s_and_saveexec_b32 s72, s13
	s_delay_alu instid0(SALU_CYCLE_1)
	s_xor_b32 s13, exec_lo, s72
; %bb.385:                              ;   in Loop: Header=BB2_353 Depth=4
	v_or_b32_e32 v73, 0x7f, v18
                                        ; implicit-def: $vgpr19
; %bb.386:                              ;   in Loop: Header=BB2_353 Depth=4
	s_and_not1_saveexec_b32 s72, s13
; %bb.387:                              ;   in Loop: Header=BB2_353 Depth=4
	v_cmp_lt_i32_e64 s13, -1, v19
	s_delay_alu instid0(VALU_DEP_1)
	v_cndmask_b32_e64 v73, 0xfc, v110, s13
; %bb.388:                              ;   in Loop: Header=BB2_353 Depth=4
	s_or_b32 exec_lo, exec_lo, s72
.LBB2_389:                              ;   in Loop: Header=BB2_353 Depth=4
	s_delay_alu instid0(SALU_CYCLE_1) | instskip(SKIP_3) | instid1(VALU_DEP_2)
	s_or_b32 exec_lo, exec_lo, s14
	v_lshrrev_b16 v2, 8, v12
	v_mov_b32_e32 v18, 0
	s_mov_b32 s14, exec_lo
	v_cmpx_ne_u16_e32 0, v2
	s_cbranch_execz .LBB2_399
; %bb.390:                              ;   in Loop: Header=BB2_353 Depth=4
	v_bfrev_b32_e32 v18, 1
	s_mov_b32 s72, exec_lo
	v_cmpx_ne_u16_e32 0x80, v2
	s_cbranch_execz .LBB2_398
; %bb.391:                              ;   in Loop: Header=BB2_353 Depth=4
	v_and_b32_e32 v56, 0xffff, v2
	s_delay_alu instid0(VALU_DEP_1) | instskip(SKIP_1) | instid1(VALU_DEP_2)
	v_and_b32_e32 v18, 0x7c, v56
	v_and_b32_e32 v19, 3, v56
	v_cmp_ne_u32_e64 s13, 0x7c, v18
                                        ; implicit-def: $vgpr18
	s_and_saveexec_b32 s73, s13
	s_delay_alu instid0(SALU_CYCLE_1)
	s_xor_b32 s73, exec_lo, s73
	s_cbranch_execz .LBB2_395
; %bb.392:                              ;   in Loop: Header=BB2_353 Depth=4
	v_bfe_u32 v18, v56, 2, 5
	s_mov_b32 s74, exec_lo
	s_delay_alu instid0(VALU_DEP_1)
	v_cmpx_eq_u32_e32 0, v18
; %bb.393:                              ;   in Loop: Header=BB2_353 Depth=4
	v_clz_i32_u32_e32 v18, v19
	s_delay_alu instid0(VALU_DEP_1) | instskip(NEXT) | instid1(VALU_DEP_1)
	v_min_u32_e32 v18, 32, v18
	v_subrev_nc_u32_e32 v19, 29, v18
	s_delay_alu instid0(VALU_DEP_1) | instskip(NEXT) | instid1(VALU_DEP_1)
	v_lshlrev_b64_e32 v[20:21], v19, v[2:3]
	v_dual_sub_nc_u32 v18, 30, v18 :: v_dual_bitop2_b32 v19, 3, v20 bitop3:0x40
; %bb.394:                              ;   in Loop: Header=BB2_353 Depth=4
	s_or_b32 exec_lo, exec_lo, s74
	v_lshlrev_b32_e32 v2, 16, v12
	s_delay_alu instid0(VALU_DEP_1) | instskip(NEXT) | instid1(VALU_DEP_1)
	v_and_b32_e32 v2, 0x80000000, v2
	v_lshl_add_u32 v2, v18, 23, v2
	s_delay_alu instid0(VALU_DEP_1) | instskip(NEXT) | instid1(VALU_DEP_1)
	v_lshl_or_b32 v2, v19, 21, v2
                                        ; implicit-def: $vgpr19
	v_add_nc_u32_e32 v18, 0x38000000, v2
.LBB2_395:                              ;   in Loop: Header=BB2_353 Depth=4
	s_and_not1_saveexec_b32 s73, s73
; %bb.396:                              ;   in Loop: Header=BB2_353 Depth=4
	v_cmp_lt_i16_e64 s13, -1, v12
	s_delay_alu instid0(VALU_DEP_1) | instskip(SKIP_1) | instid1(VALU_DEP_1)
	v_cndmask_b32_e64 v2, 0xff800000, v109, s13
	v_cmp_eq_u32_e64 s13, 0, v19
	v_cndmask_b32_e64 v18, 0x7f800001, v2, s13
; %bb.397:                              ;   in Loop: Header=BB2_353 Depth=4
	s_or_b32 exec_lo, exec_lo, s73
.LBB2_398:                              ;   in Loop: Header=BB2_353 Depth=4
	s_delay_alu instid0(SALU_CYCLE_1)
	s_or_b32 exec_lo, exec_lo, s72
.LBB2_399:                              ;   in Loop: Header=BB2_353 Depth=4
	s_delay_alu instid0(SALU_CYCLE_1) | instskip(SKIP_3) | instid1(VALU_DEP_1)
	s_or_b32 exec_lo, exec_lo, s14
	v_lshrrev_b16 v2, 8, v8
	s_mov_b32 s72, 0
	s_mov_b32 s14, exec_lo
	v_cmpx_lt_i16_e32 0x7f, v2
	s_xor_b32 s14, exec_lo, s14
	s_cbranch_execz .LBB2_906
; %bb.400:                              ;   in Loop: Header=BB2_353 Depth=4
	s_mov_b32 s72, -1
	s_mov_b32 s73, exec_lo
	v_cmpx_eq_u16_e32 0x80, v2
; %bb.401:                              ;   in Loop: Header=BB2_353 Depth=4
	s_xor_b32 s72, exec_lo, -1
; %bb.402:                              ;   in Loop: Header=BB2_353 Depth=4
	s_or_b32 exec_lo, exec_lo, s73
	s_delay_alu instid0(SALU_CYCLE_1)
	s_and_b32 s72, s72, exec_lo
	s_or_saveexec_b32 s14, s14
	v_bfrev_b32_e32 v19, 1
	s_xor_b32 exec_lo, exec_lo, s14
	s_cbranch_execnz .LBB2_907
.LBB2_403:                              ;   in Loop: Header=BB2_353 Depth=4
	s_or_b32 exec_lo, exec_lo, s14
	s_and_saveexec_b32 s14, s72
	s_cbranch_execz .LBB2_405
.LBB2_404:                              ;   in Loop: Header=BB2_353 Depth=4
	v_and_b32_e32 v19, 0xffff, v2
	s_delay_alu instid0(VALU_DEP_1) | instskip(NEXT) | instid1(VALU_DEP_1)
	v_and_b32_e32 v56, 3, v19
	v_clz_i32_u32_e32 v20, v56
	s_delay_alu instid0(VALU_DEP_1) | instskip(NEXT) | instid1(VALU_DEP_1)
	v_min_u32_e32 v57, 32, v20
	v_subrev_nc_u32_e32 v20, 29, v57
	s_delay_alu instid0(VALU_DEP_1) | instskip(SKIP_3) | instid1(VALU_DEP_3)
	v_lshlrev_b64_e32 v[20:21], v20, v[2:3]
	v_bfe_u32 v21, v19, 2, 5
	v_dual_lshlrev_b32 v2, 24, v2 :: v_dual_sub_nc_u32 v57, 30, v57
	v_and_b32_e32 v19, 0x7c, v19
	v_cmp_eq_u32_e64 s13, 0, v21
	s_delay_alu instid0(VALU_DEP_3) | instskip(NEXT) | instid1(VALU_DEP_2)
	v_and_b32_e32 v2, 0x80000000, v2
	v_dual_cndmask_b32 v21, v21, v57, s13 :: v_dual_bitop2_b32 v20, 3, v20 bitop3:0x40
	s_delay_alu instid0(VALU_DEP_1) | instskip(SKIP_1) | instid1(VALU_DEP_3)
	v_cndmask_b32_e64 v20, v56, v20, s13
	v_cmp_lt_i16_e64 s13, -1, v8
	v_lshl_add_u32 v2, v21, 23, v2
	s_delay_alu instid0(VALU_DEP_2) | instskip(SKIP_1) | instid1(VALU_DEP_3)
	v_cndmask_b32_e64 v21, 0xff800000, v109, s13
	v_cmp_eq_u32_e64 s13, 0, v56
	v_lshl_or_b32 v2, v20, 21, v2
	s_delay_alu instid0(VALU_DEP_2) | instskip(NEXT) | instid1(VALU_DEP_2)
	v_cndmask_b32_e64 v20, 0x7f800001, v21, s13
	v_add_nc_u32_e32 v2, 0x38000000, v2
	v_cmp_eq_u32_e64 s13, 0x7c, v19
	s_delay_alu instid0(VALU_DEP_1)
	v_cndmask_b32_e64 v19, v2, v20, s13
.LBB2_405:                              ;   in Loop: Header=BB2_353 Depth=4
	s_or_b32 exec_lo, exec_lo, s14
	s_delay_alu instid0(VALU_DEP_1) | instskip(SKIP_1) | instid1(VALU_DEP_1)
	v_dual_mul_f32 v19, v18, v19 :: v_dual_mov_b32 v21, v3
                                        ; implicit-def: $vgpr74
	s_mov_b32 s14, exec_lo
	v_and_b32_e32 v20, 0x7f800000, v19
	v_and_b32_e32 v2, 0x7fffff, v19
	v_lshrrev_b32_e32 v18, 24, v19
	s_delay_alu instid0(VALU_DEP_3)
	v_cmpx_ne_u64_e32 0x7f800000, v[20:21]
	s_xor_b32 s72, exec_lo, s14
	s_cbranch_execz .LBB2_419
; %bb.406:                              ;   in Loop: Header=BB2_353 Depth=4
	v_and_b32_e32 v20, 0x7fffffff, v19
	v_mov_b32_e32 v21, v3
	v_and_b32_e32 v18, 0x80, v18
                                        ; implicit-def: $vgpr74
	s_mov_b32 s14, exec_lo
	s_delay_alu instid0(VALU_DEP_2)
	v_cmpx_gt_u64_e32 0x47600001, v[20:21]
	s_xor_b32 s73, exec_lo, s14
	s_cbranch_execz .LBB2_416
; %bb.407:                              ;   in Loop: Header=BB2_353 Depth=4
	v_mov_b32_e32 v74, 0
	s_mov_b32 s74, exec_lo
	v_cmpx_ne_u32_e32 0, v19
	s_cbranch_execz .LBB2_415
; %bb.408:                              ;   in Loop: Header=BB2_353 Depth=4
	v_bfe_u32 v19, v19, 23, 8
	v_or_b32_e32 v56, 0x800000, v2
	s_delay_alu instid0(VALU_DEP_2) | instskip(SKIP_1) | instid1(VALU_DEP_1)
	v_sub_nc_u32_e32 v20, 0x71, v19
	v_cmp_gt_u32_e64 s13, 0x72, v19
	v_cndmask_b32_e64 v20, 0, v20, s13
	v_cmp_eq_u32_e64 s13, 0, v19
	s_delay_alu instid0(VALU_DEP_1) | instskip(NEXT) | instid1(VALU_DEP_3)
	v_cndmask_b32_e64 v2, v56, v2, s13
	v_cndmask_b32_e64 v60, v20, 0x70, s13
	s_delay_alu instid0(VALU_DEP_1) | instskip(NEXT) | instid1(VALU_DEP_1)
	v_dual_add_nc_u32 v20, 21, v60 :: v_dual_add_nc_u32 v57, 20, v60
	v_lshlrev_b64_e64 v[20:21], v20, -1
	s_delay_alu instid0(VALU_DEP_2) | instskip(SKIP_1) | instid1(VALU_DEP_3)
	v_lshlrev_b64_e64 v[58:59], v57, 1
	v_lshrrev_b64 v[56:57], v60, v[2:3]
	v_bfi_b32 v21, v21, 0, 0
	s_delay_alu instid0(VALU_DEP_4) | instskip(NEXT) | instid1(VALU_DEP_1)
	v_bfi_b32 v20, v20, 0, v2
	v_cmp_eq_u64_e64 s14, v[20:21], v[58:59]
	s_delay_alu instid0(VALU_DEP_4)
	v_mov_b64_e32 v[58:59], v[56:57]
	s_and_saveexec_b32 s75, s14
; %bb.409:                              ;   in Loop: Header=BB2_353 Depth=4
	v_bfe_u32 v2, v56, 21, 1
	s_delay_alu instid0(VALU_DEP_1) | instskip(NEXT) | instid1(VALU_DEP_1)
	v_add_nc_u64_e32 v[20:21], v[56:57], v[2:3]
	v_add_nc_u64_e32 v[58:59], -1, v[20:21]
; %bb.410:                              ;   in Loop: Header=BB2_353 Depth=4
	s_or_b32 exec_lo, exec_lo, s75
	v_add_nc_u32_e32 v2, 0xffffff81, v19
	v_lshrrev_b32_e32 v19, 23, v56
	s_mov_b32 s14, exec_lo
	s_delay_alu instid0(VALU_DEP_2) | instskip(NEXT) | instid1(VALU_DEP_1)
	v_cndmask_b32_e64 v2, v2, 0xffffff82, s13
	v_add3_u32 v59, v60, v2, v19
	v_and_b32_e32 v2, 0x1fffff, v58
                                        ; implicit-def: $vgpr19
	s_delay_alu instid0(VALU_DEP_1) | instskip(NEXT) | instid1(VALU_DEP_1)
	v_dual_add_nc_u32 v58, 14, v59 :: v_dual_add_nc_u32 v2, v2, v56
                                        ; implicit-def: $vgpr56_vgpr57
	v_cmpx_ne_u32_e32 0, v58
	s_xor_b32 s14, exec_lo, s14
; %bb.411:                              ;   in Loop: Header=BB2_353 Depth=4
	s_delay_alu instid0(VALU_DEP_2) | instskip(SKIP_1) | instid1(VALU_DEP_2)
	v_cmp_lt_u64_e64 s13, 0xffffff, v[2:3]
	v_add_nc_u32_e32 v19, 15, v59
	v_cndmask_b32_e64 v20, 0, 1, s13
	s_delay_alu instid0(VALU_DEP_2) | instskip(NEXT) | instid1(VALU_DEP_2)
	v_cndmask_b32_e64 v19, v58, v19, s13
	v_lshrrev_b64 v[56:57], v20, v[2:3]
; %bb.412:                              ;   in Loop: Header=BB2_353 Depth=4
	s_and_not1_saveexec_b32 s13, s14
; %bb.413:                              ;   in Loop: Header=BB2_353 Depth=4
	v_mov_b64_e32 v[56:57], v[2:3]
	v_bfe_u32 v19, v2, 23, 1
; %bb.414:                              ;   in Loop: Header=BB2_353 Depth=4
	s_or_b32 exec_lo, exec_lo, s13
	s_delay_alu instid0(VALU_DEP_2) | instskip(NEXT) | instid1(VALU_DEP_2)
	v_lshrrev_b64 v[20:21], 21, v[56:57]
	v_cmp_gt_i32_e64 s13, 32, v19
	v_min_i32_e32 v2, 31, v19
	v_cmp_eq_u32_e64 s14, 0, v19
	s_delay_alu instid0(VALU_DEP_2) | instskip(SKIP_1) | instid1(VALU_DEP_2)
	v_dual_cndmask_b32 v21, 0, v21, s13 :: v_dual_lshlrev_b32 v2, 2, v2
	v_cndmask_b32_e64 v20, 3, v20, s13
	v_and_b32_e32 v2, 0xfc, v2
	s_delay_alu instid0(VALU_DEP_2) | instskip(NEXT) | instid1(VALU_DEP_2)
	v_cmp_eq_u64_e64 s13, 0, v[20:21]
	v_and_or_b32 v2, v20, 3, v2
	s_and_b32 s13, s14, s13
	s_delay_alu instid0(VALU_DEP_1) | instid1(SALU_CYCLE_1)
	v_cndmask_b32_e64 v2, v2, 0, s13
	s_delay_alu instid0(VALU_DEP_1)
	v_or_b32_e32 v74, v2, v18
.LBB2_415:                              ;   in Loop: Header=BB2_353 Depth=4
	s_or_b32 exec_lo, exec_lo, s74
                                        ; implicit-def: $vgpr18
.LBB2_416:                              ;   in Loop: Header=BB2_353 Depth=4
	s_and_not1_saveexec_b32 s13, s73
; %bb.417:                              ;   in Loop: Header=BB2_353 Depth=4
	v_or_b32_e32 v74, 0x7b, v18
; %bb.418:                              ;   in Loop: Header=BB2_353 Depth=4
	s_or_b32 exec_lo, exec_lo, s13
                                        ; implicit-def: $vgpr19
                                        ; implicit-def: $vgpr18
.LBB2_419:                              ;   in Loop: Header=BB2_353 Depth=4
	s_and_not1_saveexec_b32 s14, s72
	s_cbranch_execz .LBB2_425
; %bb.420:                              ;   in Loop: Header=BB2_353 Depth=4
	v_cmp_ne_u64_e64 s13, 0, v[2:3]
                                        ; implicit-def: $vgpr74
	s_and_saveexec_b32 s72, s13
	s_delay_alu instid0(SALU_CYCLE_1)
	s_xor_b32 s13, exec_lo, s72
; %bb.421:                              ;   in Loop: Header=BB2_353 Depth=4
	v_or_b32_e32 v74, 0x7f, v18
                                        ; implicit-def: $vgpr19
; %bb.422:                              ;   in Loop: Header=BB2_353 Depth=4
	s_and_not1_saveexec_b32 s72, s13
; %bb.423:                              ;   in Loop: Header=BB2_353 Depth=4
	v_cmp_lt_i32_e64 s13, -1, v19
	s_delay_alu instid0(VALU_DEP_1)
	v_cndmask_b32_e64 v74, 0xfc, v110, s13
; %bb.424:                              ;   in Loop: Header=BB2_353 Depth=4
	s_or_b32 exec_lo, exec_lo, s72
.LBB2_425:                              ;   in Loop: Header=BB2_353 Depth=4
	s_delay_alu instid0(SALU_CYCLE_1) | instskip(SKIP_2) | instid1(VALU_DEP_1)
	s_or_b32 exec_lo, exec_lo, s14
	v_dual_lshrrev_b32 v2, 16, v12 :: v_dual_mov_b32 v18, 0
	s_mov_b32 s14, exec_lo
	v_and_b32_e32 v19, 0xff, v2
	s_delay_alu instid0(VALU_DEP_1)
	v_cmpx_ne_u16_e32 0, v19
	s_cbranch_execz .LBB2_435
; %bb.426:                              ;   in Loop: Header=BB2_353 Depth=4
	v_bfrev_b32_e32 v18, 1
	s_mov_b32 s72, exec_lo
	v_cmpx_ne_u16_e32 0x80, v19
	s_cbranch_execz .LBB2_434
; %bb.427:                              ;   in Loop: Header=BB2_353 Depth=4
	v_and_b32_e32 v18, 0x7c0000, v12
	v_bfe_u32 v19, v12, 16, 2
	s_delay_alu instid0(VALU_DEP_2) | instskip(SKIP_1) | instid1(SALU_CYCLE_1)
	v_cmp_ne_u32_e64 s13, 0x7c0000, v18
                                        ; implicit-def: $vgpr18
	s_and_saveexec_b32 s73, s13
	s_xor_b32 s73, exec_lo, s73
	s_cbranch_execz .LBB2_431
; %bb.428:                              ;   in Loop: Header=BB2_353 Depth=4
	v_bfe_u32 v18, v12, 18, 5
	s_mov_b32 s74, exec_lo
	s_delay_alu instid0(VALU_DEP_1)
	v_cmpx_eq_u32_e32 0, v18
; %bb.429:                              ;   in Loop: Header=BB2_353 Depth=4
	v_clz_i32_u32_e32 v18, v19
	s_delay_alu instid0(VALU_DEP_1) | instskip(NEXT) | instid1(VALU_DEP_1)
	v_min_u32_e32 v18, 32, v18
	v_subrev_nc_u32_e32 v19, 29, v18
	s_delay_alu instid0(VALU_DEP_1) | instskip(NEXT) | instid1(VALU_DEP_1)
	v_lshlrev_b64_e32 v[20:21], v19, v[2:3]
	v_dual_sub_nc_u32 v18, 30, v18 :: v_dual_bitop2_b32 v19, 3, v20 bitop3:0x40
; %bb.430:                              ;   in Loop: Header=BB2_353 Depth=4
	s_or_b32 exec_lo, exec_lo, s74
	v_lshlrev_b32_e32 v2, 24, v2
	s_delay_alu instid0(VALU_DEP_1) | instskip(NEXT) | instid1(VALU_DEP_1)
	v_and_b32_e32 v2, 0x80000000, v2
	v_lshl_add_u32 v2, v18, 23, v2
	s_delay_alu instid0(VALU_DEP_1) | instskip(NEXT) | instid1(VALU_DEP_1)
	v_lshl_or_b32 v2, v19, 21, v2
                                        ; implicit-def: $vgpr19
	v_add_nc_u32_e32 v18, 0x38000000, v2
                                        ; implicit-def: $vgpr2
.LBB2_431:                              ;   in Loop: Header=BB2_353 Depth=4
	s_and_not1_saveexec_b32 s73, s73
; %bb.432:                              ;   in Loop: Header=BB2_353 Depth=4
	v_bfe_i32 v2, v2, 0, 8
	s_delay_alu instid0(VALU_DEP_1) | instskip(NEXT) | instid1(VALU_DEP_1)
	v_cmp_lt_i16_e64 s13, -1, v2
	v_cndmask_b32_e64 v2, 0xff800000, v109, s13
	v_cmp_eq_u32_e64 s13, 0, v19
	s_delay_alu instid0(VALU_DEP_1)
	v_cndmask_b32_e64 v18, 0x7f800001, v2, s13
; %bb.433:                              ;   in Loop: Header=BB2_353 Depth=4
	s_or_b32 exec_lo, exec_lo, s73
.LBB2_434:                              ;   in Loop: Header=BB2_353 Depth=4
	s_delay_alu instid0(SALU_CYCLE_1)
	s_or_b32 exec_lo, exec_lo, s72
.LBB2_435:                              ;   in Loop: Header=BB2_353 Depth=4
	s_delay_alu instid0(SALU_CYCLE_1) | instskip(SKIP_3) | instid1(VALU_DEP_1)
	s_or_b32 exec_lo, exec_lo, s14
	v_lshrrev_b32_e32 v2, 16, v8
	s_mov_b32 s72, 0
	s_mov_b32 s14, exec_lo
	v_and_b32_e32 v56, 0xff, v2
	s_delay_alu instid0(VALU_DEP_1)
	v_cmpx_lt_i16_e32 0x7f, v56
	s_xor_b32 s14, exec_lo, s14
	s_cbranch_execz .LBB2_908
; %bb.436:                              ;   in Loop: Header=BB2_353 Depth=4
	s_mov_b32 s72, -1
	s_mov_b32 s73, exec_lo
	v_cmpx_eq_u16_e32 0x80, v56
; %bb.437:                              ;   in Loop: Header=BB2_353 Depth=4
	s_xor_b32 s72, exec_lo, -1
; %bb.438:                              ;   in Loop: Header=BB2_353 Depth=4
	s_or_b32 exec_lo, exec_lo, s73
	s_delay_alu instid0(SALU_CYCLE_1)
	s_and_b32 s72, s72, exec_lo
                                        ; implicit-def: $vgpr56
	s_or_saveexec_b32 s14, s14
	v_bfrev_b32_e32 v19, 1
	s_xor_b32 exec_lo, exec_lo, s14
	s_cbranch_execnz .LBB2_909
.LBB2_439:                              ;   in Loop: Header=BB2_353 Depth=4
	s_or_b32 exec_lo, exec_lo, s14
	s_and_saveexec_b32 s14, s72
	s_cbranch_execz .LBB2_441
.LBB2_440:                              ;   in Loop: Header=BB2_353 Depth=4
	v_and_b32_e32 v19, 3, v2
	v_bfe_u32 v57, v8, 18, 5
	s_delay_alu instid0(VALU_DEP_2) | instskip(NEXT) | instid1(VALU_DEP_2)
	v_clz_i32_u32_e32 v20, v19
	v_cmp_eq_u32_e64 s13, 0, v57
	s_delay_alu instid0(VALU_DEP_2) | instskip(NEXT) | instid1(VALU_DEP_1)
	v_min_u32_e32 v56, 32, v20
	v_subrev_nc_u32_e32 v20, 29, v56
	v_sub_nc_u32_e32 v56, 30, v56
	s_delay_alu instid0(VALU_DEP_2) | instskip(NEXT) | instid1(VALU_DEP_2)
	v_lshlrev_b64_e32 v[20:21], v20, v[2:3]
	v_dual_lshlrev_b32 v21, 24, v2 :: v_dual_cndmask_b32 v56, v57, v56, s13
	v_bfe_i32 v2, v2, 0, 8
	s_delay_alu instid0(VALU_DEP_2) | instskip(NEXT) | instid1(VALU_DEP_4)
	v_and_b32_e32 v21, 0x80000000, v21
	v_and_b32_e32 v20, 3, v20
	s_delay_alu instid0(VALU_DEP_2) | instskip(NEXT) | instid1(VALU_DEP_2)
	v_lshl_add_u32 v21, v56, 23, v21
	v_cndmask_b32_e64 v20, v19, v20, s13
	v_cmp_lt_i16_e64 s13, -1, v2
	s_delay_alu instid0(VALU_DEP_2) | instskip(NEXT) | instid1(VALU_DEP_2)
	v_lshl_or_b32 v20, v20, 21, v21
	v_cndmask_b32_e64 v2, 0xff800000, v109, s13
	v_and_b32_e32 v21, 0x7c0000, v8
	v_cmp_eq_u32_e64 s13, 0, v19
	s_delay_alu instid0(VALU_DEP_4) | instskip(NEXT) | instid1(VALU_DEP_2)
	v_add_nc_u32_e32 v19, 0x38000000, v20
	v_cndmask_b32_e64 v2, 0x7f800001, v2, s13
	s_delay_alu instid0(VALU_DEP_4) | instskip(NEXT) | instid1(VALU_DEP_1)
	v_cmp_eq_u32_e64 s13, 0x7c0000, v21
	v_cndmask_b32_e64 v19, v19, v2, s13
.LBB2_441:                              ;   in Loop: Header=BB2_353 Depth=4
	s_or_b32 exec_lo, exec_lo, s14
	s_delay_alu instid0(VALU_DEP_1) | instskip(SKIP_1) | instid1(VALU_DEP_1)
	v_dual_mul_f32 v19, v18, v19 :: v_dual_mov_b32 v21, v3
                                        ; implicit-def: $vgpr75
	s_mov_b32 s14, exec_lo
	v_and_b32_e32 v20, 0x7f800000, v19
	v_and_b32_e32 v2, 0x7fffff, v19
	v_lshrrev_b32_e32 v18, 24, v19
	s_delay_alu instid0(VALU_DEP_3)
	v_cmpx_ne_u64_e32 0x7f800000, v[20:21]
	s_xor_b32 s72, exec_lo, s14
	s_cbranch_execz .LBB2_455
; %bb.442:                              ;   in Loop: Header=BB2_353 Depth=4
	v_and_b32_e32 v20, 0x7fffffff, v19
	v_mov_b32_e32 v21, v3
	v_and_b32_e32 v18, 0x80, v18
                                        ; implicit-def: $vgpr75
	s_mov_b32 s14, exec_lo
	s_delay_alu instid0(VALU_DEP_2)
	v_cmpx_gt_u64_e32 0x47600001, v[20:21]
	s_xor_b32 s73, exec_lo, s14
	s_cbranch_execz .LBB2_452
; %bb.443:                              ;   in Loop: Header=BB2_353 Depth=4
	v_mov_b32_e32 v75, 0
	s_mov_b32 s74, exec_lo
	v_cmpx_ne_u32_e32 0, v19
	s_cbranch_execz .LBB2_451
; %bb.444:                              ;   in Loop: Header=BB2_353 Depth=4
	v_bfe_u32 v19, v19, 23, 8
	v_or_b32_e32 v56, 0x800000, v2
	s_delay_alu instid0(VALU_DEP_2) | instskip(SKIP_1) | instid1(VALU_DEP_1)
	v_sub_nc_u32_e32 v20, 0x71, v19
	v_cmp_gt_u32_e64 s13, 0x72, v19
	v_cndmask_b32_e64 v20, 0, v20, s13
	v_cmp_eq_u32_e64 s13, 0, v19
	s_delay_alu instid0(VALU_DEP_1) | instskip(NEXT) | instid1(VALU_DEP_3)
	v_cndmask_b32_e64 v2, v56, v2, s13
	v_cndmask_b32_e64 v60, v20, 0x70, s13
	s_delay_alu instid0(VALU_DEP_1) | instskip(NEXT) | instid1(VALU_DEP_1)
	v_dual_add_nc_u32 v20, 21, v60 :: v_dual_add_nc_u32 v57, 20, v60
	v_lshlrev_b64_e64 v[20:21], v20, -1
	s_delay_alu instid0(VALU_DEP_2) | instskip(SKIP_1) | instid1(VALU_DEP_3)
	v_lshlrev_b64_e64 v[58:59], v57, 1
	v_lshrrev_b64 v[56:57], v60, v[2:3]
	v_bfi_b32 v21, v21, 0, 0
	s_delay_alu instid0(VALU_DEP_4) | instskip(NEXT) | instid1(VALU_DEP_1)
	v_bfi_b32 v20, v20, 0, v2
	v_cmp_eq_u64_e64 s14, v[20:21], v[58:59]
	s_delay_alu instid0(VALU_DEP_4)
	v_mov_b64_e32 v[58:59], v[56:57]
	s_and_saveexec_b32 s75, s14
; %bb.445:                              ;   in Loop: Header=BB2_353 Depth=4
	v_bfe_u32 v2, v56, 21, 1
	s_delay_alu instid0(VALU_DEP_1) | instskip(NEXT) | instid1(VALU_DEP_1)
	v_add_nc_u64_e32 v[20:21], v[56:57], v[2:3]
	v_add_nc_u64_e32 v[58:59], -1, v[20:21]
; %bb.446:                              ;   in Loop: Header=BB2_353 Depth=4
	s_or_b32 exec_lo, exec_lo, s75
	v_add_nc_u32_e32 v2, 0xffffff81, v19
	v_lshrrev_b32_e32 v19, 23, v56
	s_mov_b32 s14, exec_lo
	s_delay_alu instid0(VALU_DEP_2) | instskip(NEXT) | instid1(VALU_DEP_1)
	v_cndmask_b32_e64 v2, v2, 0xffffff82, s13
	v_add3_u32 v59, v60, v2, v19
	v_and_b32_e32 v2, 0x1fffff, v58
                                        ; implicit-def: $vgpr19
	s_delay_alu instid0(VALU_DEP_1) | instskip(NEXT) | instid1(VALU_DEP_1)
	v_dual_add_nc_u32 v58, 14, v59 :: v_dual_add_nc_u32 v2, v2, v56
                                        ; implicit-def: $vgpr56_vgpr57
	v_cmpx_ne_u32_e32 0, v58
	s_xor_b32 s14, exec_lo, s14
; %bb.447:                              ;   in Loop: Header=BB2_353 Depth=4
	s_delay_alu instid0(VALU_DEP_2) | instskip(SKIP_1) | instid1(VALU_DEP_2)
	v_cmp_lt_u64_e64 s13, 0xffffff, v[2:3]
	v_add_nc_u32_e32 v19, 15, v59
	v_cndmask_b32_e64 v20, 0, 1, s13
	s_delay_alu instid0(VALU_DEP_2) | instskip(NEXT) | instid1(VALU_DEP_2)
	v_cndmask_b32_e64 v19, v58, v19, s13
	v_lshrrev_b64 v[56:57], v20, v[2:3]
; %bb.448:                              ;   in Loop: Header=BB2_353 Depth=4
	s_and_not1_saveexec_b32 s13, s14
; %bb.449:                              ;   in Loop: Header=BB2_353 Depth=4
	v_mov_b64_e32 v[56:57], v[2:3]
	v_bfe_u32 v19, v2, 23, 1
; %bb.450:                              ;   in Loop: Header=BB2_353 Depth=4
	s_or_b32 exec_lo, exec_lo, s13
	s_delay_alu instid0(VALU_DEP_2) | instskip(NEXT) | instid1(VALU_DEP_2)
	v_lshrrev_b64 v[20:21], 21, v[56:57]
	v_cmp_gt_i32_e64 s13, 32, v19
	v_min_i32_e32 v2, 31, v19
	v_cmp_eq_u32_e64 s14, 0, v19
	s_delay_alu instid0(VALU_DEP_2) | instskip(SKIP_1) | instid1(VALU_DEP_2)
	v_dual_cndmask_b32 v21, 0, v21, s13 :: v_dual_lshlrev_b32 v2, 2, v2
	v_cndmask_b32_e64 v20, 3, v20, s13
	v_and_b32_e32 v2, 0xfc, v2
	s_delay_alu instid0(VALU_DEP_2) | instskip(NEXT) | instid1(VALU_DEP_2)
	v_cmp_eq_u64_e64 s13, 0, v[20:21]
	v_and_or_b32 v2, v20, 3, v2
	s_and_b32 s13, s14, s13
	s_delay_alu instid0(VALU_DEP_1) | instid1(SALU_CYCLE_1)
	v_cndmask_b32_e64 v2, v2, 0, s13
	s_delay_alu instid0(VALU_DEP_1)
	v_or_b32_e32 v75, v2, v18
.LBB2_451:                              ;   in Loop: Header=BB2_353 Depth=4
	s_or_b32 exec_lo, exec_lo, s74
                                        ; implicit-def: $vgpr18
.LBB2_452:                              ;   in Loop: Header=BB2_353 Depth=4
	s_and_not1_saveexec_b32 s13, s73
; %bb.453:                              ;   in Loop: Header=BB2_353 Depth=4
	v_or_b32_e32 v75, 0x7b, v18
; %bb.454:                              ;   in Loop: Header=BB2_353 Depth=4
	s_or_b32 exec_lo, exec_lo, s13
                                        ; implicit-def: $vgpr19
                                        ; implicit-def: $vgpr18
.LBB2_455:                              ;   in Loop: Header=BB2_353 Depth=4
	s_and_not1_saveexec_b32 s14, s72
	s_cbranch_execz .LBB2_461
; %bb.456:                              ;   in Loop: Header=BB2_353 Depth=4
	v_cmp_ne_u64_e64 s13, 0, v[2:3]
                                        ; implicit-def: $vgpr75
	s_and_saveexec_b32 s72, s13
	s_delay_alu instid0(SALU_CYCLE_1)
	s_xor_b32 s13, exec_lo, s72
; %bb.457:                              ;   in Loop: Header=BB2_353 Depth=4
	v_or_b32_e32 v75, 0x7f, v18
                                        ; implicit-def: $vgpr19
; %bb.458:                              ;   in Loop: Header=BB2_353 Depth=4
	s_and_not1_saveexec_b32 s72, s13
; %bb.459:                              ;   in Loop: Header=BB2_353 Depth=4
	v_cmp_lt_i32_e64 s13, -1, v19
	s_delay_alu instid0(VALU_DEP_1)
	v_cndmask_b32_e64 v75, 0xfc, v110, s13
; %bb.460:                              ;   in Loop: Header=BB2_353 Depth=4
	s_or_b32 exec_lo, exec_lo, s72
.LBB2_461:                              ;   in Loop: Header=BB2_353 Depth=4
	s_delay_alu instid0(SALU_CYCLE_1)
	s_or_b32 exec_lo, exec_lo, s14
	v_mov_b32_e32 v18, 0
	s_mov_b32 s14, exec_lo
	v_cmpx_lt_u32_e32 0xffffff, v12
	s_cbranch_execz .LBB2_471
; %bb.462:                              ;   in Loop: Header=BB2_353 Depth=4
	v_lshrrev_b32_e32 v2, 24, v12
	v_bfrev_b32_e32 v18, 1
	s_mov_b32 s72, exec_lo
	s_delay_alu instid0(VALU_DEP_2)
	v_cmpx_ne_u32_e32 0x80, v2
	s_cbranch_execz .LBB2_470
; %bb.463:                              ;   in Loop: Header=BB2_353 Depth=4
	v_and_b32_e32 v18, 0x7c000000, v12
	v_bfe_u32 v19, v12, 24, 2
	s_delay_alu instid0(VALU_DEP_2) | instskip(SKIP_1) | instid1(SALU_CYCLE_1)
	v_cmp_ne_u32_e64 s13, 0x7c000000, v18
                                        ; implicit-def: $vgpr18
	s_and_saveexec_b32 s73, s13
	s_xor_b32 s73, exec_lo, s73
	s_cbranch_execz .LBB2_467
; %bb.464:                              ;   in Loop: Header=BB2_353 Depth=4
	v_bfe_u32 v18, v12, 26, 5
	s_mov_b32 s74, exec_lo
	s_delay_alu instid0(VALU_DEP_1)
	v_cmpx_eq_u32_e32 0, v18
; %bb.465:                              ;   in Loop: Header=BB2_353 Depth=4
	v_clz_i32_u32_e32 v18, v19
	s_delay_alu instid0(VALU_DEP_1) | instskip(NEXT) | instid1(VALU_DEP_1)
	v_min_u32_e32 v18, 32, v18
	v_subrev_nc_u32_e32 v19, 29, v18
	s_delay_alu instid0(VALU_DEP_1) | instskip(NEXT) | instid1(VALU_DEP_1)
	v_lshlrev_b64_e32 v[20:21], v19, v[2:3]
	v_dual_sub_nc_u32 v18, 30, v18 :: v_dual_bitop2_b32 v19, 3, v20 bitop3:0x40
; %bb.466:                              ;   in Loop: Header=BB2_353 Depth=4
	s_or_b32 exec_lo, exec_lo, s74
	v_and_b32_e32 v2, 0x80000000, v12
	s_delay_alu instid0(VALU_DEP_1) | instskip(NEXT) | instid1(VALU_DEP_1)
	v_lshl_add_u32 v2, v18, 23, v2
	v_lshl_or_b32 v2, v19, 21, v2
                                        ; implicit-def: $vgpr19
	s_delay_alu instid0(VALU_DEP_1)
	v_add_nc_u32_e32 v18, 0x38000000, v2
.LBB2_467:                              ;   in Loop: Header=BB2_353 Depth=4
	s_and_not1_saveexec_b32 s73, s73
; %bb.468:                              ;   in Loop: Header=BB2_353 Depth=4
	v_cmp_lt_i32_e64 s13, -1, v12
	s_delay_alu instid0(VALU_DEP_1) | instskip(SKIP_1) | instid1(VALU_DEP_1)
	v_cndmask_b32_e64 v2, 0xff800000, v109, s13
	v_cmp_eq_u32_e64 s13, 0, v19
	v_cndmask_b32_e64 v18, 0x7f800001, v2, s13
; %bb.469:                              ;   in Loop: Header=BB2_353 Depth=4
	s_or_b32 exec_lo, exec_lo, s73
.LBB2_470:                              ;   in Loop: Header=BB2_353 Depth=4
	s_delay_alu instid0(SALU_CYCLE_1)
	s_or_b32 exec_lo, exec_lo, s72
.LBB2_471:                              ;   in Loop: Header=BB2_353 Depth=4
	s_delay_alu instid0(SALU_CYCLE_1) | instskip(SKIP_3) | instid1(VALU_DEP_2)
	s_or_b32 exec_lo, exec_lo, s14
	v_bfe_u32 v19, v8, 24, 2
	v_bfe_u32 v57, v8, 26, 5
                                        ; implicit-def: $vgpr76
	s_mov_b32 s14, exec_lo
	v_clz_i32_u32_e32 v2, v19
	s_delay_alu instid0(VALU_DEP_2) | instskip(NEXT) | instid1(VALU_DEP_2)
	v_cmp_eq_u32_e64 s13, 0, v57
	v_min_u32_e32 v56, 32, v2
	v_lshrrev_b32_e32 v2, 24, v8
	s_delay_alu instid0(VALU_DEP_2) | instskip(NEXT) | instid1(VALU_DEP_1)
	v_subrev_nc_u32_e32 v20, 29, v56
	v_lshlrev_b64_e32 v[20:21], v20, v[2:3]
	v_sub_nc_u32_e32 v21, 30, v56
	v_and_b32_e32 v56, 0x80000000, v8
	s_delay_alu instid0(VALU_DEP_2) | instskip(NEXT) | instid1(VALU_DEP_1)
	v_dual_cndmask_b32 v21, v57, v21, s13 :: v_dual_bitop2_b32 v20, 3, v20 bitop3:0x40
	v_lshl_add_u32 v21, v21, 23, v56
	s_delay_alu instid0(VALU_DEP_2) | instskip(SKIP_1) | instid1(VALU_DEP_2)
	v_cndmask_b32_e64 v20, v19, v20, s13
	v_cmp_lt_i32_e64 s13, -1, v8
	v_lshl_or_b32 v20, v20, 21, v21
	s_delay_alu instid0(VALU_DEP_2) | instskip(SKIP_2) | instid1(VALU_DEP_4)
	v_cndmask_b32_e64 v56, 0xff800000, v109, s13
	v_and_b32_e32 v21, 0x7c000000, v8
	v_cmp_eq_u32_e64 s13, 0, v19
	v_add_nc_u32_e32 v20, 0x38000000, v20
	s_delay_alu instid0(VALU_DEP_2) | instskip(NEXT) | instid1(VALU_DEP_4)
	v_cndmask_b32_e64 v19, 0x7f800001, v56, s13
	v_cmp_eq_u32_e64 s13, 0x7c000000, v21
	s_delay_alu instid0(VALU_DEP_1) | instskip(SKIP_1) | instid1(VALU_DEP_1)
	v_dual_mov_b32 v21, v3 :: v_dual_cndmask_b32 v19, v20, v19, s13
	v_cmp_ne_u32_e64 s13, 0x80, v2
	v_cndmask_b32_e64 v2, 0x80000000, v19, s13
	v_cmp_lt_u32_e64 s13, 0xffffff, v8
	s_delay_alu instid0(VALU_DEP_1) | instskip(NEXT) | instid1(VALU_DEP_1)
	v_cndmask_b32_e64 v2, 0, v2, s13
	v_mul_f32_e32 v19, v2, v18
	s_delay_alu instid0(VALU_DEP_1) | instskip(SKIP_2) | instid1(VALU_DEP_3)
	v_and_b32_e32 v20, 0x7f800000, v19
	v_and_b32_e32 v2, 0x7fffff, v19
	v_lshrrev_b32_e32 v18, 24, v19
	v_cmpx_ne_u64_e32 0x7f800000, v[20:21]
	s_xor_b32 s72, exec_lo, s14
	s_cbranch_execz .LBB2_485
; %bb.472:                              ;   in Loop: Header=BB2_353 Depth=4
	v_and_b32_e32 v20, 0x7fffffff, v19
	v_mov_b32_e32 v21, v3
	v_and_b32_e32 v18, 0x80, v18
                                        ; implicit-def: $vgpr76
	s_mov_b32 s14, exec_lo
	s_delay_alu instid0(VALU_DEP_2)
	v_cmpx_gt_u64_e32 0x47600001, v[20:21]
	s_xor_b32 s73, exec_lo, s14
	s_cbranch_execz .LBB2_482
; %bb.473:                              ;   in Loop: Header=BB2_353 Depth=4
	v_mov_b32_e32 v76, 0
	s_mov_b32 s74, exec_lo
	v_cmpx_ne_u32_e32 0, v19
	s_cbranch_execz .LBB2_481
; %bb.474:                              ;   in Loop: Header=BB2_353 Depth=4
	v_bfe_u32 v19, v19, 23, 8
	v_or_b32_e32 v56, 0x800000, v2
	s_delay_alu instid0(VALU_DEP_2) | instskip(SKIP_1) | instid1(VALU_DEP_1)
	v_sub_nc_u32_e32 v20, 0x71, v19
	v_cmp_gt_u32_e64 s13, 0x72, v19
	v_cndmask_b32_e64 v20, 0, v20, s13
	v_cmp_eq_u32_e64 s13, 0, v19
	s_delay_alu instid0(VALU_DEP_1) | instskip(NEXT) | instid1(VALU_DEP_3)
	v_cndmask_b32_e64 v2, v56, v2, s13
	v_cndmask_b32_e64 v60, v20, 0x70, s13
	s_delay_alu instid0(VALU_DEP_1) | instskip(NEXT) | instid1(VALU_DEP_1)
	v_dual_add_nc_u32 v20, 21, v60 :: v_dual_add_nc_u32 v57, 20, v60
	v_lshlrev_b64_e64 v[20:21], v20, -1
	s_delay_alu instid0(VALU_DEP_2) | instskip(SKIP_1) | instid1(VALU_DEP_3)
	v_lshlrev_b64_e64 v[58:59], v57, 1
	v_lshrrev_b64 v[56:57], v60, v[2:3]
	v_bfi_b32 v21, v21, 0, 0
	s_delay_alu instid0(VALU_DEP_4) | instskip(NEXT) | instid1(VALU_DEP_1)
	v_bfi_b32 v20, v20, 0, v2
	v_cmp_eq_u64_e64 s14, v[20:21], v[58:59]
	s_delay_alu instid0(VALU_DEP_4)
	v_mov_b64_e32 v[58:59], v[56:57]
	s_and_saveexec_b32 s75, s14
; %bb.475:                              ;   in Loop: Header=BB2_353 Depth=4
	v_bfe_u32 v2, v56, 21, 1
	s_delay_alu instid0(VALU_DEP_1) | instskip(NEXT) | instid1(VALU_DEP_1)
	v_add_nc_u64_e32 v[20:21], v[56:57], v[2:3]
	v_add_nc_u64_e32 v[58:59], -1, v[20:21]
; %bb.476:                              ;   in Loop: Header=BB2_353 Depth=4
	s_or_b32 exec_lo, exec_lo, s75
	v_add_nc_u32_e32 v2, 0xffffff81, v19
	v_lshrrev_b32_e32 v19, 23, v56
	s_mov_b32 s14, exec_lo
	s_delay_alu instid0(VALU_DEP_2) | instskip(NEXT) | instid1(VALU_DEP_1)
	v_cndmask_b32_e64 v2, v2, 0xffffff82, s13
	v_add3_u32 v59, v60, v2, v19
	v_and_b32_e32 v2, 0x1fffff, v58
                                        ; implicit-def: $vgpr19
	s_delay_alu instid0(VALU_DEP_1) | instskip(NEXT) | instid1(VALU_DEP_1)
	v_dual_add_nc_u32 v58, 14, v59 :: v_dual_add_nc_u32 v2, v2, v56
                                        ; implicit-def: $vgpr56_vgpr57
	v_cmpx_ne_u32_e32 0, v58
	s_xor_b32 s14, exec_lo, s14
; %bb.477:                              ;   in Loop: Header=BB2_353 Depth=4
	s_delay_alu instid0(VALU_DEP_2) | instskip(SKIP_1) | instid1(VALU_DEP_2)
	v_cmp_lt_u64_e64 s13, 0xffffff, v[2:3]
	v_add_nc_u32_e32 v19, 15, v59
	v_cndmask_b32_e64 v20, 0, 1, s13
	s_delay_alu instid0(VALU_DEP_2) | instskip(NEXT) | instid1(VALU_DEP_2)
	v_cndmask_b32_e64 v19, v58, v19, s13
	v_lshrrev_b64 v[56:57], v20, v[2:3]
; %bb.478:                              ;   in Loop: Header=BB2_353 Depth=4
	s_and_not1_saveexec_b32 s13, s14
; %bb.479:                              ;   in Loop: Header=BB2_353 Depth=4
	v_mov_b64_e32 v[56:57], v[2:3]
	v_bfe_u32 v19, v2, 23, 1
; %bb.480:                              ;   in Loop: Header=BB2_353 Depth=4
	s_or_b32 exec_lo, exec_lo, s13
	s_delay_alu instid0(VALU_DEP_2) | instskip(NEXT) | instid1(VALU_DEP_2)
	v_lshrrev_b64 v[20:21], 21, v[56:57]
	v_cmp_gt_i32_e64 s13, 32, v19
	v_min_i32_e32 v2, 31, v19
	v_cmp_eq_u32_e64 s14, 0, v19
	s_delay_alu instid0(VALU_DEP_2) | instskip(SKIP_1) | instid1(VALU_DEP_2)
	v_dual_cndmask_b32 v21, 0, v21, s13 :: v_dual_lshlrev_b32 v2, 2, v2
	v_cndmask_b32_e64 v20, 3, v20, s13
	v_and_b32_e32 v2, 0xfc, v2
	s_delay_alu instid0(VALU_DEP_2) | instskip(NEXT) | instid1(VALU_DEP_2)
	v_cmp_eq_u64_e64 s13, 0, v[20:21]
	v_and_or_b32 v2, v20, 3, v2
	s_and_b32 s13, s14, s13
	s_delay_alu instid0(VALU_DEP_1) | instid1(SALU_CYCLE_1)
	v_cndmask_b32_e64 v2, v2, 0, s13
	s_delay_alu instid0(VALU_DEP_1)
	v_or_b32_e32 v76, v2, v18
.LBB2_481:                              ;   in Loop: Header=BB2_353 Depth=4
	s_or_b32 exec_lo, exec_lo, s74
                                        ; implicit-def: $vgpr18
.LBB2_482:                              ;   in Loop: Header=BB2_353 Depth=4
	s_and_not1_saveexec_b32 s13, s73
; %bb.483:                              ;   in Loop: Header=BB2_353 Depth=4
	v_or_b32_e32 v76, 0x7b, v18
; %bb.484:                              ;   in Loop: Header=BB2_353 Depth=4
	s_or_b32 exec_lo, exec_lo, s13
                                        ; implicit-def: $vgpr19
                                        ; implicit-def: $vgpr18
.LBB2_485:                              ;   in Loop: Header=BB2_353 Depth=4
	s_and_not1_saveexec_b32 s14, s72
	s_cbranch_execz .LBB2_491
; %bb.486:                              ;   in Loop: Header=BB2_353 Depth=4
	v_cmp_ne_u64_e64 s13, 0, v[2:3]
                                        ; implicit-def: $vgpr76
	s_and_saveexec_b32 s72, s13
	s_delay_alu instid0(SALU_CYCLE_1)
	s_xor_b32 s13, exec_lo, s72
; %bb.487:                              ;   in Loop: Header=BB2_353 Depth=4
	v_or_b32_e32 v76, 0x7f, v18
                                        ; implicit-def: $vgpr19
; %bb.488:                              ;   in Loop: Header=BB2_353 Depth=4
	s_and_not1_saveexec_b32 s72, s13
; %bb.489:                              ;   in Loop: Header=BB2_353 Depth=4
	v_cmp_lt_i32_e64 s13, -1, v19
	s_delay_alu instid0(VALU_DEP_1)
	v_cndmask_b32_e64 v76, 0xfc, v110, s13
; %bb.490:                              ;   in Loop: Header=BB2_353 Depth=4
	s_or_b32 exec_lo, exec_lo, s72
.LBB2_491:                              ;   in Loop: Header=BB2_353 Depth=4
	s_delay_alu instid0(SALU_CYCLE_1) | instskip(SKIP_3) | instid1(VALU_DEP_2)
	s_or_b32 exec_lo, exec_lo, s14
	v_and_b32_e32 v19, 0xff, v13
	v_dual_mov_b32 v2, v13 :: v_dual_mov_b32 v18, 0
	s_mov_b32 s14, exec_lo
	v_cmpx_ne_u16_e32 0, v19
	s_cbranch_execz .LBB2_501
; %bb.492:                              ;   in Loop: Header=BB2_353 Depth=4
	v_bfrev_b32_e32 v18, 1
	s_mov_b32 s72, exec_lo
	v_cmpx_ne_u16_e32 0x80, v19
	s_cbranch_execz .LBB2_500
; %bb.493:                              ;   in Loop: Header=BB2_353 Depth=4
	v_and_b32_e32 v18, 0x7c, v13
	v_and_b32_e32 v19, 3, v13
	s_delay_alu instid0(VALU_DEP_2) | instskip(SKIP_1) | instid1(SALU_CYCLE_1)
	v_cmp_ne_u32_e64 s13, 0x7c, v18
                                        ; implicit-def: $vgpr18
	s_and_saveexec_b32 s73, s13
	s_xor_b32 s73, exec_lo, s73
	s_cbranch_execz .LBB2_497
; %bb.494:                              ;   in Loop: Header=BB2_353 Depth=4
	v_bfe_u32 v18, v13, 2, 5
	s_mov_b32 s74, exec_lo
	s_delay_alu instid0(VALU_DEP_1)
	v_cmpx_eq_u32_e32 0, v18
; %bb.495:                              ;   in Loop: Header=BB2_353 Depth=4
	v_clz_i32_u32_e32 v18, v19
	s_delay_alu instid0(VALU_DEP_1) | instskip(NEXT) | instid1(VALU_DEP_1)
	v_min_u32_e32 v18, 32, v18
	v_subrev_nc_u32_e32 v19, 29, v18
	s_delay_alu instid0(VALU_DEP_1) | instskip(NEXT) | instid1(VALU_DEP_1)
	v_lshlrev_b64_e32 v[20:21], v19, v[2:3]
	v_dual_sub_nc_u32 v18, 30, v18 :: v_dual_bitop2_b32 v19, 3, v20 bitop3:0x40
; %bb.496:                              ;   in Loop: Header=BB2_353 Depth=4
	s_or_b32 exec_lo, exec_lo, s74
	v_lshlrev_b32_e32 v20, 24, v13
	s_delay_alu instid0(VALU_DEP_1) | instskip(NEXT) | instid1(VALU_DEP_1)
	v_and_b32_e32 v20, 0x80000000, v20
	v_lshl_add_u32 v18, v18, 23, v20
	s_delay_alu instid0(VALU_DEP_1) | instskip(NEXT) | instid1(VALU_DEP_1)
	v_lshl_or_b32 v18, v19, 21, v18
                                        ; implicit-def: $vgpr19
	v_add_nc_u32_e32 v18, 0x38000000, v18
.LBB2_497:                              ;   in Loop: Header=BB2_353 Depth=4
	s_and_not1_saveexec_b32 s73, s73
; %bb.498:                              ;   in Loop: Header=BB2_353 Depth=4
	v_bfe_i32 v18, v13, 0, 8
	s_delay_alu instid0(VALU_DEP_1) | instskip(NEXT) | instid1(VALU_DEP_1)
	v_cmp_lt_i16_e64 s13, -1, v18
	v_cndmask_b32_e64 v18, 0xff800000, v109, s13
	v_cmp_eq_u32_e64 s13, 0, v19
	s_delay_alu instid0(VALU_DEP_1)
	v_cndmask_b32_e64 v18, 0x7f800001, v18, s13
; %bb.499:                              ;   in Loop: Header=BB2_353 Depth=4
	s_or_b32 exec_lo, exec_lo, s73
.LBB2_500:                              ;   in Loop: Header=BB2_353 Depth=4
	s_delay_alu instid0(SALU_CYCLE_1)
	s_or_b32 exec_lo, exec_lo, s72
.LBB2_501:                              ;   in Loop: Header=BB2_353 Depth=4
	s_delay_alu instid0(SALU_CYCLE_1) | instskip(SKIP_4) | instid1(VALU_DEP_2)
	s_or_b32 exec_lo, exec_lo, s14
	v_and_b32_e32 v57, 0xff, v9
	v_mov_b32_e32 v56, v9
	s_mov_b32 s72, 0
	s_mov_b32 s14, exec_lo
	v_cmpx_lt_i16_e32 0x7f, v57
	s_xor_b32 s14, exec_lo, s14
	s_cbranch_execz .LBB2_910
; %bb.502:                              ;   in Loop: Header=BB2_353 Depth=4
	s_mov_b32 s72, -1
	s_mov_b32 s73, exec_lo
	v_cmpx_eq_u16_e32 0x80, v57
; %bb.503:                              ;   in Loop: Header=BB2_353 Depth=4
	s_xor_b32 s72, exec_lo, -1
; %bb.504:                              ;   in Loop: Header=BB2_353 Depth=4
	s_or_b32 exec_lo, exec_lo, s73
	s_delay_alu instid0(SALU_CYCLE_1)
	s_and_b32 s72, s72, exec_lo
                                        ; implicit-def: $vgpr57
	s_or_saveexec_b32 s14, s14
	v_bfrev_b32_e32 v19, 1
	s_xor_b32 exec_lo, exec_lo, s14
	s_cbranch_execnz .LBB2_911
.LBB2_505:                              ;   in Loop: Header=BB2_353 Depth=4
	s_or_b32 exec_lo, exec_lo, s14
	v_mov_b32_e32 v57, v3
	s_and_saveexec_b32 s14, s72
	s_cbranch_execz .LBB2_507
.LBB2_506:                              ;   in Loop: Header=BB2_353 Depth=4
	v_and_b32_e32 v19, 3, v9
	s_delay_alu instid0(VALU_DEP_1) | instskip(NEXT) | instid1(VALU_DEP_1)
	v_clz_i32_u32_e32 v20, v19
	v_min_u32_e32 v58, 32, v20
	s_delay_alu instid0(VALU_DEP_1) | instskip(NEXT) | instid1(VALU_DEP_1)
	v_subrev_nc_u32_e32 v20, 29, v58
	v_lshlrev_b64_e32 v[20:21], v20, v[56:57]
	v_bfe_u32 v57, v9, 2, 5
	v_dual_lshlrev_b32 v21, 24, v9 :: v_dual_sub_nc_u32 v58, 30, v58
	s_delay_alu instid0(VALU_DEP_2) | instskip(NEXT) | instid1(VALU_DEP_2)
	v_cmp_eq_u32_e64 s13, 0, v57
	v_and_b32_e32 v21, 0x80000000, v21
	s_delay_alu instid0(VALU_DEP_2) | instskip(SKIP_1) | instid1(VALU_DEP_2)
	v_dual_cndmask_b32 v57, v57, v58, s13 :: v_dual_bitop2_b32 v20, 3, v20 bitop3:0x40
	v_bfe_i32 v58, v9, 0, 8
	v_cndmask_b32_e64 v20, v19, v20, s13
	s_delay_alu instid0(VALU_DEP_3) | instskip(NEXT) | instid1(VALU_DEP_3)
	v_lshl_add_u32 v21, v57, 23, v21
	v_cmp_lt_i16_e64 s13, -1, v58
	s_delay_alu instid0(VALU_DEP_2) | instskip(NEXT) | instid1(VALU_DEP_2)
	v_lshl_or_b32 v20, v20, 21, v21
	v_cndmask_b32_e64 v57, 0xff800000, v109, s13
	v_and_b32_e32 v21, 0x7c, v9
	v_cmp_eq_u32_e64 s13, 0, v19
	s_delay_alu instid0(VALU_DEP_4) | instskip(NEXT) | instid1(VALU_DEP_2)
	v_add_nc_u32_e32 v20, 0x38000000, v20
	v_cndmask_b32_e64 v19, 0x7f800001, v57, s13
	s_delay_alu instid0(VALU_DEP_4) | instskip(NEXT) | instid1(VALU_DEP_1)
	v_cmp_eq_u32_e64 s13, 0x7c, v21
	v_cndmask_b32_e64 v19, v20, v19, s13
.LBB2_507:                              ;   in Loop: Header=BB2_353 Depth=4
	s_or_b32 exec_lo, exec_lo, s14
	s_delay_alu instid0(VALU_DEP_1) | instskip(SKIP_2) | instid1(VALU_DEP_2)
	v_dual_mul_f32 v19, v18, v19 :: v_dual_mov_b32 v21, v3
	v_mov_b32_e32 v59, v3
                                        ; implicit-def: $vgpr60
	s_mov_b32 s14, exec_lo
	v_and_b32_e32 v20, 0x7f800000, v19
	v_and_b32_e32 v58, 0x7fffff, v19
	v_lshrrev_b32_e32 v18, 24, v19
	s_delay_alu instid0(VALU_DEP_3)
	v_cmpx_ne_u64_e32 0x7f800000, v[20:21]
	s_xor_b32 s72, exec_lo, s14
	s_cbranch_execz .LBB2_521
; %bb.508:                              ;   in Loop: Header=BB2_353 Depth=4
	v_and_b32_e32 v20, 0x7fffffff, v19
	v_mov_b32_e32 v21, v3
	v_and_b32_e32 v18, 0x80, v18
                                        ; implicit-def: $vgpr60
	s_mov_b32 s14, exec_lo
	s_delay_alu instid0(VALU_DEP_2)
	v_cmpx_gt_u64_e32 0x47600001, v[20:21]
	s_xor_b32 s73, exec_lo, s14
	s_cbranch_execz .LBB2_518
; %bb.509:                              ;   in Loop: Header=BB2_353 Depth=4
	v_mov_b32_e32 v60, 0
	s_mov_b32 s74, exec_lo
	v_cmpx_ne_u32_e32 0, v19
	s_cbranch_execz .LBB2_517
; %bb.510:                              ;   in Loop: Header=BB2_353 Depth=4
	v_bfe_u32 v19, v19, 23, 8
	v_or_b32_e32 v60, 0x800000, v58
	s_delay_alu instid0(VALU_DEP_2) | instskip(SKIP_1) | instid1(VALU_DEP_1)
	v_sub_nc_u32_e32 v20, 0x71, v19
	v_cmp_gt_u32_e64 s13, 0x72, v19
	v_cndmask_b32_e64 v20, 0, v20, s13
	v_cmp_eq_u32_e64 s13, 0, v19
	s_delay_alu instid0(VALU_DEP_1) | instskip(NEXT) | instid1(VALU_DEP_1)
	v_cndmask_b32_e64 v57, v20, 0x70, s13
	v_dual_cndmask_b32 v58, v60, v58, s13 :: v_dual_add_nc_u32 v20, 21, v57
	v_add_nc_u32_e32 v61, 20, v57
	s_delay_alu instid0(VALU_DEP_2) | instskip(NEXT) | instid1(VALU_DEP_2)
	v_lshlrev_b64_e64 v[20:21], v20, -1
	v_lshlrev_b64_e64 v[60:61], v61, 1
	s_delay_alu instid0(VALU_DEP_2) | instskip(SKIP_1) | instid1(VALU_DEP_4)
	v_bfi_b32 v20, v20, 0, v58
	v_lshrrev_b64 v[58:59], v57, v[58:59]
	v_bfi_b32 v21, v21, 0, 0
	s_delay_alu instid0(VALU_DEP_1) | instskip(NEXT) | instid1(VALU_DEP_3)
	v_cmp_eq_u64_e64 s14, v[20:21], v[60:61]
	v_mov_b64_e32 v[60:61], v[58:59]
	s_and_saveexec_b32 s75, s14
; %bb.511:                              ;   in Loop: Header=BB2_353 Depth=4
	v_bfe_u32 v20, v58, 21, 1
	v_mov_b32_e32 v21, v3
	s_delay_alu instid0(VALU_DEP_1) | instskip(NEXT) | instid1(VALU_DEP_1)
	v_add_nc_u64_e32 v[20:21], v[58:59], v[20:21]
	v_add_nc_u64_e32 v[60:61], -1, v[20:21]
; %bb.512:                              ;   in Loop: Header=BB2_353 Depth=4
	s_or_b32 exec_lo, exec_lo, s75
	v_add_nc_u32_e32 v19, 0xffffff81, v19
	v_dual_mov_b32 v59, v3 :: v_dual_lshrrev_b32 v20, 23, v58
	s_mov_b32 s14, exec_lo
	s_delay_alu instid0(VALU_DEP_2) | instskip(NEXT) | instid1(VALU_DEP_1)
	v_cndmask_b32_e64 v19, v19, 0xffffff82, s13
	v_add3_u32 v57, v57, v19, v20
	v_and_b32_e32 v19, 0x1fffff, v60
	s_delay_alu instid0(VALU_DEP_1) | instskip(NEXT) | instid1(VALU_DEP_1)
	v_dual_add_nc_u32 v60, 14, v57 :: v_dual_add_nc_u32 v58, v19, v58
                                        ; implicit-def: $vgpr19
	v_cmpx_ne_u32_e32 0, v60
	s_xor_b32 s14, exec_lo, s14
; %bb.513:                              ;   in Loop: Header=BB2_353 Depth=4
	s_delay_alu instid0(VALU_DEP_2) | instskip(SKIP_1) | instid1(VALU_DEP_2)
	v_cmp_lt_u64_e64 s13, 0xffffff, v[58:59]
	v_add_nc_u32_e32 v19, 15, v57
	v_cndmask_b32_e64 v20, 0, 1, s13
	s_delay_alu instid0(VALU_DEP_2) | instskip(NEXT) | instid1(VALU_DEP_2)
	v_cndmask_b32_e64 v19, v60, v19, s13
	v_lshrrev_b64 v[58:59], v20, v[58:59]
; %bb.514:                              ;   in Loop: Header=BB2_353 Depth=4
	s_and_not1_saveexec_b32 s13, s14
; %bb.515:                              ;   in Loop: Header=BB2_353 Depth=4
	s_delay_alu instid0(VALU_DEP_1)
	v_bfe_u32 v19, v58, 23, 1
; %bb.516:                              ;   in Loop: Header=BB2_353 Depth=4
	s_or_b32 exec_lo, exec_lo, s13
	s_delay_alu instid0(VALU_DEP_2) | instskip(NEXT) | instid1(VALU_DEP_2)
	v_lshrrev_b64 v[20:21], 21, v[58:59]
	v_cmp_gt_i32_e64 s13, 32, v19
	v_min_i32_e32 v57, 31, v19
	v_cmp_eq_u32_e64 s14, 0, v19
	s_delay_alu instid0(VALU_DEP_3) | instskip(NEXT) | instid1(VALU_DEP_3)
	v_cndmask_b32_e64 v21, 0, v21, s13
	v_dual_lshlrev_b32 v57, 2, v57 :: v_dual_cndmask_b32 v20, 3, v20, s13
	s_delay_alu instid0(VALU_DEP_1) | instskip(NEXT) | instid1(VALU_DEP_2)
	v_and_b32_e32 v57, 0xfc, v57
	v_cmp_eq_u64_e64 s13, 0, v[20:21]
	s_delay_alu instid0(VALU_DEP_2)
	v_and_or_b32 v19, v20, 3, v57
	s_and_b32 s13, s14, s13
	s_delay_alu instid0(VALU_DEP_1) | instid1(SALU_CYCLE_1)
	v_cndmask_b32_e64 v19, v19, 0, s13
	s_delay_alu instid0(VALU_DEP_1)
	v_or_b32_e32 v60, v19, v18
.LBB2_517:                              ;   in Loop: Header=BB2_353 Depth=4
	s_or_b32 exec_lo, exec_lo, s74
                                        ; implicit-def: $vgpr18
.LBB2_518:                              ;   in Loop: Header=BB2_353 Depth=4
	s_and_not1_saveexec_b32 s13, s73
; %bb.519:                              ;   in Loop: Header=BB2_353 Depth=4
	v_or_b32_e32 v60, 0x7b, v18
; %bb.520:                              ;   in Loop: Header=BB2_353 Depth=4
	s_or_b32 exec_lo, exec_lo, s13
                                        ; implicit-def: $vgpr19
                                        ; implicit-def: $vgpr58_vgpr59
                                        ; implicit-def: $vgpr18
.LBB2_521:                              ;   in Loop: Header=BB2_353 Depth=4
	s_and_not1_saveexec_b32 s14, s72
	s_cbranch_execz .LBB2_527
; %bb.522:                              ;   in Loop: Header=BB2_353 Depth=4
	v_cmp_ne_u64_e64 s13, 0, v[58:59]
                                        ; implicit-def: $vgpr60
	s_and_saveexec_b32 s72, s13
	s_delay_alu instid0(SALU_CYCLE_1)
	s_xor_b32 s13, exec_lo, s72
; %bb.523:                              ;   in Loop: Header=BB2_353 Depth=4
	v_or_b32_e32 v60, 0x7f, v18
                                        ; implicit-def: $vgpr19
; %bb.524:                              ;   in Loop: Header=BB2_353 Depth=4
	s_and_not1_saveexec_b32 s72, s13
; %bb.525:                              ;   in Loop: Header=BB2_353 Depth=4
	v_cmp_lt_i32_e64 s13, -1, v19
	s_delay_alu instid0(VALU_DEP_1)
	v_cndmask_b32_e64 v60, 0xfc, v110, s13
; %bb.526:                              ;   in Loop: Header=BB2_353 Depth=4
	s_or_b32 exec_lo, exec_lo, s72
.LBB2_527:                              ;   in Loop: Header=BB2_353 Depth=4
	s_delay_alu instid0(SALU_CYCLE_1) | instskip(SKIP_3) | instid1(VALU_DEP_2)
	s_or_b32 exec_lo, exec_lo, s14
	v_lshrrev_b16 v58, 8, v2
	v_mov_b32_e32 v18, 0
	s_mov_b32 s14, exec_lo
	v_cmpx_ne_u16_e32 0, v58
	s_cbranch_execz .LBB2_537
; %bb.528:                              ;   in Loop: Header=BB2_353 Depth=4
	v_bfrev_b32_e32 v18, 1
	s_mov_b32 s72, exec_lo
	v_cmpx_ne_u16_e32 0x80, v58
	s_cbranch_execz .LBB2_536
; %bb.529:                              ;   in Loop: Header=BB2_353 Depth=4
	v_and_b32_e32 v57, 0xffff, v58
	s_delay_alu instid0(VALU_DEP_1) | instskip(SKIP_1) | instid1(VALU_DEP_2)
	v_and_b32_e32 v18, 0x7c, v57
	v_and_b32_e32 v19, 3, v57
	v_cmp_ne_u32_e64 s13, 0x7c, v18
                                        ; implicit-def: $vgpr18
	s_and_saveexec_b32 s73, s13
	s_delay_alu instid0(SALU_CYCLE_1)
	s_xor_b32 s73, exec_lo, s73
	s_cbranch_execz .LBB2_533
; %bb.530:                              ;   in Loop: Header=BB2_353 Depth=4
	v_bfe_u32 v18, v57, 2, 5
	s_mov_b32 s74, exec_lo
	s_delay_alu instid0(VALU_DEP_1)
	v_cmpx_eq_u32_e32 0, v18
	s_cbranch_execz .LBB2_532
; %bb.531:                              ;   in Loop: Header=BB2_353 Depth=4
	v_clz_i32_u32_e32 v18, v19
	s_delay_alu instid0(VALU_DEP_1) | instskip(SKIP_1) | instid1(VALU_DEP_2)
	v_min_u32_e32 v18, 32, v18
	v_mov_b32_e32 v59, v3
	v_subrev_nc_u32_e32 v19, 29, v18
	v_sub_nc_u32_e32 v18, 30, v18
	s_delay_alu instid0(VALU_DEP_2) | instskip(NEXT) | instid1(VALU_DEP_1)
	v_lshlrev_b64_e32 v[20:21], v19, v[58:59]
	v_and_b32_e32 v19, 3, v20
.LBB2_532:                              ;   in Loop: Header=BB2_353 Depth=4
	s_or_b32 exec_lo, exec_lo, s74
	v_lshlrev_b32_e32 v2, 16, v2
	s_delay_alu instid0(VALU_DEP_1) | instskip(NEXT) | instid1(VALU_DEP_1)
	v_and_b32_e32 v2, 0x80000000, v2
	v_lshl_add_u32 v2, v18, 23, v2
	s_delay_alu instid0(VALU_DEP_1) | instskip(NEXT) | instid1(VALU_DEP_1)
	v_lshl_or_b32 v2, v19, 21, v2
                                        ; implicit-def: $vgpr19
	v_add_nc_u32_e32 v18, 0x38000000, v2
.LBB2_533:                              ;   in Loop: Header=BB2_353 Depth=4
	s_and_not1_saveexec_b32 s73, s73
; %bb.534:                              ;   in Loop: Header=BB2_353 Depth=4
	v_cmp_lt_i16_e64 s13, -1, v2
	s_delay_alu instid0(VALU_DEP_1) | instskip(SKIP_1) | instid1(VALU_DEP_1)
	v_cndmask_b32_e64 v2, 0xff800000, v109, s13
	v_cmp_eq_u32_e64 s13, 0, v19
	v_cndmask_b32_e64 v18, 0x7f800001, v2, s13
; %bb.535:                              ;   in Loop: Header=BB2_353 Depth=4
	s_or_b32 exec_lo, exec_lo, s73
.LBB2_536:                              ;   in Loop: Header=BB2_353 Depth=4
	s_delay_alu instid0(SALU_CYCLE_1)
	s_or_b32 exec_lo, exec_lo, s72
.LBB2_537:                              ;   in Loop: Header=BB2_353 Depth=4
	s_delay_alu instid0(SALU_CYCLE_1) | instskip(SKIP_3) | instid1(VALU_DEP_1)
	s_or_b32 exec_lo, exec_lo, s14
	v_lshrrev_b16 v2, 8, v56
	s_mov_b32 s72, 0
	s_mov_b32 s14, exec_lo
	v_cmpx_lt_i16_e32 0x7f, v2
	s_xor_b32 s14, exec_lo, s14
	s_cbranch_execz .LBB2_912
; %bb.538:                              ;   in Loop: Header=BB2_353 Depth=4
	s_mov_b32 s72, -1
	s_mov_b32 s73, exec_lo
	v_cmpx_eq_u16_e32 0x80, v2
; %bb.539:                              ;   in Loop: Header=BB2_353 Depth=4
	s_xor_b32 s72, exec_lo, -1
; %bb.540:                              ;   in Loop: Header=BB2_353 Depth=4
	s_or_b32 exec_lo, exec_lo, s73
	s_delay_alu instid0(SALU_CYCLE_1)
	s_and_b32 s72, s72, exec_lo
	s_or_saveexec_b32 s14, s14
	v_bfrev_b32_e32 v19, 1
	s_xor_b32 exec_lo, exec_lo, s14
	s_cbranch_execnz .LBB2_913
.LBB2_541:                              ;   in Loop: Header=BB2_353 Depth=4
	s_or_b32 exec_lo, exec_lo, s14
	s_and_saveexec_b32 s14, s72
	s_cbranch_execz .LBB2_543
.LBB2_542:                              ;   in Loop: Header=BB2_353 Depth=4
	v_and_b32_e32 v19, 0xffff, v2
	s_delay_alu instid0(VALU_DEP_1) | instskip(NEXT) | instid1(VALU_DEP_1)
	v_and_b32_e32 v57, 3, v19
	v_clz_i32_u32_e32 v20, v57
	s_delay_alu instid0(VALU_DEP_1) | instskip(NEXT) | instid1(VALU_DEP_1)
	v_min_u32_e32 v58, 32, v20
	v_subrev_nc_u32_e32 v20, 29, v58
	s_delay_alu instid0(VALU_DEP_1) | instskip(SKIP_4) | instid1(VALU_DEP_4)
	v_lshlrev_b64_e32 v[20:21], v20, v[2:3]
	v_bfe_u32 v21, v19, 2, 5
	v_lshlrev_b32_e32 v2, 24, v2
	v_sub_nc_u32_e32 v58, 30, v58
	v_and_b32_e32 v19, 0x7c, v19
	v_cmp_eq_u32_e64 s13, 0, v21
	s_delay_alu instid0(VALU_DEP_4) | instskip(NEXT) | instid1(VALU_DEP_2)
	v_and_b32_e32 v2, 0x80000000, v2
	v_dual_cndmask_b32 v21, v21, v58, s13 :: v_dual_bitop2_b32 v20, 3, v20 bitop3:0x40
	s_delay_alu instid0(VALU_DEP_1) | instskip(SKIP_1) | instid1(VALU_DEP_3)
	v_cndmask_b32_e64 v20, v57, v20, s13
	v_cmp_lt_i16_e64 s13, -1, v56
	v_lshl_add_u32 v2, v21, 23, v2
	s_delay_alu instid0(VALU_DEP_2) | instskip(SKIP_1) | instid1(VALU_DEP_3)
	v_cndmask_b32_e64 v21, 0xff800000, v109, s13
	v_cmp_eq_u32_e64 s13, 0, v57
	v_lshl_or_b32 v2, v20, 21, v2
	s_delay_alu instid0(VALU_DEP_2) | instskip(NEXT) | instid1(VALU_DEP_2)
	v_cndmask_b32_e64 v20, 0x7f800001, v21, s13
	v_add_nc_u32_e32 v2, 0x38000000, v2
	v_cmp_eq_u32_e64 s13, 0x7c, v19
	s_delay_alu instid0(VALU_DEP_1)
	v_cndmask_b32_e64 v19, v2, v20, s13
.LBB2_543:                              ;   in Loop: Header=BB2_353 Depth=4
	s_or_b32 exec_lo, exec_lo, s14
	s_delay_alu instid0(VALU_DEP_1) | instskip(SKIP_1) | instid1(VALU_DEP_1)
	v_dual_mul_f32 v19, v18, v19 :: v_dual_mov_b32 v21, v3
                                        ; implicit-def: $vgpr61
	s_mov_b32 s14, exec_lo
	v_and_b32_e32 v20, 0x7f800000, v19
	v_and_b32_e32 v2, 0x7fffff, v19
	v_lshrrev_b32_e32 v18, 24, v19
	s_delay_alu instid0(VALU_DEP_3)
	v_cmpx_ne_u64_e32 0x7f800000, v[20:21]
	s_xor_b32 s72, exec_lo, s14
	s_cbranch_execz .LBB2_557
; %bb.544:                              ;   in Loop: Header=BB2_353 Depth=4
	v_and_b32_e32 v20, 0x7fffffff, v19
	v_mov_b32_e32 v21, v3
	v_and_b32_e32 v18, 0x80, v18
                                        ; implicit-def: $vgpr61
	s_mov_b32 s14, exec_lo
	s_delay_alu instid0(VALU_DEP_2)
	v_cmpx_gt_u64_e32 0x47600001, v[20:21]
	s_xor_b32 s73, exec_lo, s14
	s_cbranch_execz .LBB2_554
; %bb.545:                              ;   in Loop: Header=BB2_353 Depth=4
	v_mov_b32_e32 v61, 0
	s_mov_b32 s74, exec_lo
	v_cmpx_ne_u32_e32 0, v19
	s_cbranch_execz .LBB2_553
; %bb.546:                              ;   in Loop: Header=BB2_353 Depth=4
	v_bfe_u32 v19, v19, 23, 8
	v_or_b32_e32 v56, 0x800000, v2
	s_delay_alu instid0(VALU_DEP_2) | instskip(SKIP_1) | instid1(VALU_DEP_1)
	v_sub_nc_u32_e32 v20, 0x71, v19
	v_cmp_gt_u32_e64 s13, 0x72, v19
	v_cndmask_b32_e64 v20, 0, v20, s13
	v_cmp_eq_u32_e64 s13, 0, v19
	s_delay_alu instid0(VALU_DEP_1) | instskip(NEXT) | instid1(VALU_DEP_1)
	v_cndmask_b32_e64 v61, v20, 0x70, s13
	v_dual_cndmask_b32 v2, v56, v2, s13 :: v_dual_add_nc_u32 v20, 21, v61
	v_add_nc_u32_e32 v57, 20, v61
	s_delay_alu instid0(VALU_DEP_2) | instskip(NEXT) | instid1(VALU_DEP_2)
	v_lshlrev_b64_e64 v[20:21], v20, -1
	v_lshlrev_b64_e64 v[58:59], v57, 1
	s_delay_alu instid0(VALU_DEP_4) | instskip(NEXT) | instid1(VALU_DEP_3)
	v_lshrrev_b64 v[56:57], v61, v[2:3]
	v_bfi_b32 v21, v21, 0, 0
	s_delay_alu instid0(VALU_DEP_4) | instskip(NEXT) | instid1(VALU_DEP_1)
	v_bfi_b32 v20, v20, 0, v2
	v_cmp_eq_u64_e64 s14, v[20:21], v[58:59]
	s_delay_alu instid0(VALU_DEP_4)
	v_mov_b64_e32 v[58:59], v[56:57]
	s_and_saveexec_b32 s75, s14
; %bb.547:                              ;   in Loop: Header=BB2_353 Depth=4
	v_bfe_u32 v2, v56, 21, 1
	s_delay_alu instid0(VALU_DEP_1) | instskip(NEXT) | instid1(VALU_DEP_1)
	v_add_nc_u64_e32 v[20:21], v[56:57], v[2:3]
	v_add_nc_u64_e32 v[58:59], -1, v[20:21]
; %bb.548:                              ;   in Loop: Header=BB2_353 Depth=4
	s_or_b32 exec_lo, exec_lo, s75
	v_add_nc_u32_e32 v2, 0xffffff81, v19
	v_lshrrev_b32_e32 v19, 23, v56
	s_mov_b32 s14, exec_lo
	s_delay_alu instid0(VALU_DEP_2) | instskip(NEXT) | instid1(VALU_DEP_1)
	v_cndmask_b32_e64 v2, v2, 0xffffff82, s13
	v_add3_u32 v59, v61, v2, v19
	v_and_b32_e32 v2, 0x1fffff, v58
                                        ; implicit-def: $vgpr19
	s_delay_alu instid0(VALU_DEP_1) | instskip(NEXT) | instid1(VALU_DEP_1)
	v_dual_add_nc_u32 v58, 14, v59 :: v_dual_add_nc_u32 v2, v2, v56
                                        ; implicit-def: $vgpr56_vgpr57
	v_cmpx_ne_u32_e32 0, v58
	s_xor_b32 s14, exec_lo, s14
; %bb.549:                              ;   in Loop: Header=BB2_353 Depth=4
	s_delay_alu instid0(VALU_DEP_2) | instskip(SKIP_1) | instid1(VALU_DEP_2)
	v_cmp_lt_u64_e64 s13, 0xffffff, v[2:3]
	v_add_nc_u32_e32 v19, 15, v59
	v_cndmask_b32_e64 v20, 0, 1, s13
	s_delay_alu instid0(VALU_DEP_2) | instskip(NEXT) | instid1(VALU_DEP_2)
	v_cndmask_b32_e64 v19, v58, v19, s13
	v_lshrrev_b64 v[56:57], v20, v[2:3]
; %bb.550:                              ;   in Loop: Header=BB2_353 Depth=4
	s_and_not1_saveexec_b32 s13, s14
; %bb.551:                              ;   in Loop: Header=BB2_353 Depth=4
	v_mov_b64_e32 v[56:57], v[2:3]
	v_bfe_u32 v19, v2, 23, 1
; %bb.552:                              ;   in Loop: Header=BB2_353 Depth=4
	s_or_b32 exec_lo, exec_lo, s13
	s_delay_alu instid0(VALU_DEP_2) | instskip(NEXT) | instid1(VALU_DEP_2)
	v_lshrrev_b64 v[20:21], 21, v[56:57]
	v_cmp_gt_i32_e64 s13, 32, v19
	v_min_i32_e32 v2, 31, v19
	v_cmp_eq_u32_e64 s14, 0, v19
	s_delay_alu instid0(VALU_DEP_2) | instskip(SKIP_1) | instid1(VALU_DEP_2)
	v_dual_cndmask_b32 v21, 0, v21, s13 :: v_dual_lshlrev_b32 v2, 2, v2
	v_cndmask_b32_e64 v20, 3, v20, s13
	v_and_b32_e32 v2, 0xfc, v2
	s_delay_alu instid0(VALU_DEP_2) | instskip(NEXT) | instid1(VALU_DEP_2)
	v_cmp_eq_u64_e64 s13, 0, v[20:21]
	v_and_or_b32 v2, v20, 3, v2
	s_and_b32 s13, s14, s13
	s_delay_alu instid0(VALU_DEP_1) | instid1(SALU_CYCLE_1)
	v_cndmask_b32_e64 v2, v2, 0, s13
	s_delay_alu instid0(VALU_DEP_1)
	v_or_b32_e32 v61, v2, v18
.LBB2_553:                              ;   in Loop: Header=BB2_353 Depth=4
	s_or_b32 exec_lo, exec_lo, s74
                                        ; implicit-def: $vgpr18
.LBB2_554:                              ;   in Loop: Header=BB2_353 Depth=4
	s_and_not1_saveexec_b32 s13, s73
; %bb.555:                              ;   in Loop: Header=BB2_353 Depth=4
	v_or_b32_e32 v61, 0x7b, v18
; %bb.556:                              ;   in Loop: Header=BB2_353 Depth=4
	s_or_b32 exec_lo, exec_lo, s13
                                        ; implicit-def: $vgpr19
                                        ; implicit-def: $vgpr18
.LBB2_557:                              ;   in Loop: Header=BB2_353 Depth=4
	s_and_not1_saveexec_b32 s14, s72
	s_cbranch_execz .LBB2_563
; %bb.558:                              ;   in Loop: Header=BB2_353 Depth=4
	v_cmp_ne_u64_e64 s13, 0, v[2:3]
                                        ; implicit-def: $vgpr61
	s_and_saveexec_b32 s72, s13
	s_delay_alu instid0(SALU_CYCLE_1)
	s_xor_b32 s13, exec_lo, s72
; %bb.559:                              ;   in Loop: Header=BB2_353 Depth=4
	v_or_b32_e32 v61, 0x7f, v18
                                        ; implicit-def: $vgpr19
; %bb.560:                              ;   in Loop: Header=BB2_353 Depth=4
	s_and_not1_saveexec_b32 s72, s13
; %bb.561:                              ;   in Loop: Header=BB2_353 Depth=4
	v_cmp_lt_i32_e64 s13, -1, v19
	s_delay_alu instid0(VALU_DEP_1)
	v_cndmask_b32_e64 v61, 0xfc, v110, s13
; %bb.562:                              ;   in Loop: Header=BB2_353 Depth=4
	s_or_b32 exec_lo, exec_lo, s72
.LBB2_563:                              ;   in Loop: Header=BB2_353 Depth=4
	s_delay_alu instid0(SALU_CYCLE_1) | instskip(SKIP_2) | instid1(VALU_DEP_1)
	s_or_b32 exec_lo, exec_lo, s14
	v_dual_lshrrev_b32 v2, 16, v13 :: v_dual_mov_b32 v18, 0
	s_mov_b32 s14, exec_lo
	v_and_b32_e32 v19, 0xff, v2
	s_delay_alu instid0(VALU_DEP_1)
	v_cmpx_ne_u16_e32 0, v19
	s_cbranch_execz .LBB2_573
; %bb.564:                              ;   in Loop: Header=BB2_353 Depth=4
	v_bfrev_b32_e32 v18, 1
	s_mov_b32 s72, exec_lo
	v_cmpx_ne_u16_e32 0x80, v19
	s_cbranch_execz .LBB2_572
; %bb.565:                              ;   in Loop: Header=BB2_353 Depth=4
	v_and_b32_e32 v18, 0x7c0000, v13
	v_bfe_u32 v19, v13, 16, 2
	s_delay_alu instid0(VALU_DEP_2) | instskip(SKIP_1) | instid1(SALU_CYCLE_1)
	v_cmp_ne_u32_e64 s13, 0x7c0000, v18
                                        ; implicit-def: $vgpr18
	s_and_saveexec_b32 s73, s13
	s_xor_b32 s73, exec_lo, s73
	s_cbranch_execz .LBB2_569
; %bb.566:                              ;   in Loop: Header=BB2_353 Depth=4
	v_bfe_u32 v18, v13, 18, 5
	s_mov_b32 s74, exec_lo
	s_delay_alu instid0(VALU_DEP_1)
	v_cmpx_eq_u32_e32 0, v18
; %bb.567:                              ;   in Loop: Header=BB2_353 Depth=4
	v_clz_i32_u32_e32 v18, v19
	s_delay_alu instid0(VALU_DEP_1) | instskip(NEXT) | instid1(VALU_DEP_1)
	v_min_u32_e32 v18, 32, v18
	v_subrev_nc_u32_e32 v19, 29, v18
	s_delay_alu instid0(VALU_DEP_1) | instskip(NEXT) | instid1(VALU_DEP_1)
	v_lshlrev_b64_e32 v[20:21], v19, v[2:3]
	v_dual_sub_nc_u32 v18, 30, v18 :: v_dual_bitop2_b32 v19, 3, v20 bitop3:0x40
; %bb.568:                              ;   in Loop: Header=BB2_353 Depth=4
	s_or_b32 exec_lo, exec_lo, s74
	v_lshlrev_b32_e32 v2, 24, v2
	s_delay_alu instid0(VALU_DEP_1) | instskip(NEXT) | instid1(VALU_DEP_1)
	v_and_b32_e32 v2, 0x80000000, v2
	v_lshl_add_u32 v2, v18, 23, v2
	s_delay_alu instid0(VALU_DEP_1) | instskip(NEXT) | instid1(VALU_DEP_1)
	v_lshl_or_b32 v2, v19, 21, v2
                                        ; implicit-def: $vgpr19
	v_add_nc_u32_e32 v18, 0x38000000, v2
                                        ; implicit-def: $vgpr2
.LBB2_569:                              ;   in Loop: Header=BB2_353 Depth=4
	s_and_not1_saveexec_b32 s73, s73
; %bb.570:                              ;   in Loop: Header=BB2_353 Depth=4
	v_bfe_i32 v2, v2, 0, 8
	s_delay_alu instid0(VALU_DEP_1) | instskip(NEXT) | instid1(VALU_DEP_1)
	v_cmp_lt_i16_e64 s13, -1, v2
	v_cndmask_b32_e64 v2, 0xff800000, v109, s13
	v_cmp_eq_u32_e64 s13, 0, v19
	s_delay_alu instid0(VALU_DEP_1)
	v_cndmask_b32_e64 v18, 0x7f800001, v2, s13
; %bb.571:                              ;   in Loop: Header=BB2_353 Depth=4
	s_or_b32 exec_lo, exec_lo, s73
.LBB2_572:                              ;   in Loop: Header=BB2_353 Depth=4
	s_delay_alu instid0(SALU_CYCLE_1)
	s_or_b32 exec_lo, exec_lo, s72
.LBB2_573:                              ;   in Loop: Header=BB2_353 Depth=4
	s_delay_alu instid0(SALU_CYCLE_1) | instskip(SKIP_3) | instid1(VALU_DEP_1)
	s_or_b32 exec_lo, exec_lo, s14
	v_lshrrev_b32_e32 v2, 16, v9
	s_mov_b32 s72, 0
	s_mov_b32 s14, exec_lo
	v_and_b32_e32 v56, 0xff, v2
	s_delay_alu instid0(VALU_DEP_1)
	v_cmpx_lt_i16_e32 0x7f, v56
	s_xor_b32 s14, exec_lo, s14
	s_cbranch_execz .LBB2_914
; %bb.574:                              ;   in Loop: Header=BB2_353 Depth=4
	s_mov_b32 s72, -1
	s_mov_b32 s73, exec_lo
	v_cmpx_eq_u16_e32 0x80, v56
; %bb.575:                              ;   in Loop: Header=BB2_353 Depth=4
	s_xor_b32 s72, exec_lo, -1
; %bb.576:                              ;   in Loop: Header=BB2_353 Depth=4
	s_or_b32 exec_lo, exec_lo, s73
	s_delay_alu instid0(SALU_CYCLE_1)
	s_and_b32 s72, s72, exec_lo
                                        ; implicit-def: $vgpr56
	s_or_saveexec_b32 s14, s14
	v_bfrev_b32_e32 v19, 1
	s_xor_b32 exec_lo, exec_lo, s14
	s_cbranch_execnz .LBB2_915
.LBB2_577:                              ;   in Loop: Header=BB2_353 Depth=4
	s_or_b32 exec_lo, exec_lo, s14
	s_and_saveexec_b32 s14, s72
	s_cbranch_execz .LBB2_579
.LBB2_578:                              ;   in Loop: Header=BB2_353 Depth=4
	v_and_b32_e32 v19, 3, v2
	v_bfe_u32 v57, v9, 18, 5
	s_delay_alu instid0(VALU_DEP_2) | instskip(NEXT) | instid1(VALU_DEP_2)
	v_clz_i32_u32_e32 v20, v19
	v_cmp_eq_u32_e64 s13, 0, v57
	s_delay_alu instid0(VALU_DEP_2) | instskip(NEXT) | instid1(VALU_DEP_1)
	v_min_u32_e32 v56, 32, v20
	v_subrev_nc_u32_e32 v20, 29, v56
	v_sub_nc_u32_e32 v56, 30, v56
	s_delay_alu instid0(VALU_DEP_2) | instskip(NEXT) | instid1(VALU_DEP_2)
	v_lshlrev_b64_e32 v[20:21], v20, v[2:3]
	v_dual_lshlrev_b32 v21, 24, v2 :: v_dual_cndmask_b32 v56, v57, v56, s13
	v_bfe_i32 v2, v2, 0, 8
	s_delay_alu instid0(VALU_DEP_2) | instskip(NEXT) | instid1(VALU_DEP_4)
	v_and_b32_e32 v21, 0x80000000, v21
	v_and_b32_e32 v20, 3, v20
	s_delay_alu instid0(VALU_DEP_2) | instskip(NEXT) | instid1(VALU_DEP_2)
	v_lshl_add_u32 v21, v56, 23, v21
	v_cndmask_b32_e64 v20, v19, v20, s13
	v_cmp_lt_i16_e64 s13, -1, v2
	s_delay_alu instid0(VALU_DEP_2) | instskip(NEXT) | instid1(VALU_DEP_2)
	v_lshl_or_b32 v20, v20, 21, v21
	v_cndmask_b32_e64 v2, 0xff800000, v109, s13
	v_and_b32_e32 v21, 0x7c0000, v9
	v_cmp_eq_u32_e64 s13, 0, v19
	s_delay_alu instid0(VALU_DEP_4) | instskip(NEXT) | instid1(VALU_DEP_2)
	v_add_nc_u32_e32 v19, 0x38000000, v20
	v_cndmask_b32_e64 v2, 0x7f800001, v2, s13
	s_delay_alu instid0(VALU_DEP_4) | instskip(NEXT) | instid1(VALU_DEP_1)
	v_cmp_eq_u32_e64 s13, 0x7c0000, v21
	v_cndmask_b32_e64 v19, v19, v2, s13
.LBB2_579:                              ;   in Loop: Header=BB2_353 Depth=4
	s_or_b32 exec_lo, exec_lo, s14
	s_delay_alu instid0(VALU_DEP_1) | instskip(SKIP_1) | instid1(VALU_DEP_1)
	v_dual_mul_f32 v19, v18, v19 :: v_dual_mov_b32 v21, v3
                                        ; implicit-def: $vgpr58
	s_mov_b32 s14, exec_lo
	v_and_b32_e32 v20, 0x7f800000, v19
	v_and_b32_e32 v2, 0x7fffff, v19
	v_lshrrev_b32_e32 v18, 24, v19
	s_delay_alu instid0(VALU_DEP_3)
	v_cmpx_ne_u64_e32 0x7f800000, v[20:21]
	s_xor_b32 s72, exec_lo, s14
	s_cbranch_execz .LBB2_593
; %bb.580:                              ;   in Loop: Header=BB2_353 Depth=4
	v_and_b32_e32 v20, 0x7fffffff, v19
	v_mov_b32_e32 v21, v3
	v_and_b32_e32 v18, 0x80, v18
                                        ; implicit-def: $vgpr58
	s_mov_b32 s14, exec_lo
	s_delay_alu instid0(VALU_DEP_2)
	v_cmpx_gt_u64_e32 0x47600001, v[20:21]
	s_xor_b32 s73, exec_lo, s14
	s_cbranch_execz .LBB2_590
; %bb.581:                              ;   in Loop: Header=BB2_353 Depth=4
	v_mov_b32_e32 v58, 0
	s_mov_b32 s74, exec_lo
	v_cmpx_ne_u32_e32 0, v19
	s_cbranch_execz .LBB2_589
; %bb.582:                              ;   in Loop: Header=BB2_353 Depth=4
	v_bfe_u32 v19, v19, 23, 8
	v_or_b32_e32 v56, 0x800000, v2
	s_delay_alu instid0(VALU_DEP_2) | instskip(SKIP_1) | instid1(VALU_DEP_1)
	v_sub_nc_u32_e32 v20, 0x71, v19
	v_cmp_gt_u32_e64 s13, 0x72, v19
	v_cndmask_b32_e64 v20, 0, v20, s13
	v_cmp_eq_u32_e64 s13, 0, v19
	s_delay_alu instid0(VALU_DEP_1) | instskip(NEXT) | instid1(VALU_DEP_1)
	v_cndmask_b32_e64 v77, v20, 0x70, s13
	v_dual_cndmask_b32 v2, v56, v2, s13 :: v_dual_add_nc_u32 v20, 21, v77
	v_add_nc_u32_e32 v57, 20, v77
	s_delay_alu instid0(VALU_DEP_2) | instskip(NEXT) | instid1(VALU_DEP_2)
	v_lshlrev_b64_e64 v[20:21], v20, -1
	v_lshlrev_b64_e64 v[58:59], v57, 1
	s_delay_alu instid0(VALU_DEP_4) | instskip(NEXT) | instid1(VALU_DEP_3)
	v_lshrrev_b64 v[56:57], v77, v[2:3]
	v_bfi_b32 v21, v21, 0, 0
	s_delay_alu instid0(VALU_DEP_4) | instskip(NEXT) | instid1(VALU_DEP_1)
	v_bfi_b32 v20, v20, 0, v2
	v_cmp_eq_u64_e64 s14, v[20:21], v[58:59]
	s_delay_alu instid0(VALU_DEP_4)
	v_mov_b64_e32 v[58:59], v[56:57]
	s_and_saveexec_b32 s75, s14
; %bb.583:                              ;   in Loop: Header=BB2_353 Depth=4
	v_bfe_u32 v2, v56, 21, 1
	s_delay_alu instid0(VALU_DEP_1) | instskip(NEXT) | instid1(VALU_DEP_1)
	v_add_nc_u64_e32 v[20:21], v[56:57], v[2:3]
	v_add_nc_u64_e32 v[58:59], -1, v[20:21]
; %bb.584:                              ;   in Loop: Header=BB2_353 Depth=4
	s_or_b32 exec_lo, exec_lo, s75
	v_add_nc_u32_e32 v2, 0xffffff81, v19
	v_lshrrev_b32_e32 v19, 23, v56
	s_mov_b32 s14, exec_lo
	s_delay_alu instid0(VALU_DEP_2) | instskip(NEXT) | instid1(VALU_DEP_1)
	v_cndmask_b32_e64 v2, v2, 0xffffff82, s13
	v_add3_u32 v59, v77, v2, v19
	v_and_b32_e32 v2, 0x1fffff, v58
                                        ; implicit-def: $vgpr19
	s_delay_alu instid0(VALU_DEP_1) | instskip(NEXT) | instid1(VALU_DEP_1)
	v_dual_add_nc_u32 v58, 14, v59 :: v_dual_add_nc_u32 v2, v2, v56
                                        ; implicit-def: $vgpr56_vgpr57
	v_cmpx_ne_u32_e32 0, v58
	s_xor_b32 s14, exec_lo, s14
; %bb.585:                              ;   in Loop: Header=BB2_353 Depth=4
	s_delay_alu instid0(VALU_DEP_2) | instskip(SKIP_1) | instid1(VALU_DEP_2)
	v_cmp_lt_u64_e64 s13, 0xffffff, v[2:3]
	v_add_nc_u32_e32 v19, 15, v59
	v_cndmask_b32_e64 v20, 0, 1, s13
	s_delay_alu instid0(VALU_DEP_2) | instskip(NEXT) | instid1(VALU_DEP_2)
	v_cndmask_b32_e64 v19, v58, v19, s13
	v_lshrrev_b64 v[56:57], v20, v[2:3]
; %bb.586:                              ;   in Loop: Header=BB2_353 Depth=4
	s_and_not1_saveexec_b32 s13, s14
; %bb.587:                              ;   in Loop: Header=BB2_353 Depth=4
	v_mov_b64_e32 v[56:57], v[2:3]
	v_bfe_u32 v19, v2, 23, 1
; %bb.588:                              ;   in Loop: Header=BB2_353 Depth=4
	s_or_b32 exec_lo, exec_lo, s13
	s_delay_alu instid0(VALU_DEP_2) | instskip(NEXT) | instid1(VALU_DEP_2)
	v_lshrrev_b64 v[20:21], 21, v[56:57]
	v_cmp_gt_i32_e64 s13, 32, v19
	v_min_i32_e32 v2, 31, v19
	v_cmp_eq_u32_e64 s14, 0, v19
	s_delay_alu instid0(VALU_DEP_2) | instskip(SKIP_1) | instid1(VALU_DEP_2)
	v_dual_cndmask_b32 v21, 0, v21, s13 :: v_dual_lshlrev_b32 v2, 2, v2
	v_cndmask_b32_e64 v20, 3, v20, s13
	v_and_b32_e32 v2, 0xfc, v2
	s_delay_alu instid0(VALU_DEP_2) | instskip(NEXT) | instid1(VALU_DEP_2)
	v_cmp_eq_u64_e64 s13, 0, v[20:21]
	v_and_or_b32 v2, v20, 3, v2
	s_and_b32 s13, s14, s13
	s_delay_alu instid0(VALU_DEP_1) | instid1(SALU_CYCLE_1)
	v_cndmask_b32_e64 v2, v2, 0, s13
	s_delay_alu instid0(VALU_DEP_1)
	v_or_b32_e32 v58, v2, v18
.LBB2_589:                              ;   in Loop: Header=BB2_353 Depth=4
	s_or_b32 exec_lo, exec_lo, s74
                                        ; implicit-def: $vgpr18
.LBB2_590:                              ;   in Loop: Header=BB2_353 Depth=4
	s_and_not1_saveexec_b32 s13, s73
; %bb.591:                              ;   in Loop: Header=BB2_353 Depth=4
	v_or_b32_e32 v58, 0x7b, v18
; %bb.592:                              ;   in Loop: Header=BB2_353 Depth=4
	s_or_b32 exec_lo, exec_lo, s13
                                        ; implicit-def: $vgpr19
                                        ; implicit-def: $vgpr18
.LBB2_593:                              ;   in Loop: Header=BB2_353 Depth=4
	s_and_not1_saveexec_b32 s14, s72
	s_cbranch_execz .LBB2_599
; %bb.594:                              ;   in Loop: Header=BB2_353 Depth=4
	v_cmp_ne_u64_e64 s13, 0, v[2:3]
                                        ; implicit-def: $vgpr58
	s_and_saveexec_b32 s72, s13
	s_delay_alu instid0(SALU_CYCLE_1)
	s_xor_b32 s13, exec_lo, s72
; %bb.595:                              ;   in Loop: Header=BB2_353 Depth=4
	v_or_b32_e32 v58, 0x7f, v18
                                        ; implicit-def: $vgpr19
; %bb.596:                              ;   in Loop: Header=BB2_353 Depth=4
	s_and_not1_saveexec_b32 s72, s13
; %bb.597:                              ;   in Loop: Header=BB2_353 Depth=4
	v_cmp_lt_i32_e64 s13, -1, v19
	s_delay_alu instid0(VALU_DEP_1)
	v_cndmask_b32_e64 v58, 0xfc, v110, s13
; %bb.598:                              ;   in Loop: Header=BB2_353 Depth=4
	s_or_b32 exec_lo, exec_lo, s72
.LBB2_599:                              ;   in Loop: Header=BB2_353 Depth=4
	s_delay_alu instid0(SALU_CYCLE_1)
	s_or_b32 exec_lo, exec_lo, s14
	v_mov_b32_e32 v18, 0
	s_mov_b32 s14, exec_lo
	v_cmpx_lt_u64_e64 s[22:23], v[12:13]
	s_cbranch_execz .LBB2_609
; %bb.600:                              ;   in Loop: Header=BB2_353 Depth=4
	v_lshrrev_b32_e32 v2, 24, v13
	v_bfrev_b32_e32 v18, 1
	s_mov_b32 s72, exec_lo
	s_delay_alu instid0(VALU_DEP_2)
	v_cmpx_ne_u32_e32 0x80, v2
	s_cbranch_execz .LBB2_608
; %bb.601:                              ;   in Loop: Header=BB2_353 Depth=4
	v_and_b32_e32 v18, 0x7c000000, v13
	v_bfe_u32 v19, v13, 24, 2
	s_delay_alu instid0(VALU_DEP_2) | instskip(SKIP_1) | instid1(SALU_CYCLE_1)
	v_cmp_ne_u32_e64 s13, 0x7c000000, v18
                                        ; implicit-def: $vgpr18
	s_and_saveexec_b32 s73, s13
	s_xor_b32 s73, exec_lo, s73
	s_cbranch_execz .LBB2_605
; %bb.602:                              ;   in Loop: Header=BB2_353 Depth=4
	v_bfe_u32 v18, v13, 26, 5
	s_mov_b32 s74, exec_lo
	s_delay_alu instid0(VALU_DEP_1)
	v_cmpx_eq_u32_e32 0, v18
; %bb.603:                              ;   in Loop: Header=BB2_353 Depth=4
	v_clz_i32_u32_e32 v18, v19
	s_delay_alu instid0(VALU_DEP_1) | instskip(NEXT) | instid1(VALU_DEP_1)
	v_min_u32_e32 v18, 32, v18
	v_subrev_nc_u32_e32 v19, 29, v18
	s_delay_alu instid0(VALU_DEP_1) | instskip(NEXT) | instid1(VALU_DEP_1)
	v_lshlrev_b64_e32 v[20:21], v19, v[2:3]
	v_dual_sub_nc_u32 v18, 30, v18 :: v_dual_bitop2_b32 v19, 3, v20 bitop3:0x40
; %bb.604:                              ;   in Loop: Header=BB2_353 Depth=4
	s_or_b32 exec_lo, exec_lo, s74
	v_and_b32_e32 v2, 0x80000000, v13
	s_delay_alu instid0(VALU_DEP_1) | instskip(NEXT) | instid1(VALU_DEP_1)
	v_lshl_add_u32 v2, v18, 23, v2
	v_lshl_or_b32 v2, v19, 21, v2
                                        ; implicit-def: $vgpr19
	s_delay_alu instid0(VALU_DEP_1)
	v_add_nc_u32_e32 v18, 0x38000000, v2
.LBB2_605:                              ;   in Loop: Header=BB2_353 Depth=4
	s_and_not1_saveexec_b32 s73, s73
; %bb.606:                              ;   in Loop: Header=BB2_353 Depth=4
	v_cmp_lt_i64_e64 s13, -1, v[12:13]
	s_delay_alu instid0(VALU_DEP_1) | instskip(SKIP_1) | instid1(VALU_DEP_1)
	v_cndmask_b32_e64 v2, 0xff800000, v109, s13
	v_cmp_eq_u32_e64 s13, 0, v19
	v_cndmask_b32_e64 v18, 0x7f800001, v2, s13
; %bb.607:                              ;   in Loop: Header=BB2_353 Depth=4
	s_or_b32 exec_lo, exec_lo, s73
.LBB2_608:                              ;   in Loop: Header=BB2_353 Depth=4
	s_delay_alu instid0(SALU_CYCLE_1)
	s_or_b32 exec_lo, exec_lo, s72
.LBB2_609:                              ;   in Loop: Header=BB2_353 Depth=4
	s_delay_alu instid0(SALU_CYCLE_1) | instskip(SKIP_3) | instid1(VALU_DEP_2)
	s_or_b32 exec_lo, exec_lo, s14
	v_bfe_u32 v19, v9, 24, 2
	v_bfe_u32 v21, v9, 26, 5
	s_mov_b32 s14, exec_lo
	v_clz_i32_u32_e32 v2, v19
	s_delay_alu instid0(VALU_DEP_2) | instskip(NEXT) | instid1(VALU_DEP_2)
	v_cmp_eq_u32_e64 s13, 0, v21
	v_min_u32_e32 v20, 32, v2
	v_lshrrev_b32_e32 v2, 24, v9
	s_delay_alu instid0(VALU_DEP_2) | instskip(NEXT) | instid1(VALU_DEP_1)
	v_subrev_nc_u32_e32 v12, 29, v20
	v_lshlrev_b64_e32 v[12:13], v12, v[2:3]
	v_sub_nc_u32_e32 v13, 30, v20
	v_and_b32_e32 v20, 0x80000000, v9
	s_delay_alu instid0(VALU_DEP_2) | instskip(NEXT) | instid1(VALU_DEP_1)
	v_dual_cndmask_b32 v13, v21, v13, s13 :: v_dual_bitop2_b32 v12, 3, v12 bitop3:0x40
	v_lshl_add_u32 v13, v13, 23, v20
	s_delay_alu instid0(VALU_DEP_2) | instskip(SKIP_1) | instid1(VALU_DEP_2)
	v_cndmask_b32_e64 v12, v19, v12, s13
	v_cmp_lt_i64_e64 s13, -1, v[8:9]
	v_lshl_or_b32 v12, v12, 21, v13
	v_and_b32_e32 v13, 0x7c000000, v9
	s_delay_alu instid0(VALU_DEP_3) | instskip(SKIP_1) | instid1(VALU_DEP_4)
	v_cndmask_b32_e64 v20, 0xff800000, v109, s13
	v_cmp_eq_u32_e64 s13, 0, v19
	v_add_nc_u32_e32 v12, 0x38000000, v12
	s_delay_alu instid0(VALU_DEP_2) | instskip(SKIP_1) | instid1(VALU_DEP_1)
	v_cndmask_b32_e64 v19, 0x7f800001, v20, s13
	v_cmp_eq_u32_e64 s13, 0x7c000000, v13
	v_dual_mov_b32 v13, v3 :: v_dual_cndmask_b32 v12, v12, v19, s13
	v_cmp_ne_u32_e64 s13, 0x80, v2
	s_delay_alu instid0(VALU_DEP_1) | instskip(SKIP_1) | instid1(VALU_DEP_1)
	v_cndmask_b32_e64 v2, 0x80000000, v12, s13
	v_cmp_lt_u64_e64 s13, s[22:23], v[8:9]
	v_cndmask_b32_e64 v2, 0, v2, s13
	s_delay_alu instid0(VALU_DEP_1) | instskip(NEXT) | instid1(VALU_DEP_1)
	v_mul_f32_e32 v8, v2, v18
                                        ; implicit-def: $vgpr18
	v_and_b32_e32 v12, 0x7f800000, v8
	v_and_b32_e32 v2, 0x7fffff, v8
	v_lshrrev_b32_e32 v9, 24, v8
	s_delay_alu instid0(VALU_DEP_3)
	v_cmpx_ne_u64_e32 0x7f800000, v[12:13]
	s_xor_b32 s72, exec_lo, s14
	s_cbranch_execz .LBB2_623
; %bb.610:                              ;   in Loop: Header=BB2_353 Depth=4
	v_and_b32_e32 v12, 0x7fffffff, v8
	v_mov_b32_e32 v13, v3
	v_and_b32_e32 v19, 0x80, v9
                                        ; implicit-def: $vgpr18
	s_mov_b32 s14, exec_lo
	s_delay_alu instid0(VALU_DEP_2)
	v_cmpx_gt_u64_e32 0x47600001, v[12:13]
	s_xor_b32 s73, exec_lo, s14
	s_cbranch_execz .LBB2_620
; %bb.611:                              ;   in Loop: Header=BB2_353 Depth=4
	v_mov_b32_e32 v18, 0
	s_mov_b32 s74, exec_lo
	v_cmpx_ne_u32_e32 0, v8
	s_cbranch_execz .LBB2_619
; %bb.612:                              ;   in Loop: Header=BB2_353 Depth=4
	v_bfe_u32 v18, v8, 23, 8
	v_or_b32_e32 v12, 0x800000, v2
	s_delay_alu instid0(VALU_DEP_2) | instskip(SKIP_1) | instid1(VALU_DEP_1)
	v_sub_nc_u32_e32 v8, 0x71, v18
	v_cmp_gt_u32_e64 s13, 0x72, v18
	v_cndmask_b32_e64 v8, 0, v8, s13
	v_cmp_eq_u32_e64 s13, 0, v18
	s_delay_alu instid0(VALU_DEP_1) | instskip(NEXT) | instid1(VALU_DEP_3)
	v_cndmask_b32_e64 v2, v12, v2, s13
	v_cndmask_b32_e64 v56, v8, 0x70, s13
	s_delay_alu instid0(VALU_DEP_1) | instskip(NEXT) | instid1(VALU_DEP_1)
	v_dual_add_nc_u32 v8, 21, v56 :: v_dual_add_nc_u32 v13, 20, v56
	v_lshlrev_b64_e64 v[8:9], v8, -1
	s_delay_alu instid0(VALU_DEP_2) | instskip(NEXT) | instid1(VALU_DEP_2)
	v_lshlrev_b64_e64 v[12:13], v13, 1
	v_bfi_b32 v21, v9, 0, 0
	s_delay_alu instid0(VALU_DEP_3) | instskip(SKIP_1) | instid1(VALU_DEP_2)
	v_bfi_b32 v20, v8, 0, v2
	v_lshrrev_b64 v[8:9], v56, v[2:3]
	v_cmp_eq_u64_e64 s14, v[20:21], v[12:13]
	s_delay_alu instid0(VALU_DEP_2)
	v_mov_b64_e32 v[12:13], v[8:9]
	s_and_saveexec_b32 s75, s14
; %bb.613:                              ;   in Loop: Header=BB2_353 Depth=4
	v_bfe_u32 v2, v8, 21, 1
	s_delay_alu instid0(VALU_DEP_1) | instskip(NEXT) | instid1(VALU_DEP_1)
	v_add_nc_u64_e32 v[12:13], v[8:9], v[2:3]
	v_add_nc_u64_e32 v[12:13], -1, v[12:13]
; %bb.614:                              ;   in Loop: Header=BB2_353 Depth=4
	s_or_b32 exec_lo, exec_lo, s75
	v_add_nc_u32_e32 v2, 0xffffff81, v18
	v_lshrrev_b32_e32 v9, 23, v8
	s_mov_b32 s14, exec_lo
	s_delay_alu instid0(VALU_DEP_2) | instskip(NEXT) | instid1(VALU_DEP_1)
	v_cndmask_b32_e64 v2, v2, 0xffffff82, s13
	v_add3_u32 v13, v56, v2, v9
	v_and_b32_e32 v2, 0x1fffff, v12
                                        ; implicit-def: $vgpr12
	s_delay_alu instid0(VALU_DEP_1) | instskip(NEXT) | instid1(VALU_DEP_1)
	v_dual_add_nc_u32 v18, 14, v13 :: v_dual_add_nc_u32 v2, v2, v8
                                        ; implicit-def: $vgpr8_vgpr9
	v_cmpx_ne_u32_e32 0, v18
	s_xor_b32 s14, exec_lo, s14
; %bb.615:                              ;   in Loop: Header=BB2_353 Depth=4
	s_delay_alu instid0(VALU_DEP_2) | instskip(SKIP_1) | instid1(VALU_DEP_1)
	v_cmp_lt_u64_e64 s13, 0xffffff, v[2:3]
	v_add_nc_u32_e32 v8, 15, v13
	v_cndmask_b32_e64 v12, v18, v8, s13
	v_cndmask_b32_e64 v8, 0, 1, s13
	s_delay_alu instid0(VALU_DEP_1)
	v_lshrrev_b64 v[8:9], v8, v[2:3]
; %bb.616:                              ;   in Loop: Header=BB2_353 Depth=4
	s_and_not1_saveexec_b32 s13, s14
; %bb.617:                              ;   in Loop: Header=BB2_353 Depth=4
	v_mov_b64_e32 v[8:9], v[2:3]
	v_bfe_u32 v12, v2, 23, 1
; %bb.618:                              ;   in Loop: Header=BB2_353 Depth=4
	s_or_b32 exec_lo, exec_lo, s13
	s_delay_alu instid0(VALU_DEP_2) | instskip(NEXT) | instid1(VALU_DEP_2)
	v_lshrrev_b64 v[8:9], 21, v[8:9]
	v_cmp_gt_i32_e64 s13, 32, v12
	v_min_i32_e32 v2, 31, v12
	v_cmp_eq_u32_e64 s14, 0, v12
	s_delay_alu instid0(VALU_DEP_2) | instskip(SKIP_1) | instid1(VALU_DEP_2)
	v_dual_cndmask_b32 v9, 0, v9, s13 :: v_dual_lshlrev_b32 v2, 2, v2
	v_cndmask_b32_e64 v8, 3, v8, s13
	v_and_b32_e32 v2, 0xfc, v2
	s_delay_alu instid0(VALU_DEP_2) | instskip(NEXT) | instid1(VALU_DEP_2)
	v_cmp_eq_u64_e64 s13, 0, v[8:9]
	v_and_or_b32 v2, v8, 3, v2
	s_and_b32 s13, s14, s13
	s_delay_alu instid0(VALU_DEP_1) | instid1(SALU_CYCLE_1)
	v_cndmask_b32_e64 v2, v2, 0, s13
	s_delay_alu instid0(VALU_DEP_1)
	v_or_b32_e32 v18, v2, v19
.LBB2_619:                              ;   in Loop: Header=BB2_353 Depth=4
	s_or_b32 exec_lo, exec_lo, s74
                                        ; implicit-def: $vgpr19
.LBB2_620:                              ;   in Loop: Header=BB2_353 Depth=4
	s_and_not1_saveexec_b32 s13, s73
; %bb.621:                              ;   in Loop: Header=BB2_353 Depth=4
	v_or_b32_e32 v18, 0x7b, v19
; %bb.622:                              ;   in Loop: Header=BB2_353 Depth=4
	s_or_b32 exec_lo, exec_lo, s13
                                        ; implicit-def: $vgpr8
                                        ; implicit-def: $vgpr9
.LBB2_623:                              ;   in Loop: Header=BB2_353 Depth=4
	s_and_not1_saveexec_b32 s14, s72
	s_cbranch_execz .LBB2_629
; %bb.624:                              ;   in Loop: Header=BB2_353 Depth=4
	v_cmp_ne_u64_e64 s13, 0, v[2:3]
                                        ; implicit-def: $vgpr18
	s_and_saveexec_b32 s72, s13
	s_delay_alu instid0(SALU_CYCLE_1)
	s_xor_b32 s13, exec_lo, s72
; %bb.625:                              ;   in Loop: Header=BB2_353 Depth=4
	v_or_b32_e32 v18, 0x7f, v9
                                        ; implicit-def: $vgpr8
; %bb.626:                              ;   in Loop: Header=BB2_353 Depth=4
	s_and_not1_saveexec_b32 s72, s13
; %bb.627:                              ;   in Loop: Header=BB2_353 Depth=4
	v_cmp_lt_i32_e64 s13, -1, v8
	s_delay_alu instid0(VALU_DEP_1)
	v_cndmask_b32_e64 v18, 0xfc, v110, s13
; %bb.628:                              ;   in Loop: Header=BB2_353 Depth=4
	s_or_b32 exec_lo, exec_lo, s72
.LBB2_629:                              ;   in Loop: Header=BB2_353 Depth=4
	s_delay_alu instid0(SALU_CYCLE_1) | instskip(SKIP_1) | instid1(VALU_DEP_1)
	s_or_b32 exec_lo, exec_lo, s14
	v_and_b32_e32 v2, 0xff, v14
	v_cmp_ne_u16_e64 s13, 0, v2
	v_mov_b32_e32 v2, 0
	s_and_saveexec_b32 s14, s13
	s_cbranch_execz .LBB2_639
; %bb.630:                              ;   in Loop: Header=BB2_353 Depth=4
	v_bfe_i32 v9, v14, 0, 8
	v_bfrev_b32_e32 v2, 1
	s_mov_b32 s72, exec_lo
	s_delay_alu instid0(VALU_DEP_2)
	v_cmpx_ne_u16_e32 0xff80, v9
	s_cbranch_execz .LBB2_638
; %bb.631:                              ;   in Loop: Header=BB2_353 Depth=4
	v_and_b32_e32 v2, 0x7c, v14
	v_and_b32_e32 v8, 3, v14
	s_delay_alu instid0(VALU_DEP_2) | instskip(SKIP_1) | instid1(SALU_CYCLE_1)
	v_cmp_ne_u32_e64 s13, 0x7c, v2
                                        ; implicit-def: $vgpr2
	s_and_saveexec_b32 s73, s13
	s_xor_b32 s73, exec_lo, s73
	s_cbranch_execz .LBB2_635
; %bb.632:                              ;   in Loop: Header=BB2_353 Depth=4
	v_bfe_u32 v2, v14, 2, 5
	s_mov_b32 s74, exec_lo
	s_delay_alu instid0(VALU_DEP_1)
	v_cmpx_eq_u32_e32 0, v2
; %bb.633:                              ;   in Loop: Header=BB2_353 Depth=4
	v_clz_i32_u32_e32 v2, v8
	s_delay_alu instid0(VALU_DEP_1) | instskip(NEXT) | instid1(VALU_DEP_1)
	v_min_u32_e32 v2, 32, v2
	v_subrev_nc_u32_e32 v8, 29, v2
	s_delay_alu instid0(VALU_DEP_1) | instskip(NEXT) | instid1(VALU_DEP_1)
	v_lshlrev_b64_e32 v[8:9], v8, v[14:15]
	v_dual_sub_nc_u32 v2, 30, v2 :: v_dual_bitop2_b32 v8, 3, v8 bitop3:0x40
; %bb.634:                              ;   in Loop: Header=BB2_353 Depth=4
	s_or_b32 exec_lo, exec_lo, s74
	v_lshlrev_b32_e32 v9, 24, v14
	s_delay_alu instid0(VALU_DEP_1) | instskip(NEXT) | instid1(VALU_DEP_1)
	v_and_b32_e32 v9, 0x80000000, v9
	v_lshl_add_u32 v2, v2, 23, v9
                                        ; implicit-def: $vgpr9
	s_delay_alu instid0(VALU_DEP_1) | instskip(NEXT) | instid1(VALU_DEP_1)
	v_lshl_or_b32 v2, v8, 21, v2
                                        ; implicit-def: $vgpr8
	v_add_nc_u32_e32 v2, 0x38000000, v2
.LBB2_635:                              ;   in Loop: Header=BB2_353 Depth=4
	s_and_not1_saveexec_b32 s73, s73
; %bb.636:                              ;   in Loop: Header=BB2_353 Depth=4
	v_cmp_lt_i16_e64 s13, -1, v9
	s_delay_alu instid0(VALU_DEP_1) | instskip(SKIP_1) | instid1(VALU_DEP_1)
	v_cndmask_b32_e64 v2, 0xff800000, v109, s13
	v_cmp_eq_u32_e64 s13, 0, v8
	v_cndmask_b32_e64 v2, 0x7f800001, v2, s13
; %bb.637:                              ;   in Loop: Header=BB2_353 Depth=4
	s_or_b32 exec_lo, exec_lo, s73
.LBB2_638:                              ;   in Loop: Header=BB2_353 Depth=4
	s_delay_alu instid0(SALU_CYCLE_1)
	s_or_b32 exec_lo, exec_lo, s72
.LBB2_639:                              ;   in Loop: Header=BB2_353 Depth=4
	s_delay_alu instid0(SALU_CYCLE_1) | instskip(SKIP_3) | instid1(VALU_DEP_1)
	s_or_b32 exec_lo, exec_lo, s14
	v_and_b32_e32 v9, 0xff, v10
	s_mov_b32 s72, 0
	s_mov_b32 s14, exec_lo
	v_cmpx_lt_i16_e32 0x7f, v9
	s_xor_b32 s14, exec_lo, s14
	s_cbranch_execz .LBB2_916
; %bb.640:                              ;   in Loop: Header=BB2_353 Depth=4
	s_mov_b32 s72, -1
	s_mov_b32 s73, exec_lo
	v_cmpx_eq_u16_e32 0x80, v9
; %bb.641:                              ;   in Loop: Header=BB2_353 Depth=4
	s_xor_b32 s72, exec_lo, -1
; %bb.642:                              ;   in Loop: Header=BB2_353 Depth=4
	s_or_b32 exec_lo, exec_lo, s73
	s_delay_alu instid0(SALU_CYCLE_1)
	s_and_b32 s72, s72, exec_lo
                                        ; implicit-def: $vgpr9
	s_or_saveexec_b32 s14, s14
	v_bfrev_b32_e32 v8, 1
	s_xor_b32 exec_lo, exec_lo, s14
	s_cbranch_execnz .LBB2_917
.LBB2_643:                              ;   in Loop: Header=BB2_353 Depth=4
	s_or_b32 exec_lo, exec_lo, s14
	s_and_saveexec_b32 s14, s72
	s_cbranch_execz .LBB2_645
.LBB2_644:                              ;   in Loop: Header=BB2_353 Depth=4
	v_and_b32_e32 v12, 3, v10
	v_bfe_u32 v19, v10, 2, 5
	s_delay_alu instid0(VALU_DEP_2) | instskip(NEXT) | instid1(VALU_DEP_2)
	v_clz_i32_u32_e32 v8, v12
	v_cmp_eq_u32_e64 s13, 0, v19
	s_delay_alu instid0(VALU_DEP_2) | instskip(NEXT) | instid1(VALU_DEP_1)
	v_min_u32_e32 v13, 32, v8
	v_subrev_nc_u32_e32 v8, 29, v13
	s_delay_alu instid0(VALU_DEP_1) | instskip(SKIP_1) | instid1(VALU_DEP_1)
	v_lshlrev_b64_e32 v[8:9], v8, v[10:11]
	v_dual_lshlrev_b32 v9, 24, v10 :: v_dual_sub_nc_u32 v13, 30, v13
	v_and_b32_e32 v9, 0x80000000, v9
	s_delay_alu instid0(VALU_DEP_2) | instskip(SKIP_1) | instid1(VALU_DEP_2)
	v_dual_cndmask_b32 v13, v19, v13, s13 :: v_dual_bitop2_b32 v8, 3, v8 bitop3:0x40
	v_bfe_i32 v19, v10, 0, 8
	v_cndmask_b32_e64 v8, v12, v8, s13
	s_delay_alu instid0(VALU_DEP_3) | instskip(NEXT) | instid1(VALU_DEP_3)
	v_lshl_add_u32 v9, v13, 23, v9
	v_cmp_lt_i16_e64 s13, -1, v19
	s_delay_alu instid0(VALU_DEP_2) | instskip(NEXT) | instid1(VALU_DEP_2)
	v_lshl_or_b32 v8, v8, 21, v9
	v_cndmask_b32_e64 v13, 0xff800000, v109, s13
	v_and_b32_e32 v9, 0x7c, v10
	v_cmp_eq_u32_e64 s13, 0, v12
	s_delay_alu instid0(VALU_DEP_4) | instskip(NEXT) | instid1(VALU_DEP_2)
	v_add_nc_u32_e32 v8, 0x38000000, v8
	v_cndmask_b32_e64 v12, 0x7f800001, v13, s13
	s_delay_alu instid0(VALU_DEP_4) | instskip(NEXT) | instid1(VALU_DEP_1)
	v_cmp_eq_u32_e64 s13, 0x7c, v9
	v_cndmask_b32_e64 v8, v8, v12, s13
.LBB2_645:                              ;   in Loop: Header=BB2_353 Depth=4
	s_or_b32 exec_lo, exec_lo, s14
	s_delay_alu instid0(VALU_DEP_1) | instskip(SKIP_1) | instid1(VALU_DEP_1)
	v_dual_mul_f32 v8, v2, v8 :: v_dual_mov_b32 v13, v3
                                        ; implicit-def: $vgpr19
	s_mov_b32 s14, exec_lo
	v_and_b32_e32 v12, 0x7f800000, v8
	v_and_b32_e32 v2, 0x7fffff, v8
	v_lshrrev_b32_e32 v9, 24, v8
	s_delay_alu instid0(VALU_DEP_3)
	v_cmpx_ne_u64_e32 0x7f800000, v[12:13]
	s_xor_b32 s72, exec_lo, s14
	s_cbranch_execz .LBB2_659
; %bb.646:                              ;   in Loop: Header=BB2_353 Depth=4
	v_and_b32_e32 v12, 0x7fffffff, v8
	v_mov_b32_e32 v13, v3
	v_and_b32_e32 v56, 0x80, v9
                                        ; implicit-def: $vgpr19
	s_mov_b32 s14, exec_lo
	s_delay_alu instid0(VALU_DEP_2)
	v_cmpx_gt_u64_e32 0x47600001, v[12:13]
	s_xor_b32 s73, exec_lo, s14
	s_cbranch_execz .LBB2_656
; %bb.647:                              ;   in Loop: Header=BB2_353 Depth=4
	v_mov_b32_e32 v19, 0
	s_mov_b32 s74, exec_lo
	v_cmpx_ne_u32_e32 0, v8
	s_cbranch_execz .LBB2_655
; %bb.648:                              ;   in Loop: Header=BB2_353 Depth=4
	v_bfe_u32 v19, v8, 23, 8
	v_or_b32_e32 v12, 0x800000, v2
	s_delay_alu instid0(VALU_DEP_2) | instskip(SKIP_1) | instid1(VALU_DEP_1)
	v_sub_nc_u32_e32 v8, 0x71, v19
	v_cmp_gt_u32_e64 s13, 0x72, v19
	v_cndmask_b32_e64 v8, 0, v8, s13
	v_cmp_eq_u32_e64 s13, 0, v19
	s_delay_alu instid0(VALU_DEP_1) | instskip(NEXT) | instid1(VALU_DEP_1)
	v_cndmask_b32_e64 v57, v8, 0x70, s13
	v_dual_cndmask_b32 v2, v12, v2, s13 :: v_dual_add_nc_u32 v8, 21, v57
	v_add_nc_u32_e32 v13, 20, v57
	s_delay_alu instid0(VALU_DEP_2) | instskip(NEXT) | instid1(VALU_DEP_2)
	v_lshlrev_b64_e64 v[8:9], v8, -1
	v_lshlrev_b64_e64 v[12:13], v13, 1
	s_delay_alu instid0(VALU_DEP_2) | instskip(NEXT) | instid1(VALU_DEP_3)
	v_bfi_b32 v21, v9, 0, 0
	v_bfi_b32 v20, v8, 0, v2
	v_lshrrev_b64 v[8:9], v57, v[2:3]
	s_delay_alu instid0(VALU_DEP_2) | instskip(NEXT) | instid1(VALU_DEP_2)
	v_cmp_eq_u64_e64 s14, v[20:21], v[12:13]
	v_mov_b64_e32 v[12:13], v[8:9]
	s_and_saveexec_b32 s75, s14
; %bb.649:                              ;   in Loop: Header=BB2_353 Depth=4
	v_bfe_u32 v2, v8, 21, 1
	s_delay_alu instid0(VALU_DEP_1) | instskip(NEXT) | instid1(VALU_DEP_1)
	v_add_nc_u64_e32 v[12:13], v[8:9], v[2:3]
	v_add_nc_u64_e32 v[12:13], -1, v[12:13]
; %bb.650:                              ;   in Loop: Header=BB2_353 Depth=4
	s_or_b32 exec_lo, exec_lo, s75
	v_add_nc_u32_e32 v2, 0xffffff81, v19
	v_lshrrev_b32_e32 v9, 23, v8
	s_mov_b32 s14, exec_lo
	s_delay_alu instid0(VALU_DEP_2) | instskip(NEXT) | instid1(VALU_DEP_1)
	v_cndmask_b32_e64 v2, v2, 0xffffff82, s13
	v_add3_u32 v13, v57, v2, v9
	v_and_b32_e32 v2, 0x1fffff, v12
                                        ; implicit-def: $vgpr12
	s_delay_alu instid0(VALU_DEP_1) | instskip(NEXT) | instid1(VALU_DEP_1)
	v_dual_add_nc_u32 v19, 14, v13 :: v_dual_add_nc_u32 v2, v2, v8
                                        ; implicit-def: $vgpr8_vgpr9
	v_cmpx_ne_u32_e32 0, v19
	s_xor_b32 s14, exec_lo, s14
; %bb.651:                              ;   in Loop: Header=BB2_353 Depth=4
	s_delay_alu instid0(VALU_DEP_2) | instskip(SKIP_1) | instid1(VALU_DEP_1)
	v_cmp_lt_u64_e64 s13, 0xffffff, v[2:3]
	v_add_nc_u32_e32 v8, 15, v13
	v_cndmask_b32_e64 v12, v19, v8, s13
	v_cndmask_b32_e64 v8, 0, 1, s13
	s_delay_alu instid0(VALU_DEP_1)
	v_lshrrev_b64 v[8:9], v8, v[2:3]
; %bb.652:                              ;   in Loop: Header=BB2_353 Depth=4
	s_and_not1_saveexec_b32 s13, s14
; %bb.653:                              ;   in Loop: Header=BB2_353 Depth=4
	v_mov_b64_e32 v[8:9], v[2:3]
	v_bfe_u32 v12, v2, 23, 1
; %bb.654:                              ;   in Loop: Header=BB2_353 Depth=4
	s_or_b32 exec_lo, exec_lo, s13
	s_delay_alu instid0(VALU_DEP_2) | instskip(NEXT) | instid1(VALU_DEP_2)
	v_lshrrev_b64 v[8:9], 21, v[8:9]
	v_cmp_gt_i32_e64 s13, 32, v12
	v_min_i32_e32 v2, 31, v12
	v_cmp_eq_u32_e64 s14, 0, v12
	s_delay_alu instid0(VALU_DEP_2) | instskip(SKIP_1) | instid1(VALU_DEP_2)
	v_dual_cndmask_b32 v9, 0, v9, s13 :: v_dual_lshlrev_b32 v2, 2, v2
	v_cndmask_b32_e64 v8, 3, v8, s13
	v_and_b32_e32 v2, 0xfc, v2
	s_delay_alu instid0(VALU_DEP_2) | instskip(NEXT) | instid1(VALU_DEP_2)
	v_cmp_eq_u64_e64 s13, 0, v[8:9]
	v_and_or_b32 v2, v8, 3, v2
	s_and_b32 s13, s14, s13
	s_delay_alu instid0(VALU_DEP_1) | instid1(SALU_CYCLE_1)
	v_cndmask_b32_e64 v2, v2, 0, s13
	s_delay_alu instid0(VALU_DEP_1)
	v_or_b32_e32 v19, v2, v56
.LBB2_655:                              ;   in Loop: Header=BB2_353 Depth=4
	s_or_b32 exec_lo, exec_lo, s74
                                        ; implicit-def: $vgpr56
.LBB2_656:                              ;   in Loop: Header=BB2_353 Depth=4
	s_and_not1_saveexec_b32 s13, s73
; %bb.657:                              ;   in Loop: Header=BB2_353 Depth=4
	v_or_b32_e32 v19, 0x7b, v56
; %bb.658:                              ;   in Loop: Header=BB2_353 Depth=4
	s_or_b32 exec_lo, exec_lo, s13
                                        ; implicit-def: $vgpr8
                                        ; implicit-def: $vgpr9
.LBB2_659:                              ;   in Loop: Header=BB2_353 Depth=4
	s_and_not1_saveexec_b32 s14, s72
	s_cbranch_execz .LBB2_665
; %bb.660:                              ;   in Loop: Header=BB2_353 Depth=4
	v_cmp_ne_u64_e64 s13, 0, v[2:3]
                                        ; implicit-def: $vgpr19
	s_and_saveexec_b32 s72, s13
	s_delay_alu instid0(SALU_CYCLE_1)
	s_xor_b32 s13, exec_lo, s72
; %bb.661:                              ;   in Loop: Header=BB2_353 Depth=4
	v_or_b32_e32 v19, 0x7f, v9
                                        ; implicit-def: $vgpr8
; %bb.662:                              ;   in Loop: Header=BB2_353 Depth=4
	s_and_not1_saveexec_b32 s72, s13
; %bb.663:                              ;   in Loop: Header=BB2_353 Depth=4
	v_cmp_lt_i32_e64 s13, -1, v8
	s_delay_alu instid0(VALU_DEP_1)
	v_cndmask_b32_e64 v19, 0xfc, v110, s13
; %bb.664:                              ;   in Loop: Header=BB2_353 Depth=4
	s_or_b32 exec_lo, exec_lo, s72
.LBB2_665:                              ;   in Loop: Header=BB2_353 Depth=4
	s_delay_alu instid0(SALU_CYCLE_1) | instskip(SKIP_3) | instid1(VALU_DEP_2)
	s_or_b32 exec_lo, exec_lo, s14
	v_lshrrev_b16 v2, 8, v14
	v_mov_b32_e32 v8, 0
	s_mov_b32 s14, exec_lo
	v_cmpx_ne_u16_e32 0, v2
	s_cbranch_execz .LBB2_675
; %bb.666:                              ;   in Loop: Header=BB2_353 Depth=4
	v_bfrev_b32_e32 v8, 1
	s_mov_b32 s72, exec_lo
	v_cmpx_ne_u16_e32 0x80, v2
	s_cbranch_execz .LBB2_674
; %bb.667:                              ;   in Loop: Header=BB2_353 Depth=4
	v_and_b32_e32 v12, 0xffff, v2
	s_delay_alu instid0(VALU_DEP_1) | instskip(SKIP_1) | instid1(VALU_DEP_2)
	v_and_b32_e32 v8, 0x7c, v12
	v_and_b32_e32 v9, 3, v12
	v_cmp_ne_u32_e64 s13, 0x7c, v8
                                        ; implicit-def: $vgpr8
	s_and_saveexec_b32 s73, s13
	s_delay_alu instid0(SALU_CYCLE_1)
	s_xor_b32 s73, exec_lo, s73
	s_cbranch_execz .LBB2_671
; %bb.668:                              ;   in Loop: Header=BB2_353 Depth=4
	v_bfe_u32 v8, v12, 2, 5
	s_mov_b32 s74, exec_lo
	s_delay_alu instid0(VALU_DEP_1)
	v_cmpx_eq_u32_e32 0, v8
; %bb.669:                              ;   in Loop: Header=BB2_353 Depth=4
	v_clz_i32_u32_e32 v8, v9
	s_delay_alu instid0(VALU_DEP_1) | instskip(NEXT) | instid1(VALU_DEP_1)
	v_min_u32_e32 v8, 32, v8
	v_subrev_nc_u32_e32 v9, 29, v8
	v_sub_nc_u32_e32 v8, 30, v8
	s_delay_alu instid0(VALU_DEP_2) | instskip(NEXT) | instid1(VALU_DEP_1)
	v_lshlrev_b64_e32 v[12:13], v9, v[2:3]
	v_and_b32_e32 v9, 3, v12
; %bb.670:                              ;   in Loop: Header=BB2_353 Depth=4
	s_or_b32 exec_lo, exec_lo, s74
	v_lshlrev_b32_e32 v2, 16, v14
	s_delay_alu instid0(VALU_DEP_1) | instskip(NEXT) | instid1(VALU_DEP_1)
	v_and_b32_e32 v2, 0x80000000, v2
	v_lshl_add_u32 v2, v8, 23, v2
	s_delay_alu instid0(VALU_DEP_1) | instskip(NEXT) | instid1(VALU_DEP_1)
	v_lshl_or_b32 v2, v9, 21, v2
                                        ; implicit-def: $vgpr9
	v_add_nc_u32_e32 v8, 0x38000000, v2
.LBB2_671:                              ;   in Loop: Header=BB2_353 Depth=4
	s_and_not1_saveexec_b32 s73, s73
; %bb.672:                              ;   in Loop: Header=BB2_353 Depth=4
	v_cmp_lt_i16_e64 s13, -1, v14
	s_delay_alu instid0(VALU_DEP_1) | instskip(SKIP_1) | instid1(VALU_DEP_1)
	v_cndmask_b32_e64 v2, 0xff800000, v109, s13
	v_cmp_eq_u32_e64 s13, 0, v9
	v_cndmask_b32_e64 v8, 0x7f800001, v2, s13
; %bb.673:                              ;   in Loop: Header=BB2_353 Depth=4
	s_or_b32 exec_lo, exec_lo, s73
.LBB2_674:                              ;   in Loop: Header=BB2_353 Depth=4
	s_delay_alu instid0(SALU_CYCLE_1)
	s_or_b32 exec_lo, exec_lo, s72
.LBB2_675:                              ;   in Loop: Header=BB2_353 Depth=4
	s_delay_alu instid0(SALU_CYCLE_1) | instskip(SKIP_3) | instid1(VALU_DEP_1)
	s_or_b32 exec_lo, exec_lo, s14
	v_lshrrev_b16 v2, 8, v10
	s_mov_b32 s72, 0
	s_mov_b32 s14, exec_lo
	v_cmpx_lt_i16_e32 0x7f, v2
	s_xor_b32 s14, exec_lo, s14
	s_cbranch_execz .LBB2_918
; %bb.676:                              ;   in Loop: Header=BB2_353 Depth=4
	s_mov_b32 s72, -1
	s_mov_b32 s73, exec_lo
	v_cmpx_eq_u16_e32 0x80, v2
; %bb.677:                              ;   in Loop: Header=BB2_353 Depth=4
	s_xor_b32 s72, exec_lo, -1
; %bb.678:                              ;   in Loop: Header=BB2_353 Depth=4
	s_or_b32 exec_lo, exec_lo, s73
	s_delay_alu instid0(SALU_CYCLE_1)
	s_and_b32 s72, s72, exec_lo
	s_or_saveexec_b32 s14, s14
	v_bfrev_b32_e32 v9, 1
	s_xor_b32 exec_lo, exec_lo, s14
	s_cbranch_execnz .LBB2_919
.LBB2_679:                              ;   in Loop: Header=BB2_353 Depth=4
	s_or_b32 exec_lo, exec_lo, s14
	s_and_saveexec_b32 s14, s72
	s_cbranch_execz .LBB2_681
.LBB2_680:                              ;   in Loop: Header=BB2_353 Depth=4
	v_and_b32_e32 v9, 0xffff, v2
	s_delay_alu instid0(VALU_DEP_1) | instskip(NEXT) | instid1(VALU_DEP_1)
	v_and_b32_e32 v20, 3, v9
	v_clz_i32_u32_e32 v12, v20
	s_delay_alu instid0(VALU_DEP_1) | instskip(NEXT) | instid1(VALU_DEP_1)
	v_min_u32_e32 v21, 32, v12
	v_subrev_nc_u32_e32 v12, 29, v21
	s_delay_alu instid0(VALU_DEP_1) | instskip(SKIP_3) | instid1(VALU_DEP_3)
	v_lshlrev_b64_e32 v[12:13], v12, v[2:3]
	v_bfe_u32 v13, v9, 2, 5
	v_dual_lshlrev_b32 v2, 24, v2 :: v_dual_sub_nc_u32 v21, 30, v21
	v_and_b32_e32 v9, 0x7c, v9
	v_cmp_eq_u32_e64 s13, 0, v13
	s_delay_alu instid0(VALU_DEP_3) | instskip(NEXT) | instid1(VALU_DEP_2)
	v_and_b32_e32 v2, 0x80000000, v2
	v_dual_cndmask_b32 v13, v13, v21, s13 :: v_dual_bitop2_b32 v12, 3, v12 bitop3:0x40
	s_delay_alu instid0(VALU_DEP_1) | instskip(SKIP_1) | instid1(VALU_DEP_3)
	v_cndmask_b32_e64 v12, v20, v12, s13
	v_cmp_lt_i16_e64 s13, -1, v10
	v_lshl_add_u32 v2, v13, 23, v2
	s_delay_alu instid0(VALU_DEP_2) | instskip(SKIP_1) | instid1(VALU_DEP_3)
	v_cndmask_b32_e64 v13, 0xff800000, v109, s13
	v_cmp_eq_u32_e64 s13, 0, v20
	v_lshl_or_b32 v2, v12, 21, v2
	s_delay_alu instid0(VALU_DEP_2) | instskip(NEXT) | instid1(VALU_DEP_2)
	v_cndmask_b32_e64 v12, 0x7f800001, v13, s13
	v_add_nc_u32_e32 v2, 0x38000000, v2
	v_cmp_eq_u32_e64 s13, 0x7c, v9
	s_delay_alu instid0(VALU_DEP_1)
	v_cndmask_b32_e64 v9, v2, v12, s13
.LBB2_681:                              ;   in Loop: Header=BB2_353 Depth=4
	s_or_b32 exec_lo, exec_lo, s14
	s_delay_alu instid0(VALU_DEP_1) | instskip(SKIP_1) | instid1(VALU_DEP_1)
	v_dual_mul_f32 v8, v8, v9 :: v_dual_mov_b32 v13, v3
                                        ; implicit-def: $vgpr59
	s_mov_b32 s14, exec_lo
	v_and_b32_e32 v12, 0x7f800000, v8
	v_and_b32_e32 v2, 0x7fffff, v8
	v_lshrrev_b32_e32 v9, 24, v8
	s_delay_alu instid0(VALU_DEP_3)
	v_cmpx_ne_u64_e32 0x7f800000, v[12:13]
	s_xor_b32 s72, exec_lo, s14
	s_cbranch_execz .LBB2_695
; %bb.682:                              ;   in Loop: Header=BB2_353 Depth=4
	v_and_b32_e32 v12, 0x7fffffff, v8
	v_mov_b32_e32 v13, v3
	v_and_b32_e32 v56, 0x80, v9
                                        ; implicit-def: $vgpr59
	s_mov_b32 s14, exec_lo
	s_delay_alu instid0(VALU_DEP_2)
	v_cmpx_gt_u64_e32 0x47600001, v[12:13]
	s_xor_b32 s73, exec_lo, s14
	s_cbranch_execz .LBB2_692
; %bb.683:                              ;   in Loop: Header=BB2_353 Depth=4
	v_mov_b32_e32 v59, 0
	s_mov_b32 s74, exec_lo
	v_cmpx_ne_u32_e32 0, v8
	s_cbranch_execz .LBB2_691
; %bb.684:                              ;   in Loop: Header=BB2_353 Depth=4
	v_bfe_u32 v57, v8, 23, 8
	v_or_b32_e32 v12, 0x800000, v2
	s_delay_alu instid0(VALU_DEP_2) | instskip(SKIP_1) | instid1(VALU_DEP_1)
	v_sub_nc_u32_e32 v8, 0x71, v57
	v_cmp_gt_u32_e64 s13, 0x72, v57
	v_cndmask_b32_e64 v8, 0, v8, s13
	v_cmp_eq_u32_e64 s13, 0, v57
	s_delay_alu instid0(VALU_DEP_1) | instskip(NEXT) | instid1(VALU_DEP_1)
	v_cndmask_b32_e64 v59, v8, 0x70, s13
	v_dual_cndmask_b32 v2, v12, v2, s13 :: v_dual_add_nc_u32 v8, 21, v59
	v_add_nc_u32_e32 v13, 20, v59
	s_delay_alu instid0(VALU_DEP_2) | instskip(NEXT) | instid1(VALU_DEP_2)
	v_lshlrev_b64_e64 v[8:9], v8, -1
	v_lshlrev_b64_e64 v[12:13], v13, 1
	s_delay_alu instid0(VALU_DEP_2) | instskip(NEXT) | instid1(VALU_DEP_3)
	v_bfi_b32 v21, v9, 0, 0
	v_bfi_b32 v20, v8, 0, v2
	v_lshrrev_b64 v[8:9], v59, v[2:3]
	s_delay_alu instid0(VALU_DEP_2) | instskip(NEXT) | instid1(VALU_DEP_2)
	v_cmp_eq_u64_e64 s14, v[20:21], v[12:13]
	v_mov_b64_e32 v[12:13], v[8:9]
	s_and_saveexec_b32 s75, s14
; %bb.685:                              ;   in Loop: Header=BB2_353 Depth=4
	v_bfe_u32 v2, v8, 21, 1
	s_delay_alu instid0(VALU_DEP_1) | instskip(NEXT) | instid1(VALU_DEP_1)
	v_add_nc_u64_e32 v[12:13], v[8:9], v[2:3]
	v_add_nc_u64_e32 v[12:13], -1, v[12:13]
; %bb.686:                              ;   in Loop: Header=BB2_353 Depth=4
	s_or_b32 exec_lo, exec_lo, s75
	v_add_nc_u32_e32 v2, 0xffffff81, v57
	v_lshrrev_b32_e32 v9, 23, v8
	s_mov_b32 s14, exec_lo
	s_delay_alu instid0(VALU_DEP_2) | instskip(NEXT) | instid1(VALU_DEP_1)
	v_cndmask_b32_e64 v2, v2, 0xffffff82, s13
	v_add3_u32 v13, v59, v2, v9
	v_and_b32_e32 v2, 0x1fffff, v12
                                        ; implicit-def: $vgpr12
	s_delay_alu instid0(VALU_DEP_1) | instskip(NEXT) | instid1(VALU_DEP_1)
	v_dual_add_nc_u32 v57, 14, v13 :: v_dual_add_nc_u32 v2, v2, v8
                                        ; implicit-def: $vgpr8_vgpr9
	v_cmpx_ne_u32_e32 0, v57
	s_xor_b32 s14, exec_lo, s14
; %bb.687:                              ;   in Loop: Header=BB2_353 Depth=4
	s_delay_alu instid0(VALU_DEP_2) | instskip(SKIP_1) | instid1(VALU_DEP_1)
	v_cmp_lt_u64_e64 s13, 0xffffff, v[2:3]
	v_add_nc_u32_e32 v8, 15, v13
	v_cndmask_b32_e64 v12, v57, v8, s13
	v_cndmask_b32_e64 v8, 0, 1, s13
	s_delay_alu instid0(VALU_DEP_1)
	v_lshrrev_b64 v[8:9], v8, v[2:3]
; %bb.688:                              ;   in Loop: Header=BB2_353 Depth=4
	s_and_not1_saveexec_b32 s13, s14
; %bb.689:                              ;   in Loop: Header=BB2_353 Depth=4
	v_mov_b64_e32 v[8:9], v[2:3]
	v_bfe_u32 v12, v2, 23, 1
; %bb.690:                              ;   in Loop: Header=BB2_353 Depth=4
	s_or_b32 exec_lo, exec_lo, s13
	s_delay_alu instid0(VALU_DEP_2) | instskip(NEXT) | instid1(VALU_DEP_2)
	v_lshrrev_b64 v[8:9], 21, v[8:9]
	v_cmp_gt_i32_e64 s13, 32, v12
	v_min_i32_e32 v2, 31, v12
	v_cmp_eq_u32_e64 s14, 0, v12
	s_delay_alu instid0(VALU_DEP_2) | instskip(SKIP_1) | instid1(VALU_DEP_2)
	v_dual_cndmask_b32 v9, 0, v9, s13 :: v_dual_lshlrev_b32 v2, 2, v2
	v_cndmask_b32_e64 v8, 3, v8, s13
	v_and_b32_e32 v2, 0xfc, v2
	s_delay_alu instid0(VALU_DEP_2) | instskip(NEXT) | instid1(VALU_DEP_2)
	v_cmp_eq_u64_e64 s13, 0, v[8:9]
	v_and_or_b32 v2, v8, 3, v2
	s_and_b32 s13, s14, s13
	s_delay_alu instid0(VALU_DEP_1) | instid1(SALU_CYCLE_1)
	v_cndmask_b32_e64 v2, v2, 0, s13
	s_delay_alu instid0(VALU_DEP_1)
	v_or_b32_e32 v59, v2, v56
.LBB2_691:                              ;   in Loop: Header=BB2_353 Depth=4
	s_or_b32 exec_lo, exec_lo, s74
                                        ; implicit-def: $vgpr56
.LBB2_692:                              ;   in Loop: Header=BB2_353 Depth=4
	s_and_not1_saveexec_b32 s13, s73
; %bb.693:                              ;   in Loop: Header=BB2_353 Depth=4
	v_or_b32_e32 v59, 0x7b, v56
; %bb.694:                              ;   in Loop: Header=BB2_353 Depth=4
	s_or_b32 exec_lo, exec_lo, s13
                                        ; implicit-def: $vgpr8
                                        ; implicit-def: $vgpr9
.LBB2_695:                              ;   in Loop: Header=BB2_353 Depth=4
	s_and_not1_saveexec_b32 s14, s72
	s_cbranch_execz .LBB2_701
; %bb.696:                              ;   in Loop: Header=BB2_353 Depth=4
	v_cmp_ne_u64_e64 s13, 0, v[2:3]
                                        ; implicit-def: $vgpr59
	s_and_saveexec_b32 s72, s13
	s_delay_alu instid0(SALU_CYCLE_1)
	s_xor_b32 s13, exec_lo, s72
; %bb.697:                              ;   in Loop: Header=BB2_353 Depth=4
	v_or_b32_e32 v59, 0x7f, v9
                                        ; implicit-def: $vgpr8
; %bb.698:                              ;   in Loop: Header=BB2_353 Depth=4
	s_and_not1_saveexec_b32 s72, s13
; %bb.699:                              ;   in Loop: Header=BB2_353 Depth=4
	v_cmp_lt_i32_e64 s13, -1, v8
	s_delay_alu instid0(VALU_DEP_1)
	v_cndmask_b32_e64 v59, 0xfc, v110, s13
; %bb.700:                              ;   in Loop: Header=BB2_353 Depth=4
	s_or_b32 exec_lo, exec_lo, s72
.LBB2_701:                              ;   in Loop: Header=BB2_353 Depth=4
	s_delay_alu instid0(SALU_CYCLE_1) | instskip(SKIP_2) | instid1(VALU_DEP_1)
	s_or_b32 exec_lo, exec_lo, s14
	v_dual_lshrrev_b32 v2, 16, v14 :: v_dual_mov_b32 v8, 0
	s_mov_b32 s14, exec_lo
	v_and_b32_e32 v9, 0xff, v2
	s_delay_alu instid0(VALU_DEP_1)
	v_cmpx_ne_u16_e32 0, v9
	s_cbranch_execz .LBB2_711
; %bb.702:                              ;   in Loop: Header=BB2_353 Depth=4
	v_bfrev_b32_e32 v8, 1
	s_mov_b32 s72, exec_lo
	v_cmpx_ne_u16_e32 0x80, v9
	s_cbranch_execz .LBB2_710
; %bb.703:                              ;   in Loop: Header=BB2_353 Depth=4
	v_and_b32_e32 v8, 0x7c0000, v14
	v_bfe_u32 v9, v14, 16, 2
	s_delay_alu instid0(VALU_DEP_2) | instskip(SKIP_1) | instid1(SALU_CYCLE_1)
	v_cmp_ne_u32_e64 s13, 0x7c0000, v8
                                        ; implicit-def: $vgpr8
	s_and_saveexec_b32 s73, s13
	s_xor_b32 s73, exec_lo, s73
	s_cbranch_execz .LBB2_707
; %bb.704:                              ;   in Loop: Header=BB2_353 Depth=4
	v_bfe_u32 v8, v14, 18, 5
	s_mov_b32 s74, exec_lo
	s_delay_alu instid0(VALU_DEP_1)
	v_cmpx_eq_u32_e32 0, v8
; %bb.705:                              ;   in Loop: Header=BB2_353 Depth=4
	v_clz_i32_u32_e32 v8, v9
	s_delay_alu instid0(VALU_DEP_1) | instskip(NEXT) | instid1(VALU_DEP_1)
	v_min_u32_e32 v8, 32, v8
	v_subrev_nc_u32_e32 v9, 29, v8
	v_sub_nc_u32_e32 v8, 30, v8
	s_delay_alu instid0(VALU_DEP_2) | instskip(NEXT) | instid1(VALU_DEP_1)
	v_lshlrev_b64_e32 v[12:13], v9, v[2:3]
	v_and_b32_e32 v9, 3, v12
; %bb.706:                              ;   in Loop: Header=BB2_353 Depth=4
	s_or_b32 exec_lo, exec_lo, s74
	v_lshlrev_b32_e32 v2, 24, v2
	s_delay_alu instid0(VALU_DEP_1) | instskip(NEXT) | instid1(VALU_DEP_1)
	v_and_b32_e32 v2, 0x80000000, v2
	v_lshl_add_u32 v2, v8, 23, v2
	s_delay_alu instid0(VALU_DEP_1) | instskip(NEXT) | instid1(VALU_DEP_1)
	v_lshl_or_b32 v2, v9, 21, v2
                                        ; implicit-def: $vgpr9
	v_add_nc_u32_e32 v8, 0x38000000, v2
                                        ; implicit-def: $vgpr2
.LBB2_707:                              ;   in Loop: Header=BB2_353 Depth=4
	s_and_not1_saveexec_b32 s73, s73
; %bb.708:                              ;   in Loop: Header=BB2_353 Depth=4
	v_bfe_i32 v2, v2, 0, 8
	s_delay_alu instid0(VALU_DEP_1) | instskip(NEXT) | instid1(VALU_DEP_1)
	v_cmp_lt_i16_e64 s13, -1, v2
	v_cndmask_b32_e64 v2, 0xff800000, v109, s13
	v_cmp_eq_u32_e64 s13, 0, v9
	s_delay_alu instid0(VALU_DEP_1)
	v_cndmask_b32_e64 v8, 0x7f800001, v2, s13
; %bb.709:                              ;   in Loop: Header=BB2_353 Depth=4
	s_or_b32 exec_lo, exec_lo, s73
.LBB2_710:                              ;   in Loop: Header=BB2_353 Depth=4
	s_delay_alu instid0(SALU_CYCLE_1)
	s_or_b32 exec_lo, exec_lo, s72
.LBB2_711:                              ;   in Loop: Header=BB2_353 Depth=4
	s_delay_alu instid0(SALU_CYCLE_1) | instskip(SKIP_3) | instid1(VALU_DEP_1)
	s_or_b32 exec_lo, exec_lo, s14
	v_lshrrev_b32_e32 v2, 16, v10
	s_mov_b32 s72, 0
	s_mov_b32 s14, exec_lo
	v_and_b32_e32 v12, 0xff, v2
	s_delay_alu instid0(VALU_DEP_1)
	v_cmpx_lt_i16_e32 0x7f, v12
	s_xor_b32 s14, exec_lo, s14
	s_cbranch_execz .LBB2_920
; %bb.712:                              ;   in Loop: Header=BB2_353 Depth=4
	s_mov_b32 s72, -1
	s_mov_b32 s73, exec_lo
	v_cmpx_eq_u16_e32 0x80, v12
; %bb.713:                              ;   in Loop: Header=BB2_353 Depth=4
	s_xor_b32 s72, exec_lo, -1
; %bb.714:                              ;   in Loop: Header=BB2_353 Depth=4
	s_or_b32 exec_lo, exec_lo, s73
	s_delay_alu instid0(SALU_CYCLE_1)
	s_and_b32 s72, s72, exec_lo
                                        ; implicit-def: $vgpr12
	s_or_saveexec_b32 s14, s14
	v_bfrev_b32_e32 v9, 1
	s_xor_b32 exec_lo, exec_lo, s14
	s_cbranch_execnz .LBB2_921
.LBB2_715:                              ;   in Loop: Header=BB2_353 Depth=4
	s_or_b32 exec_lo, exec_lo, s14
	s_and_saveexec_b32 s14, s72
	s_cbranch_execz .LBB2_717
.LBB2_716:                              ;   in Loop: Header=BB2_353 Depth=4
	v_and_b32_e32 v9, 3, v2
	v_bfe_u32 v21, v10, 18, 5
	s_delay_alu instid0(VALU_DEP_2) | instskip(NEXT) | instid1(VALU_DEP_2)
	v_clz_i32_u32_e32 v12, v9
	v_cmp_eq_u32_e64 s13, 0, v21
	s_delay_alu instid0(VALU_DEP_2) | instskip(NEXT) | instid1(VALU_DEP_1)
	v_min_u32_e32 v20, 32, v12
	v_subrev_nc_u32_e32 v12, 29, v20
	v_sub_nc_u32_e32 v20, 30, v20
	s_delay_alu instid0(VALU_DEP_2) | instskip(NEXT) | instid1(VALU_DEP_2)
	v_lshlrev_b64_e32 v[12:13], v12, v[2:3]
	v_dual_lshlrev_b32 v13, 24, v2 :: v_dual_cndmask_b32 v20, v21, v20, s13
	v_bfe_i32 v2, v2, 0, 8
	s_delay_alu instid0(VALU_DEP_2) | instskip(NEXT) | instid1(VALU_DEP_4)
	v_and_b32_e32 v13, 0x80000000, v13
	v_and_b32_e32 v12, 3, v12
	s_delay_alu instid0(VALU_DEP_2) | instskip(NEXT) | instid1(VALU_DEP_2)
	v_lshl_add_u32 v13, v20, 23, v13
	v_cndmask_b32_e64 v12, v9, v12, s13
	v_cmp_lt_i16_e64 s13, -1, v2
	s_delay_alu instid0(VALU_DEP_2) | instskip(NEXT) | instid1(VALU_DEP_2)
	v_lshl_or_b32 v12, v12, 21, v13
	v_cndmask_b32_e64 v2, 0xff800000, v109, s13
	v_and_b32_e32 v13, 0x7c0000, v10
	v_cmp_eq_u32_e64 s13, 0, v9
	s_delay_alu instid0(VALU_DEP_4) | instskip(NEXT) | instid1(VALU_DEP_2)
	v_add_nc_u32_e32 v9, 0x38000000, v12
	v_cndmask_b32_e64 v2, 0x7f800001, v2, s13
	s_delay_alu instid0(VALU_DEP_4) | instskip(NEXT) | instid1(VALU_DEP_1)
	v_cmp_eq_u32_e64 s13, 0x7c0000, v13
	v_cndmask_b32_e64 v9, v9, v2, s13
.LBB2_717:                              ;   in Loop: Header=BB2_353 Depth=4
	s_or_b32 exec_lo, exec_lo, s14
	s_delay_alu instid0(VALU_DEP_1) | instskip(SKIP_1) | instid1(VALU_DEP_1)
	v_dual_mul_f32 v8, v8, v9 :: v_dual_mov_b32 v13, v3
                                        ; implicit-def: $vgpr77
	s_mov_b32 s14, exec_lo
	v_and_b32_e32 v12, 0x7f800000, v8
	v_and_b32_e32 v2, 0x7fffff, v8
	v_lshrrev_b32_e32 v9, 24, v8
	s_delay_alu instid0(VALU_DEP_3)
	v_cmpx_ne_u64_e32 0x7f800000, v[12:13]
	s_xor_b32 s72, exec_lo, s14
	s_cbranch_execz .LBB2_731
; %bb.718:                              ;   in Loop: Header=BB2_353 Depth=4
	v_and_b32_e32 v12, 0x7fffffff, v8
	v_mov_b32_e32 v13, v3
	v_and_b32_e32 v56, 0x80, v9
                                        ; implicit-def: $vgpr77
	s_mov_b32 s14, exec_lo
	s_delay_alu instid0(VALU_DEP_2)
	v_cmpx_gt_u64_e32 0x47600001, v[12:13]
	s_xor_b32 s73, exec_lo, s14
	s_cbranch_execz .LBB2_728
; %bb.719:                              ;   in Loop: Header=BB2_353 Depth=4
	v_mov_b32_e32 v77, 0
	s_mov_b32 s74, exec_lo
	v_cmpx_ne_u32_e32 0, v8
	s_cbranch_execz .LBB2_727
; %bb.720:                              ;   in Loop: Header=BB2_353 Depth=4
	v_bfe_u32 v57, v8, 23, 8
	v_or_b32_e32 v12, 0x800000, v2
	s_delay_alu instid0(VALU_DEP_2) | instskip(SKIP_1) | instid1(VALU_DEP_1)
	v_sub_nc_u32_e32 v8, 0x71, v57
	v_cmp_gt_u32_e64 s13, 0x72, v57
	v_cndmask_b32_e64 v8, 0, v8, s13
	v_cmp_eq_u32_e64 s13, 0, v57
	s_delay_alu instid0(VALU_DEP_1) | instskip(NEXT) | instid1(VALU_DEP_1)
	v_cndmask_b32_e64 v77, v8, 0x70, s13
	v_dual_cndmask_b32 v2, v12, v2, s13 :: v_dual_add_nc_u32 v8, 21, v77
	v_add_nc_u32_e32 v13, 20, v77
	s_delay_alu instid0(VALU_DEP_2) | instskip(NEXT) | instid1(VALU_DEP_2)
	v_lshlrev_b64_e64 v[8:9], v8, -1
	v_lshlrev_b64_e64 v[12:13], v13, 1
	s_delay_alu instid0(VALU_DEP_2) | instskip(NEXT) | instid1(VALU_DEP_3)
	v_bfi_b32 v21, v9, 0, 0
	v_bfi_b32 v20, v8, 0, v2
	v_lshrrev_b64 v[8:9], v77, v[2:3]
	s_delay_alu instid0(VALU_DEP_2) | instskip(NEXT) | instid1(VALU_DEP_2)
	v_cmp_eq_u64_e64 s14, v[20:21], v[12:13]
	v_mov_b64_e32 v[12:13], v[8:9]
	s_and_saveexec_b32 s75, s14
; %bb.721:                              ;   in Loop: Header=BB2_353 Depth=4
	v_bfe_u32 v2, v8, 21, 1
	s_delay_alu instid0(VALU_DEP_1) | instskip(NEXT) | instid1(VALU_DEP_1)
	v_add_nc_u64_e32 v[12:13], v[8:9], v[2:3]
	v_add_nc_u64_e32 v[12:13], -1, v[12:13]
; %bb.722:                              ;   in Loop: Header=BB2_353 Depth=4
	s_or_b32 exec_lo, exec_lo, s75
	v_add_nc_u32_e32 v2, 0xffffff81, v57
	v_lshrrev_b32_e32 v9, 23, v8
	s_mov_b32 s14, exec_lo
	s_delay_alu instid0(VALU_DEP_2) | instskip(NEXT) | instid1(VALU_DEP_1)
	v_cndmask_b32_e64 v2, v2, 0xffffff82, s13
	v_add3_u32 v13, v77, v2, v9
	v_and_b32_e32 v2, 0x1fffff, v12
                                        ; implicit-def: $vgpr12
	s_delay_alu instid0(VALU_DEP_1) | instskip(NEXT) | instid1(VALU_DEP_1)
	v_dual_add_nc_u32 v57, 14, v13 :: v_dual_add_nc_u32 v2, v2, v8
                                        ; implicit-def: $vgpr8_vgpr9
	v_cmpx_ne_u32_e32 0, v57
	s_xor_b32 s14, exec_lo, s14
; %bb.723:                              ;   in Loop: Header=BB2_353 Depth=4
	s_delay_alu instid0(VALU_DEP_2) | instskip(SKIP_1) | instid1(VALU_DEP_1)
	v_cmp_lt_u64_e64 s13, 0xffffff, v[2:3]
	v_add_nc_u32_e32 v8, 15, v13
	v_cndmask_b32_e64 v12, v57, v8, s13
	v_cndmask_b32_e64 v8, 0, 1, s13
	s_delay_alu instid0(VALU_DEP_1)
	v_lshrrev_b64 v[8:9], v8, v[2:3]
; %bb.724:                              ;   in Loop: Header=BB2_353 Depth=4
	s_and_not1_saveexec_b32 s13, s14
; %bb.725:                              ;   in Loop: Header=BB2_353 Depth=4
	v_mov_b64_e32 v[8:9], v[2:3]
	v_bfe_u32 v12, v2, 23, 1
; %bb.726:                              ;   in Loop: Header=BB2_353 Depth=4
	s_or_b32 exec_lo, exec_lo, s13
	s_delay_alu instid0(VALU_DEP_2) | instskip(NEXT) | instid1(VALU_DEP_2)
	v_lshrrev_b64 v[8:9], 21, v[8:9]
	v_cmp_gt_i32_e64 s13, 32, v12
	v_min_i32_e32 v2, 31, v12
	v_cmp_eq_u32_e64 s14, 0, v12
	s_delay_alu instid0(VALU_DEP_2) | instskip(SKIP_1) | instid1(VALU_DEP_2)
	v_dual_cndmask_b32 v9, 0, v9, s13 :: v_dual_lshlrev_b32 v2, 2, v2
	v_cndmask_b32_e64 v8, 3, v8, s13
	v_and_b32_e32 v2, 0xfc, v2
	s_delay_alu instid0(VALU_DEP_2) | instskip(NEXT) | instid1(VALU_DEP_2)
	v_cmp_eq_u64_e64 s13, 0, v[8:9]
	v_and_or_b32 v2, v8, 3, v2
	s_and_b32 s13, s14, s13
	s_delay_alu instid0(VALU_DEP_1) | instid1(SALU_CYCLE_1)
	v_cndmask_b32_e64 v2, v2, 0, s13
	s_delay_alu instid0(VALU_DEP_1)
	v_or_b32_e32 v77, v2, v56
.LBB2_727:                              ;   in Loop: Header=BB2_353 Depth=4
	s_or_b32 exec_lo, exec_lo, s74
                                        ; implicit-def: $vgpr56
.LBB2_728:                              ;   in Loop: Header=BB2_353 Depth=4
	s_and_not1_saveexec_b32 s13, s73
; %bb.729:                              ;   in Loop: Header=BB2_353 Depth=4
	v_or_b32_e32 v77, 0x7b, v56
; %bb.730:                              ;   in Loop: Header=BB2_353 Depth=4
	s_or_b32 exec_lo, exec_lo, s13
                                        ; implicit-def: $vgpr8
                                        ; implicit-def: $vgpr9
.LBB2_731:                              ;   in Loop: Header=BB2_353 Depth=4
	s_and_not1_saveexec_b32 s14, s72
	s_cbranch_execz .LBB2_737
; %bb.732:                              ;   in Loop: Header=BB2_353 Depth=4
	v_cmp_ne_u64_e64 s13, 0, v[2:3]
                                        ; implicit-def: $vgpr77
	s_and_saveexec_b32 s72, s13
	s_delay_alu instid0(SALU_CYCLE_1)
	s_xor_b32 s13, exec_lo, s72
; %bb.733:                              ;   in Loop: Header=BB2_353 Depth=4
	v_or_b32_e32 v77, 0x7f, v9
                                        ; implicit-def: $vgpr8
; %bb.734:                              ;   in Loop: Header=BB2_353 Depth=4
	s_and_not1_saveexec_b32 s72, s13
; %bb.735:                              ;   in Loop: Header=BB2_353 Depth=4
	v_cmp_lt_i32_e64 s13, -1, v8
	s_delay_alu instid0(VALU_DEP_1)
	v_cndmask_b32_e64 v77, 0xfc, v110, s13
; %bb.736:                              ;   in Loop: Header=BB2_353 Depth=4
	s_or_b32 exec_lo, exec_lo, s72
.LBB2_737:                              ;   in Loop: Header=BB2_353 Depth=4
	s_delay_alu instid0(SALU_CYCLE_1)
	s_or_b32 exec_lo, exec_lo, s14
	v_mov_b32_e32 v8, 0
	s_mov_b32 s14, exec_lo
	v_cmpx_lt_u32_e32 0xffffff, v14
	s_cbranch_execz .LBB2_747
; %bb.738:                              ;   in Loop: Header=BB2_353 Depth=4
	v_lshrrev_b32_e32 v2, 24, v14
	v_bfrev_b32_e32 v8, 1
	s_mov_b32 s72, exec_lo
	s_delay_alu instid0(VALU_DEP_2)
	v_cmpx_ne_u32_e32 0x80, v2
	s_cbranch_execz .LBB2_746
; %bb.739:                              ;   in Loop: Header=BB2_353 Depth=4
	v_and_b32_e32 v8, 0x7c000000, v14
	v_bfe_u32 v9, v14, 24, 2
	s_delay_alu instid0(VALU_DEP_2) | instskip(SKIP_1) | instid1(SALU_CYCLE_1)
	v_cmp_ne_u32_e64 s13, 0x7c000000, v8
                                        ; implicit-def: $vgpr8
	s_and_saveexec_b32 s73, s13
	s_xor_b32 s73, exec_lo, s73
	s_cbranch_execz .LBB2_743
; %bb.740:                              ;   in Loop: Header=BB2_353 Depth=4
	v_bfe_u32 v8, v14, 26, 5
	s_mov_b32 s74, exec_lo
	s_delay_alu instid0(VALU_DEP_1)
	v_cmpx_eq_u32_e32 0, v8
; %bb.741:                              ;   in Loop: Header=BB2_353 Depth=4
	v_clz_i32_u32_e32 v8, v9
	s_delay_alu instid0(VALU_DEP_1) | instskip(NEXT) | instid1(VALU_DEP_1)
	v_min_u32_e32 v8, 32, v8
	v_subrev_nc_u32_e32 v9, 29, v8
	v_sub_nc_u32_e32 v8, 30, v8
	s_delay_alu instid0(VALU_DEP_2) | instskip(NEXT) | instid1(VALU_DEP_1)
	v_lshlrev_b64_e32 v[12:13], v9, v[2:3]
	v_and_b32_e32 v9, 3, v12
; %bb.742:                              ;   in Loop: Header=BB2_353 Depth=4
	s_or_b32 exec_lo, exec_lo, s74
	v_and_b32_e32 v2, 0x80000000, v14
	s_delay_alu instid0(VALU_DEP_1) | instskip(NEXT) | instid1(VALU_DEP_1)
	v_lshl_add_u32 v2, v8, 23, v2
	v_lshl_or_b32 v2, v9, 21, v2
                                        ; implicit-def: $vgpr9
	s_delay_alu instid0(VALU_DEP_1)
	v_add_nc_u32_e32 v8, 0x38000000, v2
.LBB2_743:                              ;   in Loop: Header=BB2_353 Depth=4
	s_and_not1_saveexec_b32 s73, s73
; %bb.744:                              ;   in Loop: Header=BB2_353 Depth=4
	v_cmp_lt_i32_e64 s13, -1, v14
	s_delay_alu instid0(VALU_DEP_1) | instskip(SKIP_1) | instid1(VALU_DEP_1)
	v_cndmask_b32_e64 v2, 0xff800000, v109, s13
	v_cmp_eq_u32_e64 s13, 0, v9
	v_cndmask_b32_e64 v8, 0x7f800001, v2, s13
; %bb.745:                              ;   in Loop: Header=BB2_353 Depth=4
	s_or_b32 exec_lo, exec_lo, s73
.LBB2_746:                              ;   in Loop: Header=BB2_353 Depth=4
	s_delay_alu instid0(SALU_CYCLE_1)
	s_or_b32 exec_lo, exec_lo, s72
.LBB2_747:                              ;   in Loop: Header=BB2_353 Depth=4
	s_delay_alu instid0(SALU_CYCLE_1) | instskip(SKIP_3) | instid1(VALU_DEP_2)
	s_or_b32 exec_lo, exec_lo, s14
	v_bfe_u32 v9, v10, 24, 2
	v_bfe_u32 v21, v10, 26, 5
                                        ; implicit-def: $vgpr78
	s_mov_b32 s14, exec_lo
	v_clz_i32_u32_e32 v2, v9
	s_delay_alu instid0(VALU_DEP_2) | instskip(NEXT) | instid1(VALU_DEP_2)
	v_cmp_eq_u32_e64 s13, 0, v21
	v_min_u32_e32 v20, 32, v2
	v_lshrrev_b32_e32 v2, 24, v10
	s_delay_alu instid0(VALU_DEP_2) | instskip(NEXT) | instid1(VALU_DEP_1)
	v_subrev_nc_u32_e32 v12, 29, v20
	v_lshlrev_b64_e32 v[12:13], v12, v[2:3]
	v_sub_nc_u32_e32 v13, 30, v20
	v_and_b32_e32 v20, 0x80000000, v10
	s_delay_alu instid0(VALU_DEP_2) | instskip(NEXT) | instid1(VALU_DEP_1)
	v_dual_cndmask_b32 v13, v21, v13, s13 :: v_dual_bitop2_b32 v12, 3, v12 bitop3:0x40
	v_lshl_add_u32 v13, v13, 23, v20
	s_delay_alu instid0(VALU_DEP_2) | instskip(SKIP_1) | instid1(VALU_DEP_2)
	v_cndmask_b32_e64 v12, v9, v12, s13
	v_cmp_lt_i32_e64 s13, -1, v10
	v_lshl_or_b32 v12, v12, 21, v13
	s_delay_alu instid0(VALU_DEP_2) | instskip(SKIP_2) | instid1(VALU_DEP_4)
	v_cndmask_b32_e64 v20, 0xff800000, v109, s13
	v_and_b32_e32 v13, 0x7c000000, v10
	v_cmp_eq_u32_e64 s13, 0, v9
	v_add_nc_u32_e32 v12, 0x38000000, v12
	s_delay_alu instid0(VALU_DEP_2) | instskip(NEXT) | instid1(VALU_DEP_4)
	v_cndmask_b32_e64 v9, 0x7f800001, v20, s13
	v_cmp_eq_u32_e64 s13, 0x7c000000, v13
	s_delay_alu instid0(VALU_DEP_1) | instskip(SKIP_1) | instid1(VALU_DEP_1)
	v_dual_mov_b32 v13, v3 :: v_dual_cndmask_b32 v9, v12, v9, s13
	v_cmp_ne_u32_e64 s13, 0x80, v2
	v_cndmask_b32_e64 v2, 0x80000000, v9, s13
	v_cmp_lt_u32_e64 s13, 0xffffff, v10
	s_delay_alu instid0(VALU_DEP_1) | instskip(NEXT) | instid1(VALU_DEP_1)
	v_cndmask_b32_e64 v2, 0, v2, s13
	v_mul_f32_e32 v8, v2, v8
	s_delay_alu instid0(VALU_DEP_1) | instskip(SKIP_2) | instid1(VALU_DEP_3)
	v_and_b32_e32 v12, 0x7f800000, v8
	v_and_b32_e32 v2, 0x7fffff, v8
	v_lshrrev_b32_e32 v9, 24, v8
	v_cmpx_ne_u64_e32 0x7f800000, v[12:13]
	s_xor_b32 s72, exec_lo, s14
	s_cbranch_execz .LBB2_761
; %bb.748:                              ;   in Loop: Header=BB2_353 Depth=4
	v_and_b32_e32 v12, 0x7fffffff, v8
	v_mov_b32_e32 v13, v3
	v_and_b32_e32 v56, 0x80, v9
                                        ; implicit-def: $vgpr78
	s_mov_b32 s14, exec_lo
	s_delay_alu instid0(VALU_DEP_2)
	v_cmpx_gt_u64_e32 0x47600001, v[12:13]
	s_xor_b32 s73, exec_lo, s14
	s_cbranch_execz .LBB2_758
; %bb.749:                              ;   in Loop: Header=BB2_353 Depth=4
	v_mov_b32_e32 v78, 0
	s_mov_b32 s74, exec_lo
	v_cmpx_ne_u32_e32 0, v8
	s_cbranch_execz .LBB2_757
; %bb.750:                              ;   in Loop: Header=BB2_353 Depth=4
	v_bfe_u32 v57, v8, 23, 8
	v_or_b32_e32 v12, 0x800000, v2
	s_delay_alu instid0(VALU_DEP_2) | instskip(SKIP_1) | instid1(VALU_DEP_1)
	v_sub_nc_u32_e32 v8, 0x71, v57
	v_cmp_gt_u32_e64 s13, 0x72, v57
	v_cndmask_b32_e64 v8, 0, v8, s13
	v_cmp_eq_u32_e64 s13, 0, v57
	s_delay_alu instid0(VALU_DEP_1) | instskip(SKIP_1) | instid1(VALU_DEP_2)
	v_cndmask_b32_e64 v78, v8, 0x70, s13
	v_cndmask_b32_e64 v2, v12, v2, s13
	v_dual_add_nc_u32 v8, 21, v78 :: v_dual_add_nc_u32 v13, 20, v78
	s_delay_alu instid0(VALU_DEP_1) | instskip(NEXT) | instid1(VALU_DEP_2)
	v_lshlrev_b64_e64 v[8:9], v8, -1
	v_lshlrev_b64_e64 v[12:13], v13, 1
	s_delay_alu instid0(VALU_DEP_2) | instskip(NEXT) | instid1(VALU_DEP_3)
	v_bfi_b32 v21, v9, 0, 0
	v_bfi_b32 v20, v8, 0, v2
	v_lshrrev_b64 v[8:9], v78, v[2:3]
	s_delay_alu instid0(VALU_DEP_2) | instskip(NEXT) | instid1(VALU_DEP_2)
	v_cmp_eq_u64_e64 s14, v[20:21], v[12:13]
	v_mov_b64_e32 v[12:13], v[8:9]
	s_and_saveexec_b32 s75, s14
; %bb.751:                              ;   in Loop: Header=BB2_353 Depth=4
	v_bfe_u32 v2, v8, 21, 1
	s_delay_alu instid0(VALU_DEP_1) | instskip(NEXT) | instid1(VALU_DEP_1)
	v_add_nc_u64_e32 v[12:13], v[8:9], v[2:3]
	v_add_nc_u64_e32 v[12:13], -1, v[12:13]
; %bb.752:                              ;   in Loop: Header=BB2_353 Depth=4
	s_or_b32 exec_lo, exec_lo, s75
	v_add_nc_u32_e32 v2, 0xffffff81, v57
	v_lshrrev_b32_e32 v9, 23, v8
	s_mov_b32 s14, exec_lo
	s_delay_alu instid0(VALU_DEP_2) | instskip(NEXT) | instid1(VALU_DEP_1)
	v_cndmask_b32_e64 v2, v2, 0xffffff82, s13
	v_add3_u32 v13, v78, v2, v9
	v_and_b32_e32 v2, 0x1fffff, v12
                                        ; implicit-def: $vgpr12
	s_delay_alu instid0(VALU_DEP_1) | instskip(NEXT) | instid1(VALU_DEP_1)
	v_dual_add_nc_u32 v57, 14, v13 :: v_dual_add_nc_u32 v2, v2, v8
                                        ; implicit-def: $vgpr8_vgpr9
	v_cmpx_ne_u32_e32 0, v57
	s_xor_b32 s14, exec_lo, s14
; %bb.753:                              ;   in Loop: Header=BB2_353 Depth=4
	s_delay_alu instid0(VALU_DEP_2) | instskip(SKIP_1) | instid1(VALU_DEP_1)
	v_cmp_lt_u64_e64 s13, 0xffffff, v[2:3]
	v_add_nc_u32_e32 v8, 15, v13
	v_cndmask_b32_e64 v12, v57, v8, s13
	v_cndmask_b32_e64 v8, 0, 1, s13
	s_delay_alu instid0(VALU_DEP_1)
	v_lshrrev_b64 v[8:9], v8, v[2:3]
; %bb.754:                              ;   in Loop: Header=BB2_353 Depth=4
	s_and_not1_saveexec_b32 s13, s14
; %bb.755:                              ;   in Loop: Header=BB2_353 Depth=4
	v_mov_b64_e32 v[8:9], v[2:3]
	v_bfe_u32 v12, v2, 23, 1
; %bb.756:                              ;   in Loop: Header=BB2_353 Depth=4
	s_or_b32 exec_lo, exec_lo, s13
	s_delay_alu instid0(VALU_DEP_2) | instskip(NEXT) | instid1(VALU_DEP_2)
	v_lshrrev_b64 v[8:9], 21, v[8:9]
	v_cmp_gt_i32_e64 s13, 32, v12
	v_min_i32_e32 v2, 31, v12
	v_cmp_eq_u32_e64 s14, 0, v12
	s_delay_alu instid0(VALU_DEP_2) | instskip(SKIP_1) | instid1(VALU_DEP_2)
	v_dual_cndmask_b32 v9, 0, v9, s13 :: v_dual_lshlrev_b32 v2, 2, v2
	v_cndmask_b32_e64 v8, 3, v8, s13
	v_and_b32_e32 v2, 0xfc, v2
	s_delay_alu instid0(VALU_DEP_2) | instskip(NEXT) | instid1(VALU_DEP_2)
	v_cmp_eq_u64_e64 s13, 0, v[8:9]
	v_and_or_b32 v2, v8, 3, v2
	s_and_b32 s13, s14, s13
	s_delay_alu instid0(VALU_DEP_1) | instid1(SALU_CYCLE_1)
	v_cndmask_b32_e64 v2, v2, 0, s13
	s_delay_alu instid0(VALU_DEP_1)
	v_or_b32_e32 v78, v2, v56
.LBB2_757:                              ;   in Loop: Header=BB2_353 Depth=4
	s_or_b32 exec_lo, exec_lo, s74
                                        ; implicit-def: $vgpr56
.LBB2_758:                              ;   in Loop: Header=BB2_353 Depth=4
	s_and_not1_saveexec_b32 s13, s73
; %bb.759:                              ;   in Loop: Header=BB2_353 Depth=4
	v_or_b32_e32 v78, 0x7b, v56
; %bb.760:                              ;   in Loop: Header=BB2_353 Depth=4
	s_or_b32 exec_lo, exec_lo, s13
                                        ; implicit-def: $vgpr8
                                        ; implicit-def: $vgpr9
.LBB2_761:                              ;   in Loop: Header=BB2_353 Depth=4
	s_and_not1_saveexec_b32 s14, s72
	s_cbranch_execz .LBB2_767
; %bb.762:                              ;   in Loop: Header=BB2_353 Depth=4
	v_cmp_ne_u64_e64 s13, 0, v[2:3]
                                        ; implicit-def: $vgpr78
	s_and_saveexec_b32 s72, s13
	s_delay_alu instid0(SALU_CYCLE_1)
	s_xor_b32 s13, exec_lo, s72
; %bb.763:                              ;   in Loop: Header=BB2_353 Depth=4
	v_or_b32_e32 v78, 0x7f, v9
                                        ; implicit-def: $vgpr8
; %bb.764:                              ;   in Loop: Header=BB2_353 Depth=4
	s_and_not1_saveexec_b32 s72, s13
; %bb.765:                              ;   in Loop: Header=BB2_353 Depth=4
	v_cmp_lt_i32_e64 s13, -1, v8
	s_delay_alu instid0(VALU_DEP_1)
	v_cndmask_b32_e64 v78, 0xfc, v110, s13
; %bb.766:                              ;   in Loop: Header=BB2_353 Depth=4
	s_or_b32 exec_lo, exec_lo, s72
.LBB2_767:                              ;   in Loop: Header=BB2_353 Depth=4
	s_delay_alu instid0(SALU_CYCLE_1) | instskip(SKIP_3) | instid1(VALU_DEP_2)
	s_or_b32 exec_lo, exec_lo, s14
	v_and_b32_e32 v8, 0xff, v15
	v_dual_mov_b32 v2, v15 :: v_dual_mov_b32 v12, 0
	s_mov_b32 s14, exec_lo
	v_cmpx_ne_u16_e32 0, v8
	s_cbranch_execz .LBB2_777
; %bb.768:                              ;   in Loop: Header=BB2_353 Depth=4
	v_bfrev_b32_e32 v12, 1
	s_mov_b32 s72, exec_lo
	v_cmpx_ne_u16_e32 0x80, v8
	s_cbranch_execz .LBB2_776
; %bb.769:                              ;   in Loop: Header=BB2_353 Depth=4
	v_and_b32_e32 v9, 0x7c, v15
	v_and_b32_e32 v8, 3, v15
	s_mov_b32 s73, exec_lo
                                        ; implicit-def: $vgpr12
	s_delay_alu instid0(VALU_DEP_2)
	v_cmpx_ne_u32_e32 0x7c, v9
	s_xor_b32 s73, exec_lo, s73
	s_cbranch_execz .LBB2_773
; %bb.770:                              ;   in Loop: Header=BB2_353 Depth=4
	v_bfe_u32 v9, v15, 2, 5
	s_mov_b32 s74, exec_lo
	s_delay_alu instid0(VALU_DEP_1)
	v_cmpx_eq_u32_e32 0, v9
; %bb.771:                              ;   in Loop: Header=BB2_353 Depth=4
	v_clz_i32_u32_e32 v8, v8
	s_delay_alu instid0(VALU_DEP_1) | instskip(NEXT) | instid1(VALU_DEP_1)
	v_min_u32_e32 v12, 32, v8
	v_subrev_nc_u32_e32 v8, 29, v12
	s_delay_alu instid0(VALU_DEP_1) | instskip(SKIP_1) | instid1(VALU_DEP_2)
	v_lshlrev_b64_e32 v[8:9], v8, v[2:3]
	v_sub_nc_u32_e32 v9, 30, v12
	v_and_b32_e32 v8, 3, v8
; %bb.772:                              ;   in Loop: Header=BB2_353 Depth=4
	s_or_b32 exec_lo, exec_lo, s74
	v_lshlrev_b32_e32 v12, 24, v15
	s_delay_alu instid0(VALU_DEP_1) | instskip(NEXT) | instid1(VALU_DEP_1)
	v_and_b32_e32 v12, 0x80000000, v12
	v_lshl_add_u32 v9, v9, 23, v12
	s_delay_alu instid0(VALU_DEP_1) | instskip(NEXT) | instid1(VALU_DEP_1)
	v_lshl_or_b32 v8, v8, 21, v9
	v_add_nc_u32_e32 v12, 0x38000000, v8
                                        ; implicit-def: $vgpr8
.LBB2_773:                              ;   in Loop: Header=BB2_353 Depth=4
	s_and_not1_saveexec_b32 s73, s73
; %bb.774:                              ;   in Loop: Header=BB2_353 Depth=4
	v_bfe_i32 v9, v15, 0, 8
	s_delay_alu instid0(VALU_DEP_1) | instskip(NEXT) | instid1(VALU_DEP_1)
	v_cmp_lt_i16_e64 s13, -1, v9
	v_cndmask_b32_e64 v9, 0xff800000, v109, s13
	v_cmp_eq_u32_e64 s13, 0, v8
	s_delay_alu instid0(VALU_DEP_1)
	v_cndmask_b32_e64 v12, 0x7f800001, v9, s13
; %bb.775:                              ;   in Loop: Header=BB2_353 Depth=4
	s_or_b32 exec_lo, exec_lo, s73
.LBB2_776:                              ;   in Loop: Header=BB2_353 Depth=4
	s_delay_alu instid0(SALU_CYCLE_1)
	s_or_b32 exec_lo, exec_lo, s72
.LBB2_777:                              ;   in Loop: Header=BB2_353 Depth=4
	s_delay_alu instid0(SALU_CYCLE_1) | instskip(SKIP_4) | instid1(VALU_DEP_2)
	s_or_b32 exec_lo, exec_lo, s14
	v_and_b32_e32 v9, 0xff, v11
	v_mov_b32_e32 v8, v11
	s_mov_b32 s72, 0
	s_mov_b32 s14, exec_lo
	v_cmpx_lt_i16_e32 0x7f, v9
	s_xor_b32 s14, exec_lo, s14
	s_cbranch_execz .LBB2_922
; %bb.778:                              ;   in Loop: Header=BB2_353 Depth=4
	s_mov_b32 s72, -1
	s_mov_b32 s73, exec_lo
	v_cmpx_eq_u16_e32 0x80, v9
; %bb.779:                              ;   in Loop: Header=BB2_353 Depth=4
	s_xor_b32 s72, exec_lo, -1
; %bb.780:                              ;   in Loop: Header=BB2_353 Depth=4
	s_or_b32 exec_lo, exec_lo, s73
	s_delay_alu instid0(SALU_CYCLE_1)
	s_and_b32 s72, s72, exec_lo
                                        ; implicit-def: $vgpr9
	s_or_saveexec_b32 s14, s14
	v_bfrev_b32_e32 v13, 1
	s_xor_b32 exec_lo, exec_lo, s14
	s_cbranch_execnz .LBB2_923
.LBB2_781:                              ;   in Loop: Header=BB2_353 Depth=4
	s_or_b32 exec_lo, exec_lo, s14
	v_mov_b32_e32 v9, v3
	s_and_saveexec_b32 s14, s72
	s_cbranch_execz .LBB2_783
.LBB2_782:                              ;   in Loop: Header=BB2_353 Depth=4
	v_and_b32_e32 v13, 3, v11
	s_delay_alu instid0(VALU_DEP_1) | instskip(NEXT) | instid1(VALU_DEP_1)
	v_clz_i32_u32_e32 v20, v13
	v_min_u32_e32 v56, 32, v20
	s_delay_alu instid0(VALU_DEP_1) | instskip(SKIP_1) | instid1(VALU_DEP_2)
	v_subrev_nc_u32_e32 v20, 29, v56
	v_sub_nc_u32_e32 v56, 30, v56
	v_lshlrev_b64_e32 v[20:21], v20, v[8:9]
	v_bfe_u32 v21, v11, 2, 5
	v_lshlrev_b32_e32 v9, 24, v11
	s_delay_alu instid0(VALU_DEP_2) | instskip(NEXT) | instid1(VALU_DEP_2)
	v_cmp_eq_u32_e64 s13, 0, v21
	v_and_b32_e32 v9, 0x80000000, v9
	v_and_b32_e32 v20, 3, v20
	s_delay_alu instid0(VALU_DEP_3) | instskip(SKIP_1) | instid1(VALU_DEP_3)
	v_cndmask_b32_e64 v21, v21, v56, s13
	v_bfe_i32 v56, v11, 0, 8
	v_cndmask_b32_e64 v20, v13, v20, s13
	s_delay_alu instid0(VALU_DEP_3) | instskip(NEXT) | instid1(VALU_DEP_3)
	v_lshl_add_u32 v9, v21, 23, v9
	v_cmp_lt_i16_e64 s13, -1, v56
	s_delay_alu instid0(VALU_DEP_2) | instskip(NEXT) | instid1(VALU_DEP_2)
	v_lshl_or_b32 v9, v20, 21, v9
	v_cndmask_b32_e64 v21, 0xff800000, v109, s13
	v_and_b32_e32 v20, 0x7c, v11
	v_cmp_eq_u32_e64 s13, 0, v13
	s_delay_alu instid0(VALU_DEP_4) | instskip(NEXT) | instid1(VALU_DEP_2)
	v_add_nc_u32_e32 v9, 0x38000000, v9
	v_cndmask_b32_e64 v13, 0x7f800001, v21, s13
	s_delay_alu instid0(VALU_DEP_4) | instskip(NEXT) | instid1(VALU_DEP_1)
	v_cmp_eq_u32_e64 s13, 0x7c, v20
	v_cndmask_b32_e64 v13, v9, v13, s13
.LBB2_783:                              ;   in Loop: Header=BB2_353 Depth=4
	s_or_b32 exec_lo, exec_lo, s14
	s_delay_alu instid0(VALU_DEP_1) | instskip(SKIP_2) | instid1(VALU_DEP_2)
	v_dual_mul_f32 v57, v12, v13 :: v_dual_mov_b32 v21, v3
	v_mov_b32_e32 v13, v3
                                        ; implicit-def: $vgpr56
	s_mov_b32 s14, exec_lo
	v_and_b32_e32 v20, 0x7f800000, v57
	v_and_b32_e32 v12, 0x7fffff, v57
	v_lshrrev_b32_e32 v9, 24, v57
	s_delay_alu instid0(VALU_DEP_3)
	v_cmpx_ne_u64_e32 0x7f800000, v[20:21]
	s_xor_b32 s72, exec_lo, s14
	s_cbranch_execz .LBB2_797
; %bb.784:                              ;   in Loop: Header=BB2_353 Depth=4
	v_and_b32_e32 v20, 0x7fffffff, v57
	v_mov_b32_e32 v21, v3
	v_and_b32_e32 v9, 0x80, v9
                                        ; implicit-def: $vgpr56
	s_mov_b32 s14, exec_lo
	s_delay_alu instid0(VALU_DEP_2)
	v_cmpx_gt_u64_e32 0x47600001, v[20:21]
	s_xor_b32 s73, exec_lo, s14
	s_cbranch_execz .LBB2_794
; %bb.785:                              ;   in Loop: Header=BB2_353 Depth=4
	v_mov_b32_e32 v56, 0
	s_mov_b32 s74, exec_lo
	v_cmpx_ne_u32_e32 0, v57
	s_cbranch_execz .LBB2_793
; %bb.786:                              ;   in Loop: Header=BB2_353 Depth=4
	v_bfe_u32 v79, v57, 23, 8
	v_or_b32_e32 v56, 0x800000, v12
	s_delay_alu instid0(VALU_DEP_2) | instskip(SKIP_1) | instid1(VALU_DEP_1)
	v_sub_nc_u32_e32 v20, 0x71, v79
	v_cmp_gt_u32_e64 s13, 0x72, v79
	v_cndmask_b32_e64 v20, 0, v20, s13
	v_cmp_eq_u32_e64 s13, 0, v79
	s_delay_alu instid0(VALU_DEP_1) | instskip(SKIP_1) | instid1(VALU_DEP_2)
	v_cndmask_b32_e64 v88, v20, 0x70, s13
	v_cndmask_b32_e64 v12, v56, v12, s13
	v_dual_add_nc_u32 v20, 21, v88 :: v_dual_add_nc_u32 v57, 20, v88
	s_delay_alu instid0(VALU_DEP_1) | instskip(NEXT) | instid1(VALU_DEP_2)
	v_lshlrev_b64_e64 v[20:21], v20, -1
	v_lshlrev_b64_e64 v[56:57], v57, 1
	s_delay_alu instid0(VALU_DEP_2) | instskip(SKIP_1) | instid1(VALU_DEP_4)
	v_bfi_b32 v20, v20, 0, v12
	v_lshrrev_b64 v[12:13], v88, v[12:13]
	v_bfi_b32 v21, v21, 0, 0
	s_delay_alu instid0(VALU_DEP_1) | instskip(NEXT) | instid1(VALU_DEP_3)
	v_cmp_eq_u64_e64 s14, v[20:21], v[56:57]
	v_mov_b64_e32 v[56:57], v[12:13]
	s_and_saveexec_b32 s75, s14
; %bb.787:                              ;   in Loop: Header=BB2_353 Depth=4
	v_bfe_u32 v20, v12, 21, 1
	v_mov_b32_e32 v21, v3
	s_delay_alu instid0(VALU_DEP_1) | instskip(NEXT) | instid1(VALU_DEP_1)
	v_add_nc_u64_e32 v[20:21], v[12:13], v[20:21]
	v_add_nc_u64_e32 v[56:57], -1, v[20:21]
; %bb.788:                              ;   in Loop: Header=BB2_353 Depth=4
	s_or_b32 exec_lo, exec_lo, s75
	v_add_nc_u32_e32 v13, 0xffffff81, v79
	v_lshrrev_b32_e32 v20, 23, v12
	s_mov_b32 s14, exec_lo
	s_delay_alu instid0(VALU_DEP_2) | instskip(NEXT) | instid1(VALU_DEP_1)
	v_cndmask_b32_e64 v13, v13, 0xffffff82, s13
	v_add3_u32 v57, v88, v13, v20
	v_and_b32_e32 v13, 0x1fffff, v56
                                        ; implicit-def: $vgpr56
	s_delay_alu instid0(VALU_DEP_1) | instskip(SKIP_1) | instid1(VALU_DEP_2)
	v_dual_add_nc_u32 v79, 14, v57 :: v_dual_add_nc_u32 v12, v13, v12
	v_mov_b32_e32 v13, v3
	v_cmpx_ne_u32_e32 0, v79
	s_xor_b32 s14, exec_lo, s14
; %bb.789:                              ;   in Loop: Header=BB2_353 Depth=4
	s_delay_alu instid0(VALU_DEP_2) | instskip(SKIP_1) | instid1(VALU_DEP_1)
	v_cmp_lt_u64_e64 s13, 0xffffff, v[12:13]
	v_add_nc_u32_e32 v20, 15, v57
	v_cndmask_b32_e64 v56, v79, v20, s13
	v_cndmask_b32_e64 v20, 0, 1, s13
	s_delay_alu instid0(VALU_DEP_1)
	v_lshrrev_b64 v[12:13], v20, v[12:13]
; %bb.790:                              ;   in Loop: Header=BB2_353 Depth=4
	s_and_not1_saveexec_b32 s13, s14
; %bb.791:                              ;   in Loop: Header=BB2_353 Depth=4
	s_delay_alu instid0(VALU_DEP_1)
	v_bfe_u32 v56, v12, 23, 1
; %bb.792:                              ;   in Loop: Header=BB2_353 Depth=4
	s_or_b32 exec_lo, exec_lo, s13
	s_delay_alu instid0(VALU_DEP_2) | instskip(NEXT) | instid1(VALU_DEP_2)
	v_lshrrev_b64 v[12:13], 21, v[12:13]
	v_cmp_gt_i32_e64 s13, 32, v56
	v_min_i32_e32 v20, 31, v56
	v_cmp_eq_u32_e64 s14, 0, v56
	s_delay_alu instid0(VALU_DEP_2) | instskip(SKIP_1) | instid1(VALU_DEP_2)
	v_dual_cndmask_b32 v13, 0, v13, s13 :: v_dual_lshlrev_b32 v20, 2, v20
	v_cndmask_b32_e64 v12, 3, v12, s13
	v_and_b32_e32 v20, 0xfc, v20
	s_delay_alu instid0(VALU_DEP_2) | instskip(NEXT) | instid1(VALU_DEP_2)
	v_cmp_eq_u64_e64 s13, 0, v[12:13]
	v_and_or_b32 v12, v12, 3, v20
	s_and_b32 s13, s14, s13
	s_delay_alu instid0(VALU_DEP_1) | instid1(SALU_CYCLE_1)
	v_cndmask_b32_e64 v12, v12, 0, s13
	s_delay_alu instid0(VALU_DEP_1)
	v_or_b32_e32 v56, v12, v9
.LBB2_793:                              ;   in Loop: Header=BB2_353 Depth=4
	s_or_b32 exec_lo, exec_lo, s74
                                        ; implicit-def: $vgpr9
.LBB2_794:                              ;   in Loop: Header=BB2_353 Depth=4
	s_and_not1_saveexec_b32 s13, s73
; %bb.795:                              ;   in Loop: Header=BB2_353 Depth=4
	v_or_b32_e32 v56, 0x7b, v9
; %bb.796:                              ;   in Loop: Header=BB2_353 Depth=4
	s_or_b32 exec_lo, exec_lo, s13
                                        ; implicit-def: $vgpr57
                                        ; implicit-def: $vgpr12_vgpr13
                                        ; implicit-def: $vgpr9
.LBB2_797:                              ;   in Loop: Header=BB2_353 Depth=4
	s_and_not1_saveexec_b32 s14, s72
	s_cbranch_execz .LBB2_803
; %bb.798:                              ;   in Loop: Header=BB2_353 Depth=4
	v_cmp_ne_u64_e64 s13, 0, v[12:13]
                                        ; implicit-def: $vgpr56
	s_and_saveexec_b32 s72, s13
	s_delay_alu instid0(SALU_CYCLE_1)
	s_xor_b32 s13, exec_lo, s72
; %bb.799:                              ;   in Loop: Header=BB2_353 Depth=4
	v_or_b32_e32 v56, 0x7f, v9
                                        ; implicit-def: $vgpr57
; %bb.800:                              ;   in Loop: Header=BB2_353 Depth=4
	s_and_not1_saveexec_b32 s72, s13
; %bb.801:                              ;   in Loop: Header=BB2_353 Depth=4
	v_cmp_lt_i32_e64 s13, -1, v57
	s_delay_alu instid0(VALU_DEP_1)
	v_cndmask_b32_e64 v56, 0xfc, v110, s13
; %bb.802:                              ;   in Loop: Header=BB2_353 Depth=4
	s_or_b32 exec_lo, exec_lo, s72
.LBB2_803:                              ;   in Loop: Header=BB2_353 Depth=4
	s_delay_alu instid0(SALU_CYCLE_1) | instskip(SKIP_3) | instid1(VALU_DEP_2)
	s_or_b32 exec_lo, exec_lo, s14
	v_lshrrev_b16 v12, 8, v2
	v_mov_b32_e32 v9, 0
	s_mov_b32 s14, exec_lo
	v_cmpx_ne_u16_e32 0, v12
	s_cbranch_execz .LBB2_813
; %bb.804:                              ;   in Loop: Header=BB2_353 Depth=4
	v_bfrev_b32_e32 v9, 1
	s_mov_b32 s72, exec_lo
	v_cmpx_ne_u16_e32 0x80, v12
	s_cbranch_execz .LBB2_812
; %bb.805:                              ;   in Loop: Header=BB2_353 Depth=4
	v_and_b32_e32 v57, 0xffff, v12
	s_delay_alu instid0(VALU_DEP_1) | instskip(SKIP_1) | instid1(VALU_DEP_2)
	v_and_b32_e32 v9, 0x7c, v57
	v_and_b32_e32 v13, 3, v57
	v_cmp_ne_u32_e64 s13, 0x7c, v9
                                        ; implicit-def: $vgpr9
	s_and_saveexec_b32 s73, s13
	s_delay_alu instid0(SALU_CYCLE_1)
	s_xor_b32 s73, exec_lo, s73
	s_cbranch_execz .LBB2_809
; %bb.806:                              ;   in Loop: Header=BB2_353 Depth=4
	v_bfe_u32 v9, v57, 2, 5
	s_mov_b32 s74, exec_lo
	s_delay_alu instid0(VALU_DEP_1)
	v_cmpx_eq_u32_e32 0, v9
	s_cbranch_execz .LBB2_808
; %bb.807:                              ;   in Loop: Header=BB2_353 Depth=4
	v_clz_i32_u32_e32 v9, v13
	s_delay_alu instid0(VALU_DEP_1) | instskip(SKIP_1) | instid1(VALU_DEP_2)
	v_min_u32_e32 v9, 32, v9
	v_mov_b32_e32 v13, v3
	v_subrev_nc_u32_e32 v20, 29, v9
	v_sub_nc_u32_e32 v9, 30, v9
	s_delay_alu instid0(VALU_DEP_2) | instskip(NEXT) | instid1(VALU_DEP_1)
	v_lshlrev_b64_e32 v[12:13], v20, v[12:13]
	v_and_b32_e32 v13, 3, v12
.LBB2_808:                              ;   in Loop: Header=BB2_353 Depth=4
	s_or_b32 exec_lo, exec_lo, s74
	v_lshlrev_b32_e32 v2, 16, v2
	s_delay_alu instid0(VALU_DEP_1) | instskip(NEXT) | instid1(VALU_DEP_1)
	v_and_b32_e32 v2, 0x80000000, v2
	v_lshl_add_u32 v2, v9, 23, v2
	s_delay_alu instid0(VALU_DEP_1) | instskip(NEXT) | instid1(VALU_DEP_1)
	v_lshl_or_b32 v2, v13, 21, v2
                                        ; implicit-def: $vgpr13
	v_add_nc_u32_e32 v9, 0x38000000, v2
.LBB2_809:                              ;   in Loop: Header=BB2_353 Depth=4
	s_and_not1_saveexec_b32 s73, s73
; %bb.810:                              ;   in Loop: Header=BB2_353 Depth=4
	v_cmp_lt_i16_e64 s13, -1, v2
	s_delay_alu instid0(VALU_DEP_1) | instskip(SKIP_1) | instid1(VALU_DEP_1)
	v_cndmask_b32_e64 v2, 0xff800000, v109, s13
	v_cmp_eq_u32_e64 s13, 0, v13
	v_cndmask_b32_e64 v9, 0x7f800001, v2, s13
; %bb.811:                              ;   in Loop: Header=BB2_353 Depth=4
	s_or_b32 exec_lo, exec_lo, s73
.LBB2_812:                              ;   in Loop: Header=BB2_353 Depth=4
	s_delay_alu instid0(SALU_CYCLE_1)
	s_or_b32 exec_lo, exec_lo, s72
.LBB2_813:                              ;   in Loop: Header=BB2_353 Depth=4
	s_delay_alu instid0(SALU_CYCLE_1) | instskip(SKIP_3) | instid1(VALU_DEP_1)
	s_or_b32 exec_lo, exec_lo, s14
	v_lshrrev_b16 v2, 8, v8
	s_mov_b32 s72, 0
	s_mov_b32 s14, exec_lo
	v_cmpx_lt_i16_e32 0x7f, v2
	s_xor_b32 s14, exec_lo, s14
	s_cbranch_execz .LBB2_924
; %bb.814:                              ;   in Loop: Header=BB2_353 Depth=4
	s_mov_b32 s72, -1
	s_mov_b32 s73, exec_lo
	v_cmpx_eq_u16_e32 0x80, v2
; %bb.815:                              ;   in Loop: Header=BB2_353 Depth=4
	s_xor_b32 s72, exec_lo, -1
; %bb.816:                              ;   in Loop: Header=BB2_353 Depth=4
	s_or_b32 exec_lo, exec_lo, s73
	s_delay_alu instid0(SALU_CYCLE_1)
	s_and_b32 s72, s72, exec_lo
	s_or_saveexec_b32 s14, s14
	v_bfrev_b32_e32 v12, 1
	s_xor_b32 exec_lo, exec_lo, s14
	s_cbranch_execnz .LBB2_925
.LBB2_817:                              ;   in Loop: Header=BB2_353 Depth=4
	s_or_b32 exec_lo, exec_lo, s14
	s_and_saveexec_b32 s14, s72
	s_cbranch_execz .LBB2_819
.LBB2_818:                              ;   in Loop: Header=BB2_353 Depth=4
	v_and_b32_e32 v20, 0xffff, v2
	s_delay_alu instid0(VALU_DEP_1) | instskip(NEXT) | instid1(VALU_DEP_1)
	v_and_b32_e32 v21, 3, v20
	v_clz_i32_u32_e32 v12, v21
	s_delay_alu instid0(VALU_DEP_1) | instskip(NEXT) | instid1(VALU_DEP_1)
	v_min_u32_e32 v57, 32, v12
	v_subrev_nc_u32_e32 v12, 29, v57
	s_delay_alu instid0(VALU_DEP_1) | instskip(SKIP_2) | instid1(VALU_DEP_2)
	v_lshlrev_b64_e32 v[12:13], v12, v[2:3]
	v_bfe_u32 v13, v20, 2, 5
	v_dual_lshlrev_b32 v2, 24, v2 :: v_dual_sub_nc_u32 v57, 30, v57
	v_cmp_eq_u32_e64 s13, 0, v13
	s_delay_alu instid0(VALU_DEP_2) | instskip(NEXT) | instid1(VALU_DEP_2)
	v_and_b32_e32 v2, 0x80000000, v2
	v_dual_cndmask_b32 v13, v13, v57, s13 :: v_dual_bitop2_b32 v12, 3, v12 bitop3:0x40
	s_delay_alu instid0(VALU_DEP_1) | instskip(SKIP_1) | instid1(VALU_DEP_3)
	v_cndmask_b32_e64 v12, v21, v12, s13
	v_cmp_lt_i16_e64 s13, -1, v8
	v_lshl_add_u32 v2, v13, 23, v2
	s_delay_alu instid0(VALU_DEP_2) | instskip(SKIP_1) | instid1(VALU_DEP_3)
	v_cndmask_b32_e64 v8, 0xff800000, v109, s13
	v_cmp_eq_u32_e64 s13, 0, v21
	v_lshl_or_b32 v2, v12, 21, v2
	v_and_b32_e32 v12, 0x7c, v20
	s_delay_alu instid0(VALU_DEP_3) | instskip(NEXT) | instid1(VALU_DEP_3)
	v_cndmask_b32_e64 v8, 0x7f800001, v8, s13
	v_add_nc_u32_e32 v2, 0x38000000, v2
	s_delay_alu instid0(VALU_DEP_3) | instskip(NEXT) | instid1(VALU_DEP_1)
	v_cmp_eq_u32_e64 s13, 0x7c, v12
	v_cndmask_b32_e64 v12, v2, v8, s13
.LBB2_819:                              ;   in Loop: Header=BB2_353 Depth=4
	s_or_b32 exec_lo, exec_lo, s14
	s_delay_alu instid0(VALU_DEP_1) | instskip(SKIP_1) | instid1(VALU_DEP_1)
	v_dual_mul_f32 v8, v9, v12 :: v_dual_mov_b32 v13, v3
                                        ; implicit-def: $vgpr57
	s_mov_b32 s14, exec_lo
	v_and_b32_e32 v12, 0x7f800000, v8
	v_and_b32_e32 v2, 0x7fffff, v8
	v_lshrrev_b32_e32 v9, 24, v8
	s_delay_alu instid0(VALU_DEP_3)
	v_cmpx_ne_u64_e32 0x7f800000, v[12:13]
	s_xor_b32 s72, exec_lo, s14
	s_cbranch_execz .LBB2_833
; %bb.820:                              ;   in Loop: Header=BB2_353 Depth=4
	v_and_b32_e32 v12, 0x7fffffff, v8
	v_mov_b32_e32 v13, v3
	v_and_b32_e32 v79, 0x80, v9
                                        ; implicit-def: $vgpr57
	s_mov_b32 s14, exec_lo
	s_delay_alu instid0(VALU_DEP_2)
	v_cmpx_gt_u64_e32 0x47600001, v[12:13]
	s_xor_b32 s73, exec_lo, s14
	s_cbranch_execz .LBB2_830
; %bb.821:                              ;   in Loop: Header=BB2_353 Depth=4
	v_mov_b32_e32 v57, 0
	s_mov_b32 s74, exec_lo
	v_cmpx_ne_u32_e32 0, v8
	s_cbranch_execz .LBB2_829
; %bb.822:                              ;   in Loop: Header=BB2_353 Depth=4
	v_bfe_u32 v57, v8, 23, 8
	v_or_b32_e32 v12, 0x800000, v2
	s_delay_alu instid0(VALU_DEP_2) | instskip(SKIP_1) | instid1(VALU_DEP_1)
	v_sub_nc_u32_e32 v8, 0x71, v57
	v_cmp_gt_u32_e64 s13, 0x72, v57
	v_cndmask_b32_e64 v8, 0, v8, s13
	v_cmp_eq_u32_e64 s13, 0, v57
	s_delay_alu instid0(VALU_DEP_1) | instskip(NEXT) | instid1(VALU_DEP_3)
	v_cndmask_b32_e64 v2, v12, v2, s13
	v_cndmask_b32_e64 v88, v8, 0x70, s13
	s_delay_alu instid0(VALU_DEP_1) | instskip(NEXT) | instid1(VALU_DEP_1)
	v_dual_add_nc_u32 v8, 21, v88 :: v_dual_add_nc_u32 v13, 20, v88
	v_lshlrev_b64_e64 v[8:9], v8, -1
	s_delay_alu instid0(VALU_DEP_2) | instskip(NEXT) | instid1(VALU_DEP_2)
	v_lshlrev_b64_e64 v[12:13], v13, 1
	v_bfi_b32 v21, v9, 0, 0
	s_delay_alu instid0(VALU_DEP_3) | instskip(SKIP_1) | instid1(VALU_DEP_2)
	v_bfi_b32 v20, v8, 0, v2
	v_lshrrev_b64 v[8:9], v88, v[2:3]
	v_cmp_eq_u64_e64 s14, v[20:21], v[12:13]
	s_delay_alu instid0(VALU_DEP_2)
	v_mov_b64_e32 v[12:13], v[8:9]
	s_and_saveexec_b32 s75, s14
; %bb.823:                              ;   in Loop: Header=BB2_353 Depth=4
	v_bfe_u32 v2, v8, 21, 1
	s_delay_alu instid0(VALU_DEP_1) | instskip(NEXT) | instid1(VALU_DEP_1)
	v_add_nc_u64_e32 v[12:13], v[8:9], v[2:3]
	v_add_nc_u64_e32 v[12:13], -1, v[12:13]
; %bb.824:                              ;   in Loop: Header=BB2_353 Depth=4
	s_or_b32 exec_lo, exec_lo, s75
	v_add_nc_u32_e32 v2, 0xffffff81, v57
	v_lshrrev_b32_e32 v9, 23, v8
	s_mov_b32 s14, exec_lo
	s_delay_alu instid0(VALU_DEP_2) | instskip(NEXT) | instid1(VALU_DEP_1)
	v_cndmask_b32_e64 v2, v2, 0xffffff82, s13
	v_add3_u32 v13, v88, v2, v9
	v_and_b32_e32 v2, 0x1fffff, v12
                                        ; implicit-def: $vgpr12
	s_delay_alu instid0(VALU_DEP_1) | instskip(NEXT) | instid1(VALU_DEP_1)
	v_dual_add_nc_u32 v57, 14, v13 :: v_dual_add_nc_u32 v2, v2, v8
                                        ; implicit-def: $vgpr8_vgpr9
	v_cmpx_ne_u32_e32 0, v57
	s_xor_b32 s14, exec_lo, s14
; %bb.825:                              ;   in Loop: Header=BB2_353 Depth=4
	s_delay_alu instid0(VALU_DEP_2) | instskip(SKIP_1) | instid1(VALU_DEP_1)
	v_cmp_lt_u64_e64 s13, 0xffffff, v[2:3]
	v_add_nc_u32_e32 v8, 15, v13
	v_cndmask_b32_e64 v12, v57, v8, s13
	v_cndmask_b32_e64 v8, 0, 1, s13
	s_delay_alu instid0(VALU_DEP_1)
	v_lshrrev_b64 v[8:9], v8, v[2:3]
; %bb.826:                              ;   in Loop: Header=BB2_353 Depth=4
	s_and_not1_saveexec_b32 s13, s14
; %bb.827:                              ;   in Loop: Header=BB2_353 Depth=4
	v_mov_b64_e32 v[8:9], v[2:3]
	v_bfe_u32 v12, v2, 23, 1
; %bb.828:                              ;   in Loop: Header=BB2_353 Depth=4
	s_or_b32 exec_lo, exec_lo, s13
	s_delay_alu instid0(VALU_DEP_2) | instskip(NEXT) | instid1(VALU_DEP_2)
	v_lshrrev_b64 v[8:9], 21, v[8:9]
	v_cmp_gt_i32_e64 s13, 32, v12
	v_min_i32_e32 v2, 31, v12
	v_cmp_eq_u32_e64 s14, 0, v12
	s_delay_alu instid0(VALU_DEP_2) | instskip(SKIP_1) | instid1(VALU_DEP_2)
	v_dual_cndmask_b32 v9, 0, v9, s13 :: v_dual_lshlrev_b32 v2, 2, v2
	v_cndmask_b32_e64 v8, 3, v8, s13
	v_and_b32_e32 v2, 0xfc, v2
	s_delay_alu instid0(VALU_DEP_2) | instskip(NEXT) | instid1(VALU_DEP_2)
	v_cmp_eq_u64_e64 s13, 0, v[8:9]
	v_and_or_b32 v2, v8, 3, v2
	s_and_b32 s13, s14, s13
	s_delay_alu instid0(VALU_DEP_1) | instid1(SALU_CYCLE_1)
	v_cndmask_b32_e64 v2, v2, 0, s13
	s_delay_alu instid0(VALU_DEP_1)
	v_or_b32_e32 v57, v2, v79
.LBB2_829:                              ;   in Loop: Header=BB2_353 Depth=4
	s_or_b32 exec_lo, exec_lo, s74
                                        ; implicit-def: $vgpr79
.LBB2_830:                              ;   in Loop: Header=BB2_353 Depth=4
	s_and_not1_saveexec_b32 s13, s73
; %bb.831:                              ;   in Loop: Header=BB2_353 Depth=4
	v_or_b32_e32 v57, 0x7b, v79
; %bb.832:                              ;   in Loop: Header=BB2_353 Depth=4
	s_or_b32 exec_lo, exec_lo, s13
                                        ; implicit-def: $vgpr8
                                        ; implicit-def: $vgpr9
.LBB2_833:                              ;   in Loop: Header=BB2_353 Depth=4
	s_and_not1_saveexec_b32 s14, s72
	s_cbranch_execz .LBB2_839
; %bb.834:                              ;   in Loop: Header=BB2_353 Depth=4
	v_cmp_ne_u64_e64 s13, 0, v[2:3]
                                        ; implicit-def: $vgpr57
	s_and_saveexec_b32 s72, s13
	s_delay_alu instid0(SALU_CYCLE_1)
	s_xor_b32 s13, exec_lo, s72
; %bb.835:                              ;   in Loop: Header=BB2_353 Depth=4
	v_or_b32_e32 v57, 0x7f, v9
                                        ; implicit-def: $vgpr8
; %bb.836:                              ;   in Loop: Header=BB2_353 Depth=4
	s_and_not1_saveexec_b32 s72, s13
; %bb.837:                              ;   in Loop: Header=BB2_353 Depth=4
	v_cmp_lt_i32_e64 s13, -1, v8
	s_delay_alu instid0(VALU_DEP_1)
	v_cndmask_b32_e64 v57, 0xfc, v110, s13
; %bb.838:                              ;   in Loop: Header=BB2_353 Depth=4
	s_or_b32 exec_lo, exec_lo, s72
.LBB2_839:                              ;   in Loop: Header=BB2_353 Depth=4
	s_delay_alu instid0(SALU_CYCLE_1) | instskip(SKIP_2) | instid1(VALU_DEP_1)
	s_or_b32 exec_lo, exec_lo, s14
	v_dual_lshrrev_b32 v2, 16, v15 :: v_dual_mov_b32 v8, 0
	s_mov_b32 s14, exec_lo
	v_and_b32_e32 v9, 0xff, v2
	s_delay_alu instid0(VALU_DEP_1)
	v_cmpx_ne_u16_e32 0, v9
	s_cbranch_execz .LBB2_849
; %bb.840:                              ;   in Loop: Header=BB2_353 Depth=4
	v_bfrev_b32_e32 v8, 1
	s_mov_b32 s72, exec_lo
	v_cmpx_ne_u16_e32 0x80, v9
	s_cbranch_execz .LBB2_848
; %bb.841:                              ;   in Loop: Header=BB2_353 Depth=4
	v_and_b32_e32 v8, 0x7c0000, v15
	v_bfe_u32 v9, v15, 16, 2
	s_delay_alu instid0(VALU_DEP_2) | instskip(SKIP_1) | instid1(SALU_CYCLE_1)
	v_cmp_ne_u32_e64 s13, 0x7c0000, v8
                                        ; implicit-def: $vgpr8
	s_and_saveexec_b32 s73, s13
	s_xor_b32 s73, exec_lo, s73
	s_cbranch_execz .LBB2_845
; %bb.842:                              ;   in Loop: Header=BB2_353 Depth=4
	v_bfe_u32 v8, v15, 18, 5
	s_mov_b32 s74, exec_lo
	s_delay_alu instid0(VALU_DEP_1)
	v_cmpx_eq_u32_e32 0, v8
; %bb.843:                              ;   in Loop: Header=BB2_353 Depth=4
	v_clz_i32_u32_e32 v8, v9
	s_delay_alu instid0(VALU_DEP_1) | instskip(NEXT) | instid1(VALU_DEP_1)
	v_min_u32_e32 v8, 32, v8
	v_subrev_nc_u32_e32 v9, 29, v8
	v_sub_nc_u32_e32 v8, 30, v8
	s_delay_alu instid0(VALU_DEP_2) | instskip(NEXT) | instid1(VALU_DEP_1)
	v_lshlrev_b64_e32 v[12:13], v9, v[2:3]
	v_and_b32_e32 v9, 3, v12
; %bb.844:                              ;   in Loop: Header=BB2_353 Depth=4
	s_or_b32 exec_lo, exec_lo, s74
	v_lshlrev_b32_e32 v2, 24, v2
	s_delay_alu instid0(VALU_DEP_1) | instskip(NEXT) | instid1(VALU_DEP_1)
	v_and_b32_e32 v2, 0x80000000, v2
	v_lshl_add_u32 v2, v8, 23, v2
	s_delay_alu instid0(VALU_DEP_1) | instskip(NEXT) | instid1(VALU_DEP_1)
	v_lshl_or_b32 v2, v9, 21, v2
                                        ; implicit-def: $vgpr9
	v_add_nc_u32_e32 v8, 0x38000000, v2
                                        ; implicit-def: $vgpr2
.LBB2_845:                              ;   in Loop: Header=BB2_353 Depth=4
	s_and_not1_saveexec_b32 s73, s73
; %bb.846:                              ;   in Loop: Header=BB2_353 Depth=4
	v_bfe_i32 v2, v2, 0, 8
	s_delay_alu instid0(VALU_DEP_1) | instskip(NEXT) | instid1(VALU_DEP_1)
	v_cmp_lt_i16_e64 s13, -1, v2
	v_cndmask_b32_e64 v2, 0xff800000, v109, s13
	v_cmp_eq_u32_e64 s13, 0, v9
	s_delay_alu instid0(VALU_DEP_1)
	v_cndmask_b32_e64 v8, 0x7f800001, v2, s13
; %bb.847:                              ;   in Loop: Header=BB2_353 Depth=4
	s_or_b32 exec_lo, exec_lo, s73
.LBB2_848:                              ;   in Loop: Header=BB2_353 Depth=4
	s_delay_alu instid0(SALU_CYCLE_1)
	s_or_b32 exec_lo, exec_lo, s72
.LBB2_849:                              ;   in Loop: Header=BB2_353 Depth=4
	s_delay_alu instid0(SALU_CYCLE_1) | instskip(SKIP_3) | instid1(VALU_DEP_1)
	s_or_b32 exec_lo, exec_lo, s14
	v_lshrrev_b32_e32 v2, 16, v11
	s_mov_b32 s72, 0
	s_mov_b32 s14, exec_lo
	v_and_b32_e32 v12, 0xff, v2
	s_delay_alu instid0(VALU_DEP_1)
	v_cmpx_lt_i16_e32 0x7f, v12
	s_xor_b32 s14, exec_lo, s14
	s_cbranch_execz .LBB2_926
; %bb.850:                              ;   in Loop: Header=BB2_353 Depth=4
	s_mov_b32 s72, -1
	s_mov_b32 s73, exec_lo
	v_cmpx_eq_u16_e32 0x80, v12
; %bb.851:                              ;   in Loop: Header=BB2_353 Depth=4
	s_xor_b32 s72, exec_lo, -1
; %bb.852:                              ;   in Loop: Header=BB2_353 Depth=4
	s_or_b32 exec_lo, exec_lo, s73
	s_delay_alu instid0(SALU_CYCLE_1)
	s_and_b32 s72, s72, exec_lo
                                        ; implicit-def: $vgpr12
	s_or_saveexec_b32 s14, s14
	v_bfrev_b32_e32 v9, 1
	s_xor_b32 exec_lo, exec_lo, s14
	s_cbranch_execnz .LBB2_927
.LBB2_853:                              ;   in Loop: Header=BB2_353 Depth=4
	s_or_b32 exec_lo, exec_lo, s14
	s_and_saveexec_b32 s14, s72
	s_cbranch_execz .LBB2_855
.LBB2_854:                              ;   in Loop: Header=BB2_353 Depth=4
	v_and_b32_e32 v9, 3, v2
	v_bfe_u32 v21, v11, 18, 5
	s_delay_alu instid0(VALU_DEP_2) | instskip(NEXT) | instid1(VALU_DEP_2)
	v_clz_i32_u32_e32 v12, v9
	v_cmp_eq_u32_e64 s13, 0, v21
	s_delay_alu instid0(VALU_DEP_2) | instskip(NEXT) | instid1(VALU_DEP_1)
	v_min_u32_e32 v20, 32, v12
	v_subrev_nc_u32_e32 v12, 29, v20
	v_sub_nc_u32_e32 v20, 30, v20
	s_delay_alu instid0(VALU_DEP_2) | instskip(NEXT) | instid1(VALU_DEP_2)
	v_lshlrev_b64_e32 v[12:13], v12, v[2:3]
	v_dual_lshlrev_b32 v13, 24, v2 :: v_dual_cndmask_b32 v20, v21, v20, s13
	v_bfe_i32 v2, v2, 0, 8
	s_delay_alu instid0(VALU_DEP_2) | instskip(NEXT) | instid1(VALU_DEP_4)
	v_and_b32_e32 v13, 0x80000000, v13
	v_and_b32_e32 v12, 3, v12
	s_delay_alu instid0(VALU_DEP_2) | instskip(NEXT) | instid1(VALU_DEP_2)
	v_lshl_add_u32 v13, v20, 23, v13
	v_cndmask_b32_e64 v12, v9, v12, s13
	v_cmp_lt_i16_e64 s13, -1, v2
	s_delay_alu instid0(VALU_DEP_2) | instskip(NEXT) | instid1(VALU_DEP_2)
	v_lshl_or_b32 v12, v12, 21, v13
	v_cndmask_b32_e64 v2, 0xff800000, v109, s13
	v_and_b32_e32 v13, 0x7c0000, v11
	v_cmp_eq_u32_e64 s13, 0, v9
	s_delay_alu instid0(VALU_DEP_4) | instskip(NEXT) | instid1(VALU_DEP_2)
	v_add_nc_u32_e32 v9, 0x38000000, v12
	v_cndmask_b32_e64 v2, 0x7f800001, v2, s13
	s_delay_alu instid0(VALU_DEP_4) | instskip(NEXT) | instid1(VALU_DEP_1)
	v_cmp_eq_u32_e64 s13, 0x7c0000, v13
	v_cndmask_b32_e64 v9, v9, v2, s13
.LBB2_855:                              ;   in Loop: Header=BB2_353 Depth=4
	s_or_b32 exec_lo, exec_lo, s14
	s_delay_alu instid0(VALU_DEP_1) | instskip(NEXT) | instid1(VALU_DEP_1)
	v_dual_mul_f32 v8, v8, v9 :: v_dual_mov_b32 v13, v3
	v_and_b32_e32 v12, 0x7f800000, v8
	v_and_b32_e32 v2, 0x7fffff, v8
	v_lshrrev_b32_e32 v9, 24, v8
	s_delay_alu instid0(VALU_DEP_3) | instskip(SKIP_1) | instid1(SALU_CYCLE_1)
	v_cmp_ne_u64_e64 s13, 0x7f800000, v[12:13]
                                        ; implicit-def: $vgpr12
	s_and_saveexec_b32 s14, s13
	s_xor_b32 s72, exec_lo, s14
	s_cbranch_execz .LBB2_869
; %bb.856:                              ;   in Loop: Header=BB2_353 Depth=4
	v_and_b32_e32 v12, 0x7fffffff, v8
	v_mov_b32_e32 v13, v3
	v_and_b32_e32 v79, 0x80, v9
	s_delay_alu instid0(VALU_DEP_2) | instskip(SKIP_1) | instid1(SALU_CYCLE_1)
	v_cmp_gt_u64_e64 s13, 0x47600001, v[12:13]
                                        ; implicit-def: $vgpr12
	s_and_saveexec_b32 s14, s13
	s_xor_b32 s73, exec_lo, s14
	s_cbranch_execz .LBB2_866
; %bb.857:                              ;   in Loop: Header=BB2_353 Depth=4
	v_mov_b32_e32 v12, 0
	s_mov_b32 s74, exec_lo
	v_cmpx_ne_u32_e32 0, v8
	s_cbranch_execz .LBB2_865
; %bb.858:                              ;   in Loop: Header=BB2_353 Depth=4
	v_bfe_u32 v88, v8, 23, 8
	v_or_b32_e32 v12, 0x800000, v2
	s_delay_alu instid0(VALU_DEP_2) | instskip(SKIP_1) | instid1(VALU_DEP_1)
	v_sub_nc_u32_e32 v8, 0x71, v88
	v_cmp_gt_u32_e64 s13, 0x72, v88
	v_cndmask_b32_e64 v8, 0, v8, s13
	v_cmp_eq_u32_e64 s13, 0, v88
	s_delay_alu instid0(VALU_DEP_1) | instskip(NEXT) | instid1(VALU_DEP_1)
	v_cndmask_b32_e64 v89, v8, 0x70, s13
	v_dual_cndmask_b32 v2, v12, v2, s13 :: v_dual_add_nc_u32 v8, 21, v89
	v_add_nc_u32_e32 v13, 20, v89
	s_delay_alu instid0(VALU_DEP_2) | instskip(NEXT) | instid1(VALU_DEP_2)
	v_lshlrev_b64_e64 v[8:9], v8, -1
	v_lshlrev_b64_e64 v[12:13], v13, 1
	s_delay_alu instid0(VALU_DEP_2) | instskip(NEXT) | instid1(VALU_DEP_3)
	v_bfi_b32 v21, v9, 0, 0
	v_bfi_b32 v20, v8, 0, v2
	v_lshrrev_b64 v[8:9], v89, v[2:3]
	s_delay_alu instid0(VALU_DEP_2) | instskip(NEXT) | instid1(VALU_DEP_2)
	v_cmp_eq_u64_e64 s14, v[20:21], v[12:13]
	v_mov_b64_e32 v[12:13], v[8:9]
	s_and_saveexec_b32 s75, s14
; %bb.859:                              ;   in Loop: Header=BB2_353 Depth=4
	v_bfe_u32 v2, v8, 21, 1
	s_delay_alu instid0(VALU_DEP_1) | instskip(NEXT) | instid1(VALU_DEP_1)
	v_add_nc_u64_e32 v[12:13], v[8:9], v[2:3]
	v_add_nc_u64_e32 v[12:13], -1, v[12:13]
; %bb.860:                              ;   in Loop: Header=BB2_353 Depth=4
	s_or_b32 exec_lo, exec_lo, s75
	v_add_nc_u32_e32 v2, 0xffffff81, v88
	v_lshrrev_b32_e32 v9, 23, v8
	s_mov_b32 s14, exec_lo
	s_delay_alu instid0(VALU_DEP_2) | instskip(NEXT) | instid1(VALU_DEP_1)
	v_cndmask_b32_e64 v2, v2, 0xffffff82, s13
	v_add3_u32 v13, v89, v2, v9
	v_and_b32_e32 v2, 0x1fffff, v12
                                        ; implicit-def: $vgpr12
	s_delay_alu instid0(VALU_DEP_1) | instskip(NEXT) | instid1(VALU_DEP_1)
	v_dual_add_nc_u32 v88, 14, v13 :: v_dual_add_nc_u32 v2, v2, v8
                                        ; implicit-def: $vgpr8_vgpr9
	v_cmpx_ne_u32_e32 0, v88
	s_xor_b32 s14, exec_lo, s14
; %bb.861:                              ;   in Loop: Header=BB2_353 Depth=4
	s_delay_alu instid0(VALU_DEP_2) | instskip(SKIP_1) | instid1(VALU_DEP_1)
	v_cmp_lt_u64_e64 s13, 0xffffff, v[2:3]
	v_add_nc_u32_e32 v8, 15, v13
	v_cndmask_b32_e64 v12, v88, v8, s13
	v_cndmask_b32_e64 v8, 0, 1, s13
	s_delay_alu instid0(VALU_DEP_1)
	v_lshrrev_b64 v[8:9], v8, v[2:3]
; %bb.862:                              ;   in Loop: Header=BB2_353 Depth=4
	s_and_not1_saveexec_b32 s13, s14
; %bb.863:                              ;   in Loop: Header=BB2_353 Depth=4
	v_mov_b64_e32 v[8:9], v[2:3]
	v_bfe_u32 v12, v2, 23, 1
; %bb.864:                              ;   in Loop: Header=BB2_353 Depth=4
	s_or_b32 exec_lo, exec_lo, s13
	s_delay_alu instid0(VALU_DEP_2) | instskip(NEXT) | instid1(VALU_DEP_2)
	v_lshrrev_b64 v[8:9], 21, v[8:9]
	v_cmp_gt_i32_e64 s13, 32, v12
	v_min_i32_e32 v2, 31, v12
	v_cmp_eq_u32_e64 s14, 0, v12
	s_delay_alu instid0(VALU_DEP_2) | instskip(SKIP_1) | instid1(VALU_DEP_2)
	v_dual_cndmask_b32 v9, 0, v9, s13 :: v_dual_lshlrev_b32 v2, 2, v2
	v_cndmask_b32_e64 v8, 3, v8, s13
	v_and_b32_e32 v2, 0xfc, v2
	s_delay_alu instid0(VALU_DEP_2) | instskip(NEXT) | instid1(VALU_DEP_2)
	v_cmp_eq_u64_e64 s13, 0, v[8:9]
	v_and_or_b32 v2, v8, 3, v2
	s_and_b32 s13, s14, s13
	s_delay_alu instid0(VALU_DEP_1) | instid1(SALU_CYCLE_1)
	v_cndmask_b32_e64 v2, v2, 0, s13
	s_delay_alu instid0(VALU_DEP_1)
	v_or_b32_e32 v12, v2, v79
.LBB2_865:                              ;   in Loop: Header=BB2_353 Depth=4
	s_or_b32 exec_lo, exec_lo, s74
                                        ; implicit-def: $vgpr79
.LBB2_866:                              ;   in Loop: Header=BB2_353 Depth=4
	s_and_not1_saveexec_b32 s13, s73
; %bb.867:                              ;   in Loop: Header=BB2_353 Depth=4
	v_or_b32_e32 v12, 0x7b, v79
; %bb.868:                              ;   in Loop: Header=BB2_353 Depth=4
	s_or_b32 exec_lo, exec_lo, s13
                                        ; implicit-def: $vgpr8
                                        ; implicit-def: $vgpr9
.LBB2_869:                              ;   in Loop: Header=BB2_353 Depth=4
	s_and_not1_saveexec_b32 s14, s72
	s_cbranch_execz .LBB2_875
; %bb.870:                              ;   in Loop: Header=BB2_353 Depth=4
	v_cmp_ne_u64_e64 s13, 0, v[2:3]
                                        ; implicit-def: $vgpr12
	s_and_saveexec_b32 s72, s13
	s_delay_alu instid0(SALU_CYCLE_1)
	s_xor_b32 s13, exec_lo, s72
; %bb.871:                              ;   in Loop: Header=BB2_353 Depth=4
	v_or_b32_e32 v12, 0x7f, v9
                                        ; implicit-def: $vgpr8
; %bb.872:                              ;   in Loop: Header=BB2_353 Depth=4
	s_and_not1_saveexec_b32 s72, s13
; %bb.873:                              ;   in Loop: Header=BB2_353 Depth=4
	v_cmp_lt_i32_e64 s13, -1, v8
	s_delay_alu instid0(VALU_DEP_1)
	v_cndmask_b32_e64 v12, 0xfc, v110, s13
; %bb.874:                              ;   in Loop: Header=BB2_353 Depth=4
	s_or_b32 exec_lo, exec_lo, s72
.LBB2_875:                              ;   in Loop: Header=BB2_353 Depth=4
	s_delay_alu instid0(SALU_CYCLE_1)
	s_or_b32 exec_lo, exec_lo, s14
	v_mov_b32_e32 v8, 0
	s_mov_b32 s14, exec_lo
	v_cmpx_lt_u64_e64 s[22:23], v[14:15]
	s_cbranch_execz .LBB2_885
; %bb.876:                              ;   in Loop: Header=BB2_353 Depth=4
	v_lshrrev_b32_e32 v2, 24, v15
	v_bfrev_b32_e32 v8, 1
	s_mov_b32 s72, exec_lo
	s_delay_alu instid0(VALU_DEP_2)
	v_cmpx_ne_u32_e32 0x80, v2
	s_cbranch_execz .LBB2_884
; %bb.877:                              ;   in Loop: Header=BB2_353 Depth=4
	v_and_b32_e32 v8, 0x7c000000, v15
	v_bfe_u32 v9, v15, 24, 2
	s_delay_alu instid0(VALU_DEP_2) | instskip(SKIP_1) | instid1(SALU_CYCLE_1)
	v_cmp_ne_u32_e64 s13, 0x7c000000, v8
                                        ; implicit-def: $vgpr8
	s_and_saveexec_b32 s73, s13
	s_xor_b32 s73, exec_lo, s73
	s_cbranch_execz .LBB2_881
; %bb.878:                              ;   in Loop: Header=BB2_353 Depth=4
	v_bfe_u32 v8, v15, 26, 5
	s_mov_b32 s74, exec_lo
	s_delay_alu instid0(VALU_DEP_1)
	v_cmpx_eq_u32_e32 0, v8
; %bb.879:                              ;   in Loop: Header=BB2_353 Depth=4
	v_clz_i32_u32_e32 v8, v9
	s_delay_alu instid0(VALU_DEP_1) | instskip(NEXT) | instid1(VALU_DEP_1)
	v_min_u32_e32 v8, 32, v8
	v_subrev_nc_u32_e32 v9, 29, v8
	v_sub_nc_u32_e32 v8, 30, v8
	s_delay_alu instid0(VALU_DEP_2) | instskip(NEXT) | instid1(VALU_DEP_1)
	v_lshlrev_b64_e32 v[20:21], v9, v[2:3]
	v_and_b32_e32 v9, 3, v20
; %bb.880:                              ;   in Loop: Header=BB2_353 Depth=4
	s_or_b32 exec_lo, exec_lo, s74
	v_and_b32_e32 v2, 0x80000000, v15
                                        ; implicit-def: $vgpr14_vgpr15
	s_delay_alu instid0(VALU_DEP_1) | instskip(NEXT) | instid1(VALU_DEP_1)
	v_lshl_add_u32 v2, v8, 23, v2
	v_lshl_or_b32 v2, v9, 21, v2
                                        ; implicit-def: $vgpr9
	s_delay_alu instid0(VALU_DEP_1)
	v_add_nc_u32_e32 v8, 0x38000000, v2
.LBB2_881:                              ;   in Loop: Header=BB2_353 Depth=4
	s_and_not1_saveexec_b32 s73, s73
; %bb.882:                              ;   in Loop: Header=BB2_353 Depth=4
	v_cmp_lt_i64_e64 s13, -1, v[14:15]
	s_delay_alu instid0(VALU_DEP_1) | instskip(SKIP_1) | instid1(VALU_DEP_1)
	v_cndmask_b32_e64 v2, 0xff800000, v109, s13
	v_cmp_eq_u32_e64 s13, 0, v9
	v_cndmask_b32_e64 v8, 0x7f800001, v2, s13
; %bb.883:                              ;   in Loop: Header=BB2_353 Depth=4
	s_or_b32 exec_lo, exec_lo, s73
.LBB2_884:                              ;   in Loop: Header=BB2_353 Depth=4
	s_delay_alu instid0(SALU_CYCLE_1)
	s_or_b32 exec_lo, exec_lo, s72
.LBB2_885:                              ;   in Loop: Header=BB2_353 Depth=4
	s_delay_alu instid0(SALU_CYCLE_1) | instskip(SKIP_2) | instid1(VALU_DEP_2)
	s_or_b32 exec_lo, exec_lo, s14
	v_bfe_u32 v9, v11, 24, 2
	v_bfe_u32 v20, v11, 26, 5
	v_clz_i32_u32_e32 v2, v9
	s_delay_alu instid0(VALU_DEP_2) | instskip(NEXT) | instid1(VALU_DEP_2)
	v_cmp_eq_u32_e64 s13, 0, v20
	v_min_u32_e32 v13, 32, v2
	v_lshrrev_b32_e32 v2, 24, v11
	s_delay_alu instid0(VALU_DEP_2) | instskip(SKIP_1) | instid1(VALU_DEP_2)
	v_subrev_nc_u32_e32 v14, 29, v13
	v_sub_nc_u32_e32 v13, 30, v13
	v_lshlrev_b64_e32 v[14:15], v14, v[2:3]
	s_delay_alu instid0(VALU_DEP_2) | instskip(SKIP_1) | instid1(VALU_DEP_3)
	v_cndmask_b32_e64 v13, v20, v13, s13
	v_and_b32_e32 v15, 0x80000000, v11
	v_and_b32_e32 v14, 3, v14
	s_delay_alu instid0(VALU_DEP_2) | instskip(NEXT) | instid1(VALU_DEP_2)
	v_lshl_add_u32 v13, v13, 23, v15
	v_cndmask_b32_e64 v14, v9, v14, s13
	v_cmp_lt_i64_e64 s13, -1, v[10:11]
	s_delay_alu instid0(VALU_DEP_2) | instskip(SKIP_1) | instid1(VALU_DEP_3)
	v_lshl_or_b32 v13, v14, 21, v13
	v_and_b32_e32 v14, 0x7c000000, v11
	v_cndmask_b32_e64 v15, 0xff800000, v109, s13
	v_cmp_eq_u32_e64 s13, 0, v9
	s_delay_alu instid0(VALU_DEP_4) | instskip(NEXT) | instid1(VALU_DEP_2)
	v_add_nc_u32_e32 v13, 0x38000000, v13
	v_cndmask_b32_e64 v9, 0x7f800001, v15, s13
	v_cmp_eq_u32_e64 s13, 0x7c000000, v14
	s_delay_alu instid0(VALU_DEP_1) | instskip(SKIP_1) | instid1(VALU_DEP_1)
	v_cndmask_b32_e64 v9, v13, v9, s13
	v_cmp_ne_u32_e64 s13, 0x80, v2
	v_cndmask_b32_e64 v2, 0x80000000, v9, s13
	v_cmp_lt_u64_e64 s13, s[22:23], v[10:11]
	s_delay_alu instid0(VALU_DEP_1) | instskip(NEXT) | instid1(VALU_DEP_1)
	v_cndmask_b32_e64 v2, 0, v2, s13
	v_dual_mul_f32 v9, v2, v8 :: v_dual_mov_b32 v11, v3
                                        ; implicit-def: $vgpr8
	s_delay_alu instid0(VALU_DEP_1) | instskip(SKIP_1) | instid1(VALU_DEP_2)
	v_and_b32_e32 v10, 0x7f800000, v9
	v_and_b32_e32 v2, 0x7fffff, v9
	v_cmp_ne_u64_e64 s13, 0x7f800000, v[10:11]
	v_lshrrev_b32_e32 v10, 24, v9
	s_and_saveexec_b32 s14, s13
	s_delay_alu instid0(SALU_CYCLE_1)
	s_xor_b32 s72, exec_lo, s14
	s_cbranch_execz .LBB2_899
; %bb.886:                              ;   in Loop: Header=BB2_353 Depth=4
	v_and_b32_e32 v14, 0x7fffffff, v9
	v_mov_b32_e32 v15, v3
	v_and_b32_e32 v13, 0x80, v10
                                        ; implicit-def: $vgpr8
	s_mov_b32 s14, exec_lo
	s_delay_alu instid0(VALU_DEP_2)
	v_cmpx_gt_u64_e32 0x47600001, v[14:15]
	s_xor_b32 s73, exec_lo, s14
	s_cbranch_execz .LBB2_896
; %bb.887:                              ;   in Loop: Header=BB2_353 Depth=4
	v_mov_b32_e32 v8, 0
	s_mov_b32 s74, exec_lo
	v_cmpx_ne_u32_e32 0, v9
	s_cbranch_execz .LBB2_895
; %bb.888:                              ;   in Loop: Header=BB2_353 Depth=4
	v_bfe_u32 v14, v9, 23, 8
	v_or_b32_e32 v10, 0x800000, v2
	s_delay_alu instid0(VALU_DEP_2) | instskip(SKIP_1) | instid1(VALU_DEP_1)
	v_sub_nc_u32_e32 v8, 0x71, v14
	v_cmp_gt_u32_e64 s13, 0x72, v14
	v_cndmask_b32_e64 v8, 0, v8, s13
	v_cmp_eq_u32_e64 s13, 0, v14
	s_delay_alu instid0(VALU_DEP_1) | instskip(NEXT) | instid1(VALU_DEP_1)
	v_cndmask_b32_e64 v15, v8, 0x70, s13
	v_dual_cndmask_b32 v2, v10, v2, s13 :: v_dual_add_nc_u32 v8, 21, v15
	v_add_nc_u32_e32 v11, 20, v15
	s_delay_alu instid0(VALU_DEP_2) | instskip(NEXT) | instid1(VALU_DEP_2)
	v_lshlrev_b64_e64 v[8:9], v8, -1
	v_lshlrev_b64_e64 v[10:11], v11, 1
	s_delay_alu instid0(VALU_DEP_2) | instskip(NEXT) | instid1(VALU_DEP_3)
	v_bfi_b32 v21, v9, 0, 0
	v_bfi_b32 v20, v8, 0, v2
	v_lshrrev_b64 v[8:9], v15, v[2:3]
	s_delay_alu instid0(VALU_DEP_2) | instskip(NEXT) | instid1(VALU_DEP_2)
	v_cmp_eq_u64_e64 s14, v[20:21], v[10:11]
	v_mov_b64_e32 v[10:11], v[8:9]
	s_and_saveexec_b32 s75, s14
; %bb.889:                              ;   in Loop: Header=BB2_353 Depth=4
	v_bfe_u32 v2, v8, 21, 1
	s_delay_alu instid0(VALU_DEP_1) | instskip(NEXT) | instid1(VALU_DEP_1)
	v_add_nc_u64_e32 v[10:11], v[8:9], v[2:3]
	v_add_nc_u64_e32 v[10:11], -1, v[10:11]
; %bb.890:                              ;   in Loop: Header=BB2_353 Depth=4
	s_or_b32 exec_lo, exec_lo, s75
	v_add_nc_u32_e32 v2, 0xffffff81, v14
	v_lshrrev_b32_e32 v9, 23, v8
	s_mov_b32 s14, exec_lo
	s_delay_alu instid0(VALU_DEP_2) | instskip(NEXT) | instid1(VALU_DEP_1)
	v_cndmask_b32_e64 v2, v2, 0xffffff82, s13
	v_add3_u32 v11, v15, v2, v9
	v_and_b32_e32 v2, 0x1fffff, v10
                                        ; implicit-def: $vgpr10
	s_delay_alu instid0(VALU_DEP_1) | instskip(NEXT) | instid1(VALU_DEP_1)
	v_dual_add_nc_u32 v14, 14, v11 :: v_dual_add_nc_u32 v2, v2, v8
                                        ; implicit-def: $vgpr8_vgpr9
	v_cmpx_ne_u32_e32 0, v14
	s_xor_b32 s14, exec_lo, s14
; %bb.891:                              ;   in Loop: Header=BB2_353 Depth=4
	s_delay_alu instid0(VALU_DEP_2) | instskip(SKIP_1) | instid1(VALU_DEP_1)
	v_cmp_lt_u64_e64 s13, 0xffffff, v[2:3]
	v_add_nc_u32_e32 v8, 15, v11
	v_cndmask_b32_e64 v10, v14, v8, s13
	v_cndmask_b32_e64 v8, 0, 1, s13
	s_delay_alu instid0(VALU_DEP_1)
	v_lshrrev_b64 v[8:9], v8, v[2:3]
; %bb.892:                              ;   in Loop: Header=BB2_353 Depth=4
	s_and_not1_saveexec_b32 s13, s14
; %bb.893:                              ;   in Loop: Header=BB2_353 Depth=4
	v_mov_b64_e32 v[8:9], v[2:3]
	v_bfe_u32 v10, v2, 23, 1
; %bb.894:                              ;   in Loop: Header=BB2_353 Depth=4
	s_or_b32 exec_lo, exec_lo, s13
	s_delay_alu instid0(VALU_DEP_2) | instskip(NEXT) | instid1(VALU_DEP_2)
	v_lshrrev_b64 v[8:9], 21, v[8:9]
	v_cmp_gt_i32_e64 s13, 32, v10
	v_min_i32_e32 v2, 31, v10
	v_cmp_eq_u32_e64 s14, 0, v10
	s_delay_alu instid0(VALU_DEP_2) | instskip(SKIP_1) | instid1(VALU_DEP_2)
	v_dual_cndmask_b32 v9, 0, v9, s13 :: v_dual_lshlrev_b32 v2, 2, v2
	v_cndmask_b32_e64 v8, 3, v8, s13
	v_and_b32_e32 v2, 0xfc, v2
	s_delay_alu instid0(VALU_DEP_2) | instskip(NEXT) | instid1(VALU_DEP_2)
	v_cmp_eq_u64_e64 s13, 0, v[8:9]
	v_and_or_b32 v2, v8, 3, v2
	s_and_b32 s13, s14, s13
	s_delay_alu instid0(VALU_DEP_1) | instid1(SALU_CYCLE_1)
	v_cndmask_b32_e64 v2, v2, 0, s13
	s_delay_alu instid0(VALU_DEP_1)
	v_or_b32_e32 v8, v2, v13
.LBB2_895:                              ;   in Loop: Header=BB2_353 Depth=4
	s_or_b32 exec_lo, exec_lo, s74
                                        ; implicit-def: $vgpr13
.LBB2_896:                              ;   in Loop: Header=BB2_353 Depth=4
	s_and_not1_saveexec_b32 s13, s73
; %bb.897:                              ;   in Loop: Header=BB2_353 Depth=4
	v_or_b32_e32 v8, 0x7b, v13
; %bb.898:                              ;   in Loop: Header=BB2_353 Depth=4
	s_or_b32 exec_lo, exec_lo, s13
                                        ; implicit-def: $vgpr9
                                        ; implicit-def: $vgpr10
.LBB2_899:                              ;   in Loop: Header=BB2_353 Depth=4
	s_and_not1_saveexec_b32 s14, s72
	s_cbranch_execz .LBB2_352
; %bb.900:                              ;   in Loop: Header=BB2_353 Depth=4
	v_cmp_ne_u64_e64 s13, 0, v[2:3]
                                        ; implicit-def: $vgpr8
	s_and_saveexec_b32 s72, s13
	s_delay_alu instid0(SALU_CYCLE_1)
	s_xor_b32 s13, exec_lo, s72
; %bb.901:                              ;   in Loop: Header=BB2_353 Depth=4
	v_or_b32_e32 v8, 0x7f, v10
                                        ; implicit-def: $vgpr9
; %bb.902:                              ;   in Loop: Header=BB2_353 Depth=4
	s_and_not1_saveexec_b32 s72, s13
	s_cbranch_execz .LBB2_351
; %bb.903:                              ;   in Loop: Header=BB2_353 Depth=4
	v_cmp_lt_i32_e64 s13, -1, v9
	s_delay_alu instid0(VALU_DEP_1)
	v_cndmask_b32_e64 v8, 0xfc, v110, s13
	s_branch .LBB2_351
.LBB2_904:                              ;   in Loop: Header=BB2_353 Depth=4
	s_or_saveexec_b32 s14, s14
	v_bfrev_b32_e32 v18, 1
	s_xor_b32 exec_lo, exec_lo, s14
	s_cbranch_execz .LBB2_367
.LBB2_905:                              ;   in Loop: Header=BB2_353 Depth=4
	v_cmp_ne_u16_e64 s13, 0, v19
	v_mov_b32_e32 v18, 0
	s_and_not1_b32 s72, s72, exec_lo
	s_and_b32 s13, s13, exec_lo
	s_delay_alu instid0(SALU_CYCLE_1)
	s_or_b32 s72, s72, s13
	s_or_b32 exec_lo, exec_lo, s14
	s_and_saveexec_b32 s14, s72
	s_cbranch_execnz .LBB2_368
	s_branch .LBB2_369
.LBB2_906:                              ;   in Loop: Header=BB2_353 Depth=4
	s_or_saveexec_b32 s14, s14
	v_bfrev_b32_e32 v19, 1
	s_xor_b32 exec_lo, exec_lo, s14
	s_cbranch_execz .LBB2_403
.LBB2_907:                              ;   in Loop: Header=BB2_353 Depth=4
	v_cmp_ne_u16_e64 s13, 0, v2
	v_mov_b32_e32 v19, 0
	s_and_not1_b32 s72, s72, exec_lo
	s_and_b32 s13, s13, exec_lo
	s_delay_alu instid0(SALU_CYCLE_1)
	s_or_b32 s72, s72, s13
	s_or_b32 exec_lo, exec_lo, s14
	s_and_saveexec_b32 s14, s72
	s_cbranch_execnz .LBB2_404
	s_branch .LBB2_405
.LBB2_908:                              ;   in Loop: Header=BB2_353 Depth=4
	s_or_saveexec_b32 s14, s14
	v_bfrev_b32_e32 v19, 1
	s_xor_b32 exec_lo, exec_lo, s14
	s_cbranch_execz .LBB2_439
.LBB2_909:                              ;   in Loop: Header=BB2_353 Depth=4
	v_cmp_ne_u16_e64 s13, 0, v56
	v_mov_b32_e32 v19, 0
	s_and_not1_b32 s72, s72, exec_lo
	s_and_b32 s13, s13, exec_lo
	s_delay_alu instid0(SALU_CYCLE_1)
	s_or_b32 s72, s72, s13
	s_or_b32 exec_lo, exec_lo, s14
	s_and_saveexec_b32 s14, s72
	s_cbranch_execnz .LBB2_440
	s_branch .LBB2_441
.LBB2_910:                              ;   in Loop: Header=BB2_353 Depth=4
	s_or_saveexec_b32 s14, s14
	v_bfrev_b32_e32 v19, 1
	s_xor_b32 exec_lo, exec_lo, s14
	s_cbranch_execz .LBB2_505
.LBB2_911:                              ;   in Loop: Header=BB2_353 Depth=4
	v_cmp_ne_u16_e64 s13, 0, v57
	v_mov_b32_e32 v19, 0
	s_and_not1_b32 s72, s72, exec_lo
	s_and_b32 s13, s13, exec_lo
	s_delay_alu instid0(SALU_CYCLE_1)
	s_or_b32 s72, s72, s13
	s_or_b32 exec_lo, exec_lo, s14
	v_mov_b32_e32 v57, v3
	s_and_saveexec_b32 s14, s72
	s_cbranch_execnz .LBB2_506
	s_branch .LBB2_507
.LBB2_912:                              ;   in Loop: Header=BB2_353 Depth=4
	s_or_saveexec_b32 s14, s14
	v_bfrev_b32_e32 v19, 1
	s_xor_b32 exec_lo, exec_lo, s14
	s_cbranch_execz .LBB2_541
.LBB2_913:                              ;   in Loop: Header=BB2_353 Depth=4
	v_cmp_ne_u16_e64 s13, 0, v2
	v_mov_b32_e32 v19, 0
	s_and_not1_b32 s72, s72, exec_lo
	s_and_b32 s13, s13, exec_lo
	s_delay_alu instid0(SALU_CYCLE_1)
	s_or_b32 s72, s72, s13
	s_or_b32 exec_lo, exec_lo, s14
	s_and_saveexec_b32 s14, s72
	s_cbranch_execnz .LBB2_542
	s_branch .LBB2_543
.LBB2_914:                              ;   in Loop: Header=BB2_353 Depth=4
	s_or_saveexec_b32 s14, s14
	v_bfrev_b32_e32 v19, 1
	s_xor_b32 exec_lo, exec_lo, s14
	s_cbranch_execz .LBB2_577
.LBB2_915:                              ;   in Loop: Header=BB2_353 Depth=4
	v_cmp_ne_u16_e64 s13, 0, v56
	v_mov_b32_e32 v19, 0
	s_and_not1_b32 s72, s72, exec_lo
	s_and_b32 s13, s13, exec_lo
	s_delay_alu instid0(SALU_CYCLE_1)
	s_or_b32 s72, s72, s13
	s_or_b32 exec_lo, exec_lo, s14
	s_and_saveexec_b32 s14, s72
	s_cbranch_execnz .LBB2_578
	s_branch .LBB2_579
.LBB2_916:                              ;   in Loop: Header=BB2_353 Depth=4
	s_or_saveexec_b32 s14, s14
	v_bfrev_b32_e32 v8, 1
	s_xor_b32 exec_lo, exec_lo, s14
	s_cbranch_execz .LBB2_643
.LBB2_917:                              ;   in Loop: Header=BB2_353 Depth=4
	v_cmp_ne_u16_e64 s13, 0, v9
	v_mov_b32_e32 v8, 0
	s_and_not1_b32 s72, s72, exec_lo
	s_and_b32 s13, s13, exec_lo
	s_delay_alu instid0(SALU_CYCLE_1)
	s_or_b32 s72, s72, s13
	s_or_b32 exec_lo, exec_lo, s14
	s_and_saveexec_b32 s14, s72
	s_cbranch_execnz .LBB2_644
	s_branch .LBB2_645
.LBB2_918:                              ;   in Loop: Header=BB2_353 Depth=4
	s_or_saveexec_b32 s14, s14
	v_bfrev_b32_e32 v9, 1
	s_xor_b32 exec_lo, exec_lo, s14
	s_cbranch_execz .LBB2_679
.LBB2_919:                              ;   in Loop: Header=BB2_353 Depth=4
	v_cmp_ne_u16_e64 s13, 0, v2
	v_mov_b32_e32 v9, 0
	s_and_not1_b32 s72, s72, exec_lo
	s_and_b32 s13, s13, exec_lo
	s_delay_alu instid0(SALU_CYCLE_1)
	s_or_b32 s72, s72, s13
	s_or_b32 exec_lo, exec_lo, s14
	s_and_saveexec_b32 s14, s72
	s_cbranch_execnz .LBB2_680
	s_branch .LBB2_681
.LBB2_920:                              ;   in Loop: Header=BB2_353 Depth=4
	s_or_saveexec_b32 s14, s14
	v_bfrev_b32_e32 v9, 1
	s_xor_b32 exec_lo, exec_lo, s14
	s_cbranch_execz .LBB2_715
.LBB2_921:                              ;   in Loop: Header=BB2_353 Depth=4
	v_cmp_ne_u16_e64 s13, 0, v12
	v_mov_b32_e32 v9, 0
	s_and_not1_b32 s72, s72, exec_lo
	s_and_b32 s13, s13, exec_lo
	s_delay_alu instid0(SALU_CYCLE_1)
	s_or_b32 s72, s72, s13
	s_or_b32 exec_lo, exec_lo, s14
	s_and_saveexec_b32 s14, s72
	s_cbranch_execnz .LBB2_716
	s_branch .LBB2_717
.LBB2_922:                              ;   in Loop: Header=BB2_353 Depth=4
	s_or_saveexec_b32 s14, s14
	v_bfrev_b32_e32 v13, 1
	s_xor_b32 exec_lo, exec_lo, s14
	s_cbranch_execz .LBB2_781
.LBB2_923:                              ;   in Loop: Header=BB2_353 Depth=4
	v_cmp_ne_u16_e64 s13, 0, v9
	v_mov_b32_e32 v13, 0
	s_and_not1_b32 s72, s72, exec_lo
	s_and_b32 s13, s13, exec_lo
	s_delay_alu instid0(SALU_CYCLE_1)
	s_or_b32 s72, s72, s13
	s_or_b32 exec_lo, exec_lo, s14
	v_mov_b32_e32 v9, v3
	s_and_saveexec_b32 s14, s72
	s_cbranch_execnz .LBB2_782
	s_branch .LBB2_783
.LBB2_924:                              ;   in Loop: Header=BB2_353 Depth=4
	s_or_saveexec_b32 s14, s14
	v_bfrev_b32_e32 v12, 1
	s_xor_b32 exec_lo, exec_lo, s14
	s_cbranch_execz .LBB2_817
.LBB2_925:                              ;   in Loop: Header=BB2_353 Depth=4
	v_cmp_ne_u16_e64 s13, 0, v2
	v_mov_b32_e32 v12, 0
	s_and_not1_b32 s72, s72, exec_lo
	s_and_b32 s13, s13, exec_lo
	s_delay_alu instid0(SALU_CYCLE_1)
	s_or_b32 s72, s72, s13
	s_or_b32 exec_lo, exec_lo, s14
	s_and_saveexec_b32 s14, s72
	s_cbranch_execnz .LBB2_818
	s_branch .LBB2_819
.LBB2_926:                              ;   in Loop: Header=BB2_353 Depth=4
	s_or_saveexec_b32 s14, s14
	v_bfrev_b32_e32 v9, 1
	s_xor_b32 exec_lo, exec_lo, s14
	s_cbranch_execz .LBB2_853
.LBB2_927:                              ;   in Loop: Header=BB2_353 Depth=4
	v_cmp_ne_u16_e64 s13, 0, v12
	v_mov_b32_e32 v9, 0
	s_and_not1_b32 s72, s72, exec_lo
	s_and_b32 s13, s13, exec_lo
	s_delay_alu instid0(SALU_CYCLE_1)
	s_or_b32 s72, s72, s13
	s_or_b32 exec_lo, exec_lo, s14
	s_and_saveexec_b32 s14, s72
	s_cbranch_execnz .LBB2_854
	s_branch .LBB2_855
.LBB2_928:                              ;   in Loop: Header=BB2_274 Depth=3
	s_or_b32 exec_lo, exec_lo, s63
.LBB2_929:                              ;   in Loop: Header=BB2_274 Depth=3
	s_delay_alu instid0(SALU_CYCLE_1) | instskip(SKIP_3) | instid1(VALU_DEP_1)
	s_or_b32 exec_lo, exec_lo, s62
	v_dual_mov_b32 v93, 0 :: v_dual_bitop2_b32 v8, 15, v113 bitop3:0x40
	s_mov_b32 s63, 0
	s_mov_b32 s62, exec_lo
                                        ; implicit-def: $vgpr94
                                        ; implicit-def: $vgpr95
                                        ; implicit-def: $vgpr2
	v_cndmask_b32_e32 v115, v63, v8, vcc_lo
	s_delay_alu instid0(VALU_DEP_1)
	v_cmpx_ne_u32_e32 0, v115
	s_cbranch_execz .LBB2_1513
; %bb.930:                              ;   in Loop: Header=BB2_274 Depth=3
	v_cmp_lt_i32_e64 s13, 0, v72
	s_mov_b32 s63, exec_lo
	v_dual_ashrrev_i32 v10, 31, v115 :: v_dual_sub_nc_u32 v8, v63, v8
	s_delay_alu instid0(VALU_DEP_1) | instskip(NEXT) | instid1(VALU_DEP_1)
	v_dual_cndmask_b32 v2, 0, v36, s13 :: v_dual_lshrrev_b32 v10, 23, v10
	v_sub_nc_u32_e32 v2, v2, v72
	s_delay_alu instid0(VALU_DEP_1) | instskip(NEXT) | instid1(VALU_DEP_1)
	v_lshl_add_u32 v2, v2, 5, v121
	v_ashrrev_i32_e32 v9, 31, v2
	s_delay_alu instid0(VALU_DEP_1) | instskip(NEXT) | instid1(VALU_DEP_1)
	v_lshrrev_b32_e32 v9, 27, v9
	v_dual_add_nc_u32 v9, v2, v9 :: v_dual_add_nc_u32 v10, v115, v10
	s_delay_alu instid0(VALU_DEP_1) | instskip(SKIP_1) | instid1(VALU_DEP_3)
	v_and_b32_e32 v11, 0xffffffe0, v9
	v_ashrrev_i32_e32 v9, 5, v9
	v_and_b32_e32 v72, 0xfffffe00, v10
	s_delay_alu instid0(VALU_DEP_3) | instskip(NEXT) | instid1(VALU_DEP_1)
	v_dual_ashrrev_i32 v10, 9, v10 :: v_dual_sub_nc_u32 v73, v2, v11
	v_dual_sub_nc_u32 v63, v115, v72 :: v_dual_lshlrev_b32 v2, 4, v73
	s_delay_alu instid0(VALU_DEP_1) | instskip(SKIP_1) | instid1(VALU_DEP_3)
	v_lshl_add_u32 v2, v9, 9, v2
	v_cndmask_b32_e32 v8, 0, v8, vcc_lo
	v_cmp_lt_i32_e32 vcc_lo, 15, v63
	s_delay_alu instid0(VALU_DEP_3) | instskip(SKIP_1) | instid1(VALU_DEP_1)
	v_sub_nc_u32_e32 v75, v115, v2
	v_add_co_ci_u32_e64 v10, null, 0, v10, vcc_lo
	v_dual_add_nc_u32 v62, v8, v62 :: v_dual_sub_nc_u32 v74, v10, v9
	s_delay_alu instid0(VALU_DEP_3)
	v_cmpx_lt_i32_e32 15, v75
	s_cbranch_execz .LBB2_1510
; %bb.931:                              ;   in Loop: Header=BB2_274 Depth=3
	s_trap 2
	ds_load_b64 v[8:9], v0
	v_add_nc_u32_e32 v10, v2, v62
	s_mov_b32 s72, 0
	s_delay_alu instid0(VALU_DEP_1) | instskip(NEXT) | instid1(VALU_DEP_1)
	v_ashrrev_i32_e32 v11, 31, v10
	v_add_nc_u64_e32 v[42:43], v[10:11], v[118:119]
	v_add_nc_u64_e32 v[46:47], v[10:11], v[40:41]
	s_wait_dscnt 0x0
	v_add_nc_u64_e32 v[44:45], v[8:9], v[10:11]
	s_branch .LBB2_934
.LBB2_932:                              ;   in Loop: Header=BB2_934 Depth=4
	s_or_b32 exec_lo, exec_lo, s73
.LBB2_933:                              ;   in Loop: Header=BB2_934 Depth=4
	s_delay_alu instid0(SALU_CYCLE_1)
	s_or_b32 exec_lo, exec_lo, s14
	v_lshl_or_b32 v2, v61, 8, v60
	v_dual_lshlrev_b32 v9, 16, v58 :: v_dual_lshlrev_b32 v14, 24, v79
	v_dual_lshlrev_b32 v10, 24, v18 :: v_dual_lshlrev_b32 v18, 16, v88
	v_lshl_or_b32 v11, v77, 8, v76
	v_lshlrev_b32_e32 v13, 16, v78
	v_lshl_or_b32 v15, v59, 8, v19
	v_dual_lshlrev_b32 v19, 24, v89 :: v_dual_lshlrev_b32 v20, 24, v8
	v_dual_sub_nc_u32 v75, v75, v66 :: v_dual_lshlrev_b32 v12, 16, v12
	v_lshl_or_b32 v21, v57, 8, v56
	v_or3_b32 v9, v2, v9, v10
	v_or3_b32 v8, v11, v13, v14
	;; [unrolled: 1-line block ×3, first 2 shown]
	v_add_nc_u64_e32 v[42:43], v[42:43], v[66:67]
	v_or3_b32 v11, v21, v12, v20
	v_add_nc_u64_e32 v[44:45], v[44:45], v[66:67]
	v_cmp_gt_i32_e64 s13, 16, v75
	v_sub_nc_u32_e32 v74, v74, v36
	global_store_b128 v[46:47], v[8:11], off th:TH_STORE_NT
	s_wait_xcnt 0x0
	v_add_nc_u64_e32 v[46:47], v[46:47], v[66:67]
	s_or_b32 s72, s13, s72
	s_delay_alu instid0(SALU_CYCLE_1)
	s_and_not1_b32 exec_lo, exec_lo, s72
	s_cbranch_execz .LBB2_1509
.LBB2_934:                              ;   Parent Loop BB2_47 Depth=1
                                        ;     Parent Loop BB2_271 Depth=2
                                        ;       Parent Loop BB2_274 Depth=3
                                        ; =>      This Inner Loop Header: Depth=4
	global_load_b128 v[12:15], v[42:43], off th:TH_LOAD_NT
	global_load_b128 v[8:11], v[44:45], off th:TH_LOAD_NT
	s_wait_loadcnt 0x1
	v_and_b32_e32 v2, 0xff, v12
	s_delay_alu instid0(VALU_DEP_1)
	v_cmp_ne_u16_e64 s13, 0, v2
	v_mov_b32_e32 v2, 0
	s_wait_xcnt 0x0
	s_and_saveexec_b32 s14, s13
	s_cbranch_execz .LBB2_944
; %bb.935:                              ;   in Loop: Header=BB2_934 Depth=4
	v_bfe_i32 v19, v12, 0, 8
	v_bfrev_b32_e32 v2, 1
	s_mov_b32 s73, exec_lo
	s_delay_alu instid0(VALU_DEP_2)
	v_cmpx_ne_u16_e32 0xff80, v19
	s_cbranch_execz .LBB2_943
; %bb.936:                              ;   in Loop: Header=BB2_934 Depth=4
	v_and_b32_e32 v2, 0x7c, v12
	v_and_b32_e32 v18, 3, v12
	s_delay_alu instid0(VALU_DEP_2) | instskip(SKIP_1) | instid1(SALU_CYCLE_1)
	v_cmp_ne_u32_e64 s13, 0x7c, v2
                                        ; implicit-def: $vgpr2
	s_and_saveexec_b32 s74, s13
	s_xor_b32 s74, exec_lo, s74
	s_cbranch_execz .LBB2_940
; %bb.937:                              ;   in Loop: Header=BB2_934 Depth=4
	v_bfe_u32 v2, v12, 2, 5
	s_mov_b32 s75, exec_lo
	s_delay_alu instid0(VALU_DEP_1)
	v_cmpx_eq_u32_e32 0, v2
; %bb.938:                              ;   in Loop: Header=BB2_934 Depth=4
	v_clz_i32_u32_e32 v2, v18
	s_delay_alu instid0(VALU_DEP_1) | instskip(NEXT) | instid1(VALU_DEP_1)
	v_min_u32_e32 v2, 32, v2
	v_subrev_nc_u32_e32 v18, 29, v2
	v_sub_nc_u32_e32 v2, 30, v2
	s_delay_alu instid0(VALU_DEP_2) | instskip(NEXT) | instid1(VALU_DEP_1)
	v_lshlrev_b64_e32 v[18:19], v18, v[12:13]
	v_and_b32_e32 v18, 3, v18
; %bb.939:                              ;   in Loop: Header=BB2_934 Depth=4
	s_or_b32 exec_lo, exec_lo, s75
	v_lshlrev_b32_e32 v19, 24, v12
	s_delay_alu instid0(VALU_DEP_1) | instskip(NEXT) | instid1(VALU_DEP_1)
	v_and_b32_e32 v19, 0x80000000, v19
	v_lshl_add_u32 v2, v2, 23, v19
                                        ; implicit-def: $vgpr19
	s_delay_alu instid0(VALU_DEP_1) | instskip(NEXT) | instid1(VALU_DEP_1)
	v_lshl_or_b32 v2, v18, 21, v2
                                        ; implicit-def: $vgpr18
	v_add_nc_u32_e32 v2, 0x38000000, v2
.LBB2_940:                              ;   in Loop: Header=BB2_934 Depth=4
	s_and_not1_saveexec_b32 s74, s74
; %bb.941:                              ;   in Loop: Header=BB2_934 Depth=4
	v_cmp_lt_i16_e64 s13, -1, v19
	s_delay_alu instid0(VALU_DEP_1) | instskip(SKIP_1) | instid1(VALU_DEP_1)
	v_cndmask_b32_e64 v2, 0xff800000, v109, s13
	v_cmp_eq_u32_e64 s13, 0, v18
	v_cndmask_b32_e64 v2, 0x7f800001, v2, s13
; %bb.942:                              ;   in Loop: Header=BB2_934 Depth=4
	s_or_b32 exec_lo, exec_lo, s74
.LBB2_943:                              ;   in Loop: Header=BB2_934 Depth=4
	s_delay_alu instid0(SALU_CYCLE_1)
	s_or_b32 exec_lo, exec_lo, s73
.LBB2_944:                              ;   in Loop: Header=BB2_934 Depth=4
	s_delay_alu instid0(SALU_CYCLE_1) | instskip(SKIP_4) | instid1(VALU_DEP_1)
	s_or_b32 exec_lo, exec_lo, s14
	s_wait_loadcnt 0x0
	v_and_b32_e32 v19, 0xff, v8
	s_mov_b32 s73, 0
	s_mov_b32 s14, exec_lo
	v_cmpx_lt_i16_e32 0x7f, v19
	s_xor_b32 s14, exec_lo, s14
	s_cbranch_execz .LBB2_1485
; %bb.945:                              ;   in Loop: Header=BB2_934 Depth=4
	s_mov_b32 s73, -1
	s_mov_b32 s74, exec_lo
	v_cmpx_eq_u16_e32 0x80, v19
; %bb.946:                              ;   in Loop: Header=BB2_934 Depth=4
	s_xor_b32 s73, exec_lo, -1
; %bb.947:                              ;   in Loop: Header=BB2_934 Depth=4
	s_or_b32 exec_lo, exec_lo, s74
	s_delay_alu instid0(SALU_CYCLE_1)
	s_and_b32 s73, s73, exec_lo
                                        ; implicit-def: $vgpr19
	s_or_saveexec_b32 s14, s14
	v_bfrev_b32_e32 v18, 1
	s_xor_b32 exec_lo, exec_lo, s14
	s_cbranch_execnz .LBB2_1486
.LBB2_948:                              ;   in Loop: Header=BB2_934 Depth=4
	s_or_b32 exec_lo, exec_lo, s14
	s_and_saveexec_b32 s14, s73
	s_cbranch_execz .LBB2_950
.LBB2_949:                              ;   in Loop: Header=BB2_934 Depth=4
	v_and_b32_e32 v20, 3, v8
	v_bfe_u32 v56, v8, 2, 5
	s_delay_alu instid0(VALU_DEP_2) | instskip(NEXT) | instid1(VALU_DEP_2)
	v_clz_i32_u32_e32 v18, v20
	v_cmp_eq_u32_e64 s13, 0, v56
	s_delay_alu instid0(VALU_DEP_2) | instskip(NEXT) | instid1(VALU_DEP_1)
	v_min_u32_e32 v21, 32, v18
	v_subrev_nc_u32_e32 v18, 29, v21
	s_delay_alu instid0(VALU_DEP_1) | instskip(SKIP_1) | instid1(VALU_DEP_1)
	v_lshlrev_b64_e32 v[18:19], v18, v[8:9]
	v_dual_lshlrev_b32 v19, 24, v8 :: v_dual_sub_nc_u32 v21, 30, v21
	v_and_b32_e32 v19, 0x80000000, v19
	s_delay_alu instid0(VALU_DEP_2) | instskip(SKIP_1) | instid1(VALU_DEP_2)
	v_dual_cndmask_b32 v21, v56, v21, s13 :: v_dual_bitop2_b32 v18, 3, v18 bitop3:0x40
	v_bfe_i32 v56, v8, 0, 8
	v_cndmask_b32_e64 v18, v20, v18, s13
	s_delay_alu instid0(VALU_DEP_3) | instskip(NEXT) | instid1(VALU_DEP_3)
	v_lshl_add_u32 v19, v21, 23, v19
	v_cmp_lt_i16_e64 s13, -1, v56
	s_delay_alu instid0(VALU_DEP_2) | instskip(NEXT) | instid1(VALU_DEP_2)
	v_lshl_or_b32 v18, v18, 21, v19
	v_cndmask_b32_e64 v21, 0xff800000, v109, s13
	v_and_b32_e32 v19, 0x7c, v8
	v_cmp_eq_u32_e64 s13, 0, v20
	s_delay_alu instid0(VALU_DEP_4) | instskip(NEXT) | instid1(VALU_DEP_2)
	v_add_nc_u32_e32 v18, 0x38000000, v18
	v_cndmask_b32_e64 v20, 0x7f800001, v21, s13
	s_delay_alu instid0(VALU_DEP_4) | instskip(NEXT) | instid1(VALU_DEP_1)
	v_cmp_eq_u32_e64 s13, 0x7c, v19
	v_cndmask_b32_e64 v18, v18, v20, s13
.LBB2_950:                              ;   in Loop: Header=BB2_934 Depth=4
	s_or_b32 exec_lo, exec_lo, s14
	s_delay_alu instid0(VALU_DEP_1) | instskip(SKIP_1) | instid1(VALU_DEP_1)
	v_dual_mul_f32 v19, v2, v18 :: v_dual_mov_b32 v21, v3
                                        ; implicit-def: $vgpr76
	s_mov_b32 s14, exec_lo
	v_and_b32_e32 v20, 0x7f800000, v19
	v_and_b32_e32 v2, 0x7fffff, v19
	v_lshrrev_b32_e32 v18, 24, v19
	s_delay_alu instid0(VALU_DEP_3)
	v_cmpx_ne_u64_e32 0x7f800000, v[20:21]
	s_xor_b32 s73, exec_lo, s14
	s_cbranch_execz .LBB2_964
; %bb.951:                              ;   in Loop: Header=BB2_934 Depth=4
	v_and_b32_e32 v20, 0x7fffffff, v19
	v_mov_b32_e32 v21, v3
	v_and_b32_e32 v18, 0x80, v18
                                        ; implicit-def: $vgpr76
	s_mov_b32 s14, exec_lo
	s_delay_alu instid0(VALU_DEP_2)
	v_cmpx_gt_u64_e32 0x47600001, v[20:21]
	s_xor_b32 s74, exec_lo, s14
	s_cbranch_execz .LBB2_961
; %bb.952:                              ;   in Loop: Header=BB2_934 Depth=4
	v_mov_b32_e32 v76, 0
	s_mov_b32 s75, exec_lo
	v_cmpx_ne_u32_e32 0, v19
	s_cbranch_execz .LBB2_960
; %bb.953:                              ;   in Loop: Header=BB2_934 Depth=4
	v_bfe_u32 v19, v19, 23, 8
	v_or_b32_e32 v56, 0x800000, v2
	s_delay_alu instid0(VALU_DEP_2) | instskip(SKIP_1) | instid1(VALU_DEP_1)
	v_sub_nc_u32_e32 v20, 0x71, v19
	v_cmp_gt_u32_e64 s13, 0x72, v19
	v_cndmask_b32_e64 v20, 0, v20, s13
	v_cmp_eq_u32_e64 s13, 0, v19
	s_delay_alu instid0(VALU_DEP_1) | instskip(NEXT) | instid1(VALU_DEP_3)
	v_cndmask_b32_e64 v2, v56, v2, s13
	v_cndmask_b32_e64 v60, v20, 0x70, s13
	s_delay_alu instid0(VALU_DEP_1) | instskip(NEXT) | instid1(VALU_DEP_1)
	v_dual_add_nc_u32 v20, 21, v60 :: v_dual_add_nc_u32 v57, 20, v60
	v_lshlrev_b64_e64 v[20:21], v20, -1
	s_delay_alu instid0(VALU_DEP_2) | instskip(SKIP_1) | instid1(VALU_DEP_3)
	v_lshlrev_b64_e64 v[58:59], v57, 1
	v_lshrrev_b64 v[56:57], v60, v[2:3]
	v_bfi_b32 v21, v21, 0, 0
	s_delay_alu instid0(VALU_DEP_4) | instskip(NEXT) | instid1(VALU_DEP_1)
	v_bfi_b32 v20, v20, 0, v2
	v_cmp_eq_u64_e64 s14, v[20:21], v[58:59]
	s_delay_alu instid0(VALU_DEP_4)
	v_mov_b64_e32 v[58:59], v[56:57]
	s_and_saveexec_b32 s76, s14
; %bb.954:                              ;   in Loop: Header=BB2_934 Depth=4
	v_bfe_u32 v2, v56, 21, 1
	s_delay_alu instid0(VALU_DEP_1) | instskip(NEXT) | instid1(VALU_DEP_1)
	v_add_nc_u64_e32 v[20:21], v[56:57], v[2:3]
	v_add_nc_u64_e32 v[58:59], -1, v[20:21]
; %bb.955:                              ;   in Loop: Header=BB2_934 Depth=4
	s_or_b32 exec_lo, exec_lo, s76
	v_add_nc_u32_e32 v2, 0xffffff81, v19
	v_lshrrev_b32_e32 v19, 23, v56
	s_mov_b32 s14, exec_lo
	s_delay_alu instid0(VALU_DEP_2) | instskip(NEXT) | instid1(VALU_DEP_1)
	v_cndmask_b32_e64 v2, v2, 0xffffff82, s13
	v_add3_u32 v59, v60, v2, v19
	v_and_b32_e32 v2, 0x1fffff, v58
                                        ; implicit-def: $vgpr19
	s_delay_alu instid0(VALU_DEP_1) | instskip(NEXT) | instid1(VALU_DEP_1)
	v_dual_add_nc_u32 v58, 14, v59 :: v_dual_add_nc_u32 v2, v2, v56
                                        ; implicit-def: $vgpr56_vgpr57
	v_cmpx_ne_u32_e32 0, v58
	s_xor_b32 s14, exec_lo, s14
; %bb.956:                              ;   in Loop: Header=BB2_934 Depth=4
	s_delay_alu instid0(VALU_DEP_2) | instskip(SKIP_1) | instid1(VALU_DEP_2)
	v_cmp_lt_u64_e64 s13, 0xffffff, v[2:3]
	v_add_nc_u32_e32 v19, 15, v59
	v_cndmask_b32_e64 v20, 0, 1, s13
	s_delay_alu instid0(VALU_DEP_2) | instskip(NEXT) | instid1(VALU_DEP_2)
	v_cndmask_b32_e64 v19, v58, v19, s13
	v_lshrrev_b64 v[56:57], v20, v[2:3]
; %bb.957:                              ;   in Loop: Header=BB2_934 Depth=4
	s_and_not1_saveexec_b32 s13, s14
; %bb.958:                              ;   in Loop: Header=BB2_934 Depth=4
	v_mov_b64_e32 v[56:57], v[2:3]
	v_bfe_u32 v19, v2, 23, 1
; %bb.959:                              ;   in Loop: Header=BB2_934 Depth=4
	s_or_b32 exec_lo, exec_lo, s13
	s_delay_alu instid0(VALU_DEP_2) | instskip(NEXT) | instid1(VALU_DEP_2)
	v_lshrrev_b64 v[20:21], 21, v[56:57]
	v_cmp_gt_i32_e64 s13, 32, v19
	v_min_i32_e32 v2, 31, v19
	v_cmp_eq_u32_e64 s14, 0, v19
	s_delay_alu instid0(VALU_DEP_2) | instskip(SKIP_1) | instid1(VALU_DEP_2)
	v_dual_cndmask_b32 v21, 0, v21, s13 :: v_dual_lshlrev_b32 v2, 2, v2
	v_cndmask_b32_e64 v20, 3, v20, s13
	v_and_b32_e32 v2, 0xfc, v2
	s_delay_alu instid0(VALU_DEP_2) | instskip(NEXT) | instid1(VALU_DEP_2)
	v_cmp_eq_u64_e64 s13, 0, v[20:21]
	v_and_or_b32 v2, v20, 3, v2
	s_and_b32 s13, s14, s13
	s_delay_alu instid0(VALU_DEP_1) | instid1(SALU_CYCLE_1)
	v_cndmask_b32_e64 v2, v2, 0, s13
	s_delay_alu instid0(VALU_DEP_1)
	v_or_b32_e32 v76, v2, v18
.LBB2_960:                              ;   in Loop: Header=BB2_934 Depth=4
	s_or_b32 exec_lo, exec_lo, s75
                                        ; implicit-def: $vgpr18
.LBB2_961:                              ;   in Loop: Header=BB2_934 Depth=4
	s_and_not1_saveexec_b32 s13, s74
; %bb.962:                              ;   in Loop: Header=BB2_934 Depth=4
	v_or_b32_e32 v76, 0x7b, v18
; %bb.963:                              ;   in Loop: Header=BB2_934 Depth=4
	s_or_b32 exec_lo, exec_lo, s13
                                        ; implicit-def: $vgpr19
                                        ; implicit-def: $vgpr18
.LBB2_964:                              ;   in Loop: Header=BB2_934 Depth=4
	s_and_not1_saveexec_b32 s14, s73
	s_cbranch_execz .LBB2_970
; %bb.965:                              ;   in Loop: Header=BB2_934 Depth=4
	v_cmp_ne_u64_e64 s13, 0, v[2:3]
                                        ; implicit-def: $vgpr76
	s_and_saveexec_b32 s73, s13
	s_delay_alu instid0(SALU_CYCLE_1)
	s_xor_b32 s13, exec_lo, s73
; %bb.966:                              ;   in Loop: Header=BB2_934 Depth=4
	v_or_b32_e32 v76, 0x7f, v18
                                        ; implicit-def: $vgpr19
; %bb.967:                              ;   in Loop: Header=BB2_934 Depth=4
	s_and_not1_saveexec_b32 s73, s13
; %bb.968:                              ;   in Loop: Header=BB2_934 Depth=4
	v_cmp_lt_i32_e64 s13, -1, v19
	s_delay_alu instid0(VALU_DEP_1)
	v_cndmask_b32_e64 v76, 0xfc, v110, s13
; %bb.969:                              ;   in Loop: Header=BB2_934 Depth=4
	s_or_b32 exec_lo, exec_lo, s73
.LBB2_970:                              ;   in Loop: Header=BB2_934 Depth=4
	s_delay_alu instid0(SALU_CYCLE_1) | instskip(SKIP_3) | instid1(VALU_DEP_2)
	s_or_b32 exec_lo, exec_lo, s14
	v_lshrrev_b16 v2, 8, v12
	v_mov_b32_e32 v18, 0
	s_mov_b32 s14, exec_lo
	v_cmpx_ne_u16_e32 0, v2
	s_cbranch_execz .LBB2_980
; %bb.971:                              ;   in Loop: Header=BB2_934 Depth=4
	v_bfrev_b32_e32 v18, 1
	s_mov_b32 s73, exec_lo
	v_cmpx_ne_u16_e32 0x80, v2
	s_cbranch_execz .LBB2_979
; %bb.972:                              ;   in Loop: Header=BB2_934 Depth=4
	v_and_b32_e32 v56, 0xffff, v2
	s_delay_alu instid0(VALU_DEP_1) | instskip(SKIP_1) | instid1(VALU_DEP_2)
	v_and_b32_e32 v18, 0x7c, v56
	v_and_b32_e32 v19, 3, v56
	v_cmp_ne_u32_e64 s13, 0x7c, v18
                                        ; implicit-def: $vgpr18
	s_and_saveexec_b32 s74, s13
	s_delay_alu instid0(SALU_CYCLE_1)
	s_xor_b32 s74, exec_lo, s74
	s_cbranch_execz .LBB2_976
; %bb.973:                              ;   in Loop: Header=BB2_934 Depth=4
	v_bfe_u32 v18, v56, 2, 5
	s_mov_b32 s75, exec_lo
	s_delay_alu instid0(VALU_DEP_1)
	v_cmpx_eq_u32_e32 0, v18
; %bb.974:                              ;   in Loop: Header=BB2_934 Depth=4
	v_clz_i32_u32_e32 v18, v19
	s_delay_alu instid0(VALU_DEP_1) | instskip(NEXT) | instid1(VALU_DEP_1)
	v_min_u32_e32 v18, 32, v18
	v_subrev_nc_u32_e32 v19, 29, v18
	s_delay_alu instid0(VALU_DEP_1) | instskip(NEXT) | instid1(VALU_DEP_1)
	v_lshlrev_b64_e32 v[20:21], v19, v[2:3]
	v_dual_sub_nc_u32 v18, 30, v18 :: v_dual_bitop2_b32 v19, 3, v20 bitop3:0x40
; %bb.975:                              ;   in Loop: Header=BB2_934 Depth=4
	s_or_b32 exec_lo, exec_lo, s75
	v_lshlrev_b32_e32 v2, 16, v12
	s_delay_alu instid0(VALU_DEP_1) | instskip(NEXT) | instid1(VALU_DEP_1)
	v_and_b32_e32 v2, 0x80000000, v2
	v_lshl_add_u32 v2, v18, 23, v2
	s_delay_alu instid0(VALU_DEP_1) | instskip(NEXT) | instid1(VALU_DEP_1)
	v_lshl_or_b32 v2, v19, 21, v2
                                        ; implicit-def: $vgpr19
	v_add_nc_u32_e32 v18, 0x38000000, v2
.LBB2_976:                              ;   in Loop: Header=BB2_934 Depth=4
	s_and_not1_saveexec_b32 s74, s74
; %bb.977:                              ;   in Loop: Header=BB2_934 Depth=4
	v_cmp_lt_i16_e64 s13, -1, v12
	s_delay_alu instid0(VALU_DEP_1) | instskip(SKIP_1) | instid1(VALU_DEP_1)
	v_cndmask_b32_e64 v2, 0xff800000, v109, s13
	v_cmp_eq_u32_e64 s13, 0, v19
	v_cndmask_b32_e64 v18, 0x7f800001, v2, s13
; %bb.978:                              ;   in Loop: Header=BB2_934 Depth=4
	s_or_b32 exec_lo, exec_lo, s74
.LBB2_979:                              ;   in Loop: Header=BB2_934 Depth=4
	s_delay_alu instid0(SALU_CYCLE_1)
	s_or_b32 exec_lo, exec_lo, s73
.LBB2_980:                              ;   in Loop: Header=BB2_934 Depth=4
	s_delay_alu instid0(SALU_CYCLE_1) | instskip(SKIP_3) | instid1(VALU_DEP_1)
	s_or_b32 exec_lo, exec_lo, s14
	v_lshrrev_b16 v2, 8, v8
	s_mov_b32 s73, 0
	s_mov_b32 s14, exec_lo
	v_cmpx_lt_i16_e32 0x7f, v2
	s_xor_b32 s14, exec_lo, s14
	s_cbranch_execz .LBB2_1487
; %bb.981:                              ;   in Loop: Header=BB2_934 Depth=4
	s_mov_b32 s73, -1
	s_mov_b32 s74, exec_lo
	v_cmpx_eq_u16_e32 0x80, v2
; %bb.982:                              ;   in Loop: Header=BB2_934 Depth=4
	s_xor_b32 s73, exec_lo, -1
; %bb.983:                              ;   in Loop: Header=BB2_934 Depth=4
	s_or_b32 exec_lo, exec_lo, s74
	s_delay_alu instid0(SALU_CYCLE_1)
	s_and_b32 s73, s73, exec_lo
	s_or_saveexec_b32 s14, s14
	v_bfrev_b32_e32 v19, 1
	s_xor_b32 exec_lo, exec_lo, s14
	s_cbranch_execnz .LBB2_1488
.LBB2_984:                              ;   in Loop: Header=BB2_934 Depth=4
	s_or_b32 exec_lo, exec_lo, s14
	s_and_saveexec_b32 s14, s73
	s_cbranch_execz .LBB2_986
.LBB2_985:                              ;   in Loop: Header=BB2_934 Depth=4
	v_and_b32_e32 v19, 0xffff, v2
	s_delay_alu instid0(VALU_DEP_1) | instskip(NEXT) | instid1(VALU_DEP_1)
	v_and_b32_e32 v56, 3, v19
	v_clz_i32_u32_e32 v20, v56
	s_delay_alu instid0(VALU_DEP_1) | instskip(NEXT) | instid1(VALU_DEP_1)
	v_min_u32_e32 v57, 32, v20
	v_subrev_nc_u32_e32 v20, 29, v57
	s_delay_alu instid0(VALU_DEP_1) | instskip(SKIP_3) | instid1(VALU_DEP_3)
	v_lshlrev_b64_e32 v[20:21], v20, v[2:3]
	v_bfe_u32 v21, v19, 2, 5
	v_dual_lshlrev_b32 v2, 24, v2 :: v_dual_sub_nc_u32 v57, 30, v57
	v_and_b32_e32 v19, 0x7c, v19
	v_cmp_eq_u32_e64 s13, 0, v21
	s_delay_alu instid0(VALU_DEP_3) | instskip(NEXT) | instid1(VALU_DEP_2)
	v_and_b32_e32 v2, 0x80000000, v2
	v_dual_cndmask_b32 v21, v21, v57, s13 :: v_dual_bitop2_b32 v20, 3, v20 bitop3:0x40
	s_delay_alu instid0(VALU_DEP_1) | instskip(SKIP_1) | instid1(VALU_DEP_3)
	v_cndmask_b32_e64 v20, v56, v20, s13
	v_cmp_lt_i16_e64 s13, -1, v8
	v_lshl_add_u32 v2, v21, 23, v2
	s_delay_alu instid0(VALU_DEP_2) | instskip(SKIP_1) | instid1(VALU_DEP_3)
	v_cndmask_b32_e64 v21, 0xff800000, v109, s13
	v_cmp_eq_u32_e64 s13, 0, v56
	v_lshl_or_b32 v2, v20, 21, v2
	s_delay_alu instid0(VALU_DEP_2) | instskip(NEXT) | instid1(VALU_DEP_2)
	v_cndmask_b32_e64 v20, 0x7f800001, v21, s13
	v_add_nc_u32_e32 v2, 0x38000000, v2
	v_cmp_eq_u32_e64 s13, 0x7c, v19
	s_delay_alu instid0(VALU_DEP_1)
	v_cndmask_b32_e64 v19, v2, v20, s13
.LBB2_986:                              ;   in Loop: Header=BB2_934 Depth=4
	s_or_b32 exec_lo, exec_lo, s14
	s_delay_alu instid0(VALU_DEP_1) | instskip(SKIP_1) | instid1(VALU_DEP_1)
	v_dual_mul_f32 v19, v18, v19 :: v_dual_mov_b32 v21, v3
                                        ; implicit-def: $vgpr77
	s_mov_b32 s14, exec_lo
	v_and_b32_e32 v20, 0x7f800000, v19
	v_and_b32_e32 v2, 0x7fffff, v19
	v_lshrrev_b32_e32 v18, 24, v19
	s_delay_alu instid0(VALU_DEP_3)
	v_cmpx_ne_u64_e32 0x7f800000, v[20:21]
	s_xor_b32 s73, exec_lo, s14
	s_cbranch_execz .LBB2_1000
; %bb.987:                              ;   in Loop: Header=BB2_934 Depth=4
	v_and_b32_e32 v20, 0x7fffffff, v19
	v_mov_b32_e32 v21, v3
	v_and_b32_e32 v18, 0x80, v18
                                        ; implicit-def: $vgpr77
	s_mov_b32 s14, exec_lo
	s_delay_alu instid0(VALU_DEP_2)
	v_cmpx_gt_u64_e32 0x47600001, v[20:21]
	s_xor_b32 s74, exec_lo, s14
	s_cbranch_execz .LBB2_997
; %bb.988:                              ;   in Loop: Header=BB2_934 Depth=4
	v_mov_b32_e32 v77, 0
	s_mov_b32 s75, exec_lo
	v_cmpx_ne_u32_e32 0, v19
	s_cbranch_execz .LBB2_996
; %bb.989:                              ;   in Loop: Header=BB2_934 Depth=4
	v_bfe_u32 v19, v19, 23, 8
	v_or_b32_e32 v56, 0x800000, v2
	s_delay_alu instid0(VALU_DEP_2) | instskip(SKIP_1) | instid1(VALU_DEP_1)
	v_sub_nc_u32_e32 v20, 0x71, v19
	v_cmp_gt_u32_e64 s13, 0x72, v19
	v_cndmask_b32_e64 v20, 0, v20, s13
	v_cmp_eq_u32_e64 s13, 0, v19
	s_delay_alu instid0(VALU_DEP_1) | instskip(NEXT) | instid1(VALU_DEP_3)
	v_cndmask_b32_e64 v2, v56, v2, s13
	v_cndmask_b32_e64 v60, v20, 0x70, s13
	s_delay_alu instid0(VALU_DEP_1) | instskip(NEXT) | instid1(VALU_DEP_1)
	v_dual_add_nc_u32 v20, 21, v60 :: v_dual_add_nc_u32 v57, 20, v60
	v_lshlrev_b64_e64 v[20:21], v20, -1
	s_delay_alu instid0(VALU_DEP_2) | instskip(SKIP_1) | instid1(VALU_DEP_3)
	v_lshlrev_b64_e64 v[58:59], v57, 1
	v_lshrrev_b64 v[56:57], v60, v[2:3]
	v_bfi_b32 v21, v21, 0, 0
	s_delay_alu instid0(VALU_DEP_4) | instskip(NEXT) | instid1(VALU_DEP_1)
	v_bfi_b32 v20, v20, 0, v2
	v_cmp_eq_u64_e64 s14, v[20:21], v[58:59]
	s_delay_alu instid0(VALU_DEP_4)
	v_mov_b64_e32 v[58:59], v[56:57]
	s_and_saveexec_b32 s76, s14
; %bb.990:                              ;   in Loop: Header=BB2_934 Depth=4
	v_bfe_u32 v2, v56, 21, 1
	s_delay_alu instid0(VALU_DEP_1) | instskip(NEXT) | instid1(VALU_DEP_1)
	v_add_nc_u64_e32 v[20:21], v[56:57], v[2:3]
	v_add_nc_u64_e32 v[58:59], -1, v[20:21]
; %bb.991:                              ;   in Loop: Header=BB2_934 Depth=4
	s_or_b32 exec_lo, exec_lo, s76
	v_add_nc_u32_e32 v2, 0xffffff81, v19
	v_lshrrev_b32_e32 v19, 23, v56
	s_mov_b32 s14, exec_lo
	s_delay_alu instid0(VALU_DEP_2) | instskip(NEXT) | instid1(VALU_DEP_1)
	v_cndmask_b32_e64 v2, v2, 0xffffff82, s13
	v_add3_u32 v59, v60, v2, v19
	v_and_b32_e32 v2, 0x1fffff, v58
                                        ; implicit-def: $vgpr19
	s_delay_alu instid0(VALU_DEP_1) | instskip(NEXT) | instid1(VALU_DEP_1)
	v_dual_add_nc_u32 v58, 14, v59 :: v_dual_add_nc_u32 v2, v2, v56
                                        ; implicit-def: $vgpr56_vgpr57
	v_cmpx_ne_u32_e32 0, v58
	s_xor_b32 s14, exec_lo, s14
; %bb.992:                              ;   in Loop: Header=BB2_934 Depth=4
	s_delay_alu instid0(VALU_DEP_2) | instskip(SKIP_1) | instid1(VALU_DEP_2)
	v_cmp_lt_u64_e64 s13, 0xffffff, v[2:3]
	v_add_nc_u32_e32 v19, 15, v59
	v_cndmask_b32_e64 v20, 0, 1, s13
	s_delay_alu instid0(VALU_DEP_2) | instskip(NEXT) | instid1(VALU_DEP_2)
	v_cndmask_b32_e64 v19, v58, v19, s13
	v_lshrrev_b64 v[56:57], v20, v[2:3]
; %bb.993:                              ;   in Loop: Header=BB2_934 Depth=4
	s_and_not1_saveexec_b32 s13, s14
; %bb.994:                              ;   in Loop: Header=BB2_934 Depth=4
	v_mov_b64_e32 v[56:57], v[2:3]
	v_bfe_u32 v19, v2, 23, 1
; %bb.995:                              ;   in Loop: Header=BB2_934 Depth=4
	s_or_b32 exec_lo, exec_lo, s13
	s_delay_alu instid0(VALU_DEP_2) | instskip(NEXT) | instid1(VALU_DEP_2)
	v_lshrrev_b64 v[20:21], 21, v[56:57]
	v_cmp_gt_i32_e64 s13, 32, v19
	v_min_i32_e32 v2, 31, v19
	v_cmp_eq_u32_e64 s14, 0, v19
	s_delay_alu instid0(VALU_DEP_2) | instskip(SKIP_1) | instid1(VALU_DEP_2)
	v_dual_cndmask_b32 v21, 0, v21, s13 :: v_dual_lshlrev_b32 v2, 2, v2
	v_cndmask_b32_e64 v20, 3, v20, s13
	v_and_b32_e32 v2, 0xfc, v2
	s_delay_alu instid0(VALU_DEP_2) | instskip(NEXT) | instid1(VALU_DEP_2)
	v_cmp_eq_u64_e64 s13, 0, v[20:21]
	v_and_or_b32 v2, v20, 3, v2
	s_and_b32 s13, s14, s13
	s_delay_alu instid0(VALU_DEP_1) | instid1(SALU_CYCLE_1)
	v_cndmask_b32_e64 v2, v2, 0, s13
	s_delay_alu instid0(VALU_DEP_1)
	v_or_b32_e32 v77, v2, v18
.LBB2_996:                              ;   in Loop: Header=BB2_934 Depth=4
	s_or_b32 exec_lo, exec_lo, s75
                                        ; implicit-def: $vgpr18
.LBB2_997:                              ;   in Loop: Header=BB2_934 Depth=4
	s_and_not1_saveexec_b32 s13, s74
; %bb.998:                              ;   in Loop: Header=BB2_934 Depth=4
	v_or_b32_e32 v77, 0x7b, v18
; %bb.999:                              ;   in Loop: Header=BB2_934 Depth=4
	s_or_b32 exec_lo, exec_lo, s13
                                        ; implicit-def: $vgpr19
                                        ; implicit-def: $vgpr18
.LBB2_1000:                             ;   in Loop: Header=BB2_934 Depth=4
	s_and_not1_saveexec_b32 s14, s73
	s_cbranch_execz .LBB2_1006
; %bb.1001:                             ;   in Loop: Header=BB2_934 Depth=4
	v_cmp_ne_u64_e64 s13, 0, v[2:3]
                                        ; implicit-def: $vgpr77
	s_and_saveexec_b32 s73, s13
	s_delay_alu instid0(SALU_CYCLE_1)
	s_xor_b32 s13, exec_lo, s73
; %bb.1002:                             ;   in Loop: Header=BB2_934 Depth=4
	v_or_b32_e32 v77, 0x7f, v18
                                        ; implicit-def: $vgpr19
; %bb.1003:                             ;   in Loop: Header=BB2_934 Depth=4
	s_and_not1_saveexec_b32 s73, s13
; %bb.1004:                             ;   in Loop: Header=BB2_934 Depth=4
	v_cmp_lt_i32_e64 s13, -1, v19
	s_delay_alu instid0(VALU_DEP_1)
	v_cndmask_b32_e64 v77, 0xfc, v110, s13
; %bb.1005:                             ;   in Loop: Header=BB2_934 Depth=4
	s_or_b32 exec_lo, exec_lo, s73
.LBB2_1006:                             ;   in Loop: Header=BB2_934 Depth=4
	s_delay_alu instid0(SALU_CYCLE_1) | instskip(SKIP_2) | instid1(VALU_DEP_1)
	s_or_b32 exec_lo, exec_lo, s14
	v_dual_lshrrev_b32 v2, 16, v12 :: v_dual_mov_b32 v18, 0
	s_mov_b32 s14, exec_lo
	v_and_b32_e32 v19, 0xff, v2
	s_delay_alu instid0(VALU_DEP_1)
	v_cmpx_ne_u16_e32 0, v19
	s_cbranch_execz .LBB2_1016
; %bb.1007:                             ;   in Loop: Header=BB2_934 Depth=4
	v_bfrev_b32_e32 v18, 1
	s_mov_b32 s73, exec_lo
	v_cmpx_ne_u16_e32 0x80, v19
	s_cbranch_execz .LBB2_1015
; %bb.1008:                             ;   in Loop: Header=BB2_934 Depth=4
	v_and_b32_e32 v18, 0x7c0000, v12
	v_bfe_u32 v19, v12, 16, 2
	s_delay_alu instid0(VALU_DEP_2) | instskip(SKIP_1) | instid1(SALU_CYCLE_1)
	v_cmp_ne_u32_e64 s13, 0x7c0000, v18
                                        ; implicit-def: $vgpr18
	s_and_saveexec_b32 s74, s13
	s_xor_b32 s74, exec_lo, s74
	s_cbranch_execz .LBB2_1012
; %bb.1009:                             ;   in Loop: Header=BB2_934 Depth=4
	v_bfe_u32 v18, v12, 18, 5
	s_mov_b32 s75, exec_lo
	s_delay_alu instid0(VALU_DEP_1)
	v_cmpx_eq_u32_e32 0, v18
; %bb.1010:                             ;   in Loop: Header=BB2_934 Depth=4
	v_clz_i32_u32_e32 v18, v19
	s_delay_alu instid0(VALU_DEP_1) | instskip(NEXT) | instid1(VALU_DEP_1)
	v_min_u32_e32 v18, 32, v18
	v_subrev_nc_u32_e32 v19, 29, v18
	s_delay_alu instid0(VALU_DEP_1) | instskip(NEXT) | instid1(VALU_DEP_1)
	v_lshlrev_b64_e32 v[20:21], v19, v[2:3]
	v_dual_sub_nc_u32 v18, 30, v18 :: v_dual_bitop2_b32 v19, 3, v20 bitop3:0x40
; %bb.1011:                             ;   in Loop: Header=BB2_934 Depth=4
	s_or_b32 exec_lo, exec_lo, s75
	v_lshlrev_b32_e32 v2, 24, v2
	s_delay_alu instid0(VALU_DEP_1) | instskip(NEXT) | instid1(VALU_DEP_1)
	v_and_b32_e32 v2, 0x80000000, v2
	v_lshl_add_u32 v2, v18, 23, v2
	s_delay_alu instid0(VALU_DEP_1) | instskip(NEXT) | instid1(VALU_DEP_1)
	v_lshl_or_b32 v2, v19, 21, v2
                                        ; implicit-def: $vgpr19
	v_add_nc_u32_e32 v18, 0x38000000, v2
                                        ; implicit-def: $vgpr2
.LBB2_1012:                             ;   in Loop: Header=BB2_934 Depth=4
	s_and_not1_saveexec_b32 s74, s74
; %bb.1013:                             ;   in Loop: Header=BB2_934 Depth=4
	v_bfe_i32 v2, v2, 0, 8
	s_delay_alu instid0(VALU_DEP_1) | instskip(NEXT) | instid1(VALU_DEP_1)
	v_cmp_lt_i16_e64 s13, -1, v2
	v_cndmask_b32_e64 v2, 0xff800000, v109, s13
	v_cmp_eq_u32_e64 s13, 0, v19
	s_delay_alu instid0(VALU_DEP_1)
	v_cndmask_b32_e64 v18, 0x7f800001, v2, s13
; %bb.1014:                             ;   in Loop: Header=BB2_934 Depth=4
	s_or_b32 exec_lo, exec_lo, s74
.LBB2_1015:                             ;   in Loop: Header=BB2_934 Depth=4
	s_delay_alu instid0(SALU_CYCLE_1)
	s_or_b32 exec_lo, exec_lo, s73
.LBB2_1016:                             ;   in Loop: Header=BB2_934 Depth=4
	s_delay_alu instid0(SALU_CYCLE_1) | instskip(SKIP_3) | instid1(VALU_DEP_1)
	s_or_b32 exec_lo, exec_lo, s14
	v_lshrrev_b32_e32 v2, 16, v8
	s_mov_b32 s73, 0
	s_mov_b32 s14, exec_lo
	v_and_b32_e32 v56, 0xff, v2
	s_delay_alu instid0(VALU_DEP_1)
	v_cmpx_lt_i16_e32 0x7f, v56
	s_xor_b32 s14, exec_lo, s14
	s_cbranch_execz .LBB2_1489
; %bb.1017:                             ;   in Loop: Header=BB2_934 Depth=4
	s_mov_b32 s73, -1
	s_mov_b32 s74, exec_lo
	v_cmpx_eq_u16_e32 0x80, v56
; %bb.1018:                             ;   in Loop: Header=BB2_934 Depth=4
	s_xor_b32 s73, exec_lo, -1
; %bb.1019:                             ;   in Loop: Header=BB2_934 Depth=4
	s_or_b32 exec_lo, exec_lo, s74
	s_delay_alu instid0(SALU_CYCLE_1)
	s_and_b32 s73, s73, exec_lo
                                        ; implicit-def: $vgpr56
	s_or_saveexec_b32 s14, s14
	v_bfrev_b32_e32 v19, 1
	s_xor_b32 exec_lo, exec_lo, s14
	s_cbranch_execnz .LBB2_1490
.LBB2_1020:                             ;   in Loop: Header=BB2_934 Depth=4
	s_or_b32 exec_lo, exec_lo, s14
	s_and_saveexec_b32 s14, s73
	s_cbranch_execz .LBB2_1022
.LBB2_1021:                             ;   in Loop: Header=BB2_934 Depth=4
	v_and_b32_e32 v19, 3, v2
	v_bfe_u32 v57, v8, 18, 5
	s_delay_alu instid0(VALU_DEP_2) | instskip(NEXT) | instid1(VALU_DEP_2)
	v_clz_i32_u32_e32 v20, v19
	v_cmp_eq_u32_e64 s13, 0, v57
	s_delay_alu instid0(VALU_DEP_2) | instskip(NEXT) | instid1(VALU_DEP_1)
	v_min_u32_e32 v56, 32, v20
	v_subrev_nc_u32_e32 v20, 29, v56
	v_sub_nc_u32_e32 v56, 30, v56
	s_delay_alu instid0(VALU_DEP_2) | instskip(NEXT) | instid1(VALU_DEP_2)
	v_lshlrev_b64_e32 v[20:21], v20, v[2:3]
	v_dual_lshlrev_b32 v21, 24, v2 :: v_dual_cndmask_b32 v56, v57, v56, s13
	v_bfe_i32 v2, v2, 0, 8
	s_delay_alu instid0(VALU_DEP_2) | instskip(NEXT) | instid1(VALU_DEP_4)
	v_and_b32_e32 v21, 0x80000000, v21
	v_and_b32_e32 v20, 3, v20
	s_delay_alu instid0(VALU_DEP_2) | instskip(NEXT) | instid1(VALU_DEP_2)
	v_lshl_add_u32 v21, v56, 23, v21
	v_cndmask_b32_e64 v20, v19, v20, s13
	v_cmp_lt_i16_e64 s13, -1, v2
	s_delay_alu instid0(VALU_DEP_2) | instskip(NEXT) | instid1(VALU_DEP_2)
	v_lshl_or_b32 v20, v20, 21, v21
	v_cndmask_b32_e64 v2, 0xff800000, v109, s13
	v_and_b32_e32 v21, 0x7c0000, v8
	v_cmp_eq_u32_e64 s13, 0, v19
	s_delay_alu instid0(VALU_DEP_4) | instskip(NEXT) | instid1(VALU_DEP_2)
	v_add_nc_u32_e32 v19, 0x38000000, v20
	v_cndmask_b32_e64 v2, 0x7f800001, v2, s13
	s_delay_alu instid0(VALU_DEP_4) | instskip(NEXT) | instid1(VALU_DEP_1)
	v_cmp_eq_u32_e64 s13, 0x7c0000, v21
	v_cndmask_b32_e64 v19, v19, v2, s13
.LBB2_1022:                             ;   in Loop: Header=BB2_934 Depth=4
	s_or_b32 exec_lo, exec_lo, s14
	s_delay_alu instid0(VALU_DEP_1) | instskip(SKIP_1) | instid1(VALU_DEP_1)
	v_dual_mul_f32 v19, v18, v19 :: v_dual_mov_b32 v21, v3
                                        ; implicit-def: $vgpr78
	s_mov_b32 s14, exec_lo
	v_and_b32_e32 v20, 0x7f800000, v19
	v_and_b32_e32 v2, 0x7fffff, v19
	v_lshrrev_b32_e32 v18, 24, v19
	s_delay_alu instid0(VALU_DEP_3)
	v_cmpx_ne_u64_e32 0x7f800000, v[20:21]
	s_xor_b32 s73, exec_lo, s14
	s_cbranch_execz .LBB2_1036
; %bb.1023:                             ;   in Loop: Header=BB2_934 Depth=4
	v_and_b32_e32 v20, 0x7fffffff, v19
	v_mov_b32_e32 v21, v3
	v_and_b32_e32 v18, 0x80, v18
                                        ; implicit-def: $vgpr78
	s_mov_b32 s14, exec_lo
	s_delay_alu instid0(VALU_DEP_2)
	v_cmpx_gt_u64_e32 0x47600001, v[20:21]
	s_xor_b32 s74, exec_lo, s14
	s_cbranch_execz .LBB2_1033
; %bb.1024:                             ;   in Loop: Header=BB2_934 Depth=4
	v_mov_b32_e32 v78, 0
	s_mov_b32 s75, exec_lo
	v_cmpx_ne_u32_e32 0, v19
	s_cbranch_execz .LBB2_1032
; %bb.1025:                             ;   in Loop: Header=BB2_934 Depth=4
	v_bfe_u32 v19, v19, 23, 8
	v_or_b32_e32 v56, 0x800000, v2
	s_delay_alu instid0(VALU_DEP_2) | instskip(SKIP_1) | instid1(VALU_DEP_1)
	v_sub_nc_u32_e32 v20, 0x71, v19
	v_cmp_gt_u32_e64 s13, 0x72, v19
	v_cndmask_b32_e64 v20, 0, v20, s13
	v_cmp_eq_u32_e64 s13, 0, v19
	s_delay_alu instid0(VALU_DEP_1) | instskip(NEXT) | instid1(VALU_DEP_3)
	v_cndmask_b32_e64 v2, v56, v2, s13
	v_cndmask_b32_e64 v60, v20, 0x70, s13
	s_delay_alu instid0(VALU_DEP_1) | instskip(NEXT) | instid1(VALU_DEP_1)
	v_dual_add_nc_u32 v20, 21, v60 :: v_dual_add_nc_u32 v57, 20, v60
	v_lshlrev_b64_e64 v[20:21], v20, -1
	s_delay_alu instid0(VALU_DEP_2) | instskip(SKIP_1) | instid1(VALU_DEP_3)
	v_lshlrev_b64_e64 v[58:59], v57, 1
	v_lshrrev_b64 v[56:57], v60, v[2:3]
	v_bfi_b32 v21, v21, 0, 0
	s_delay_alu instid0(VALU_DEP_4) | instskip(NEXT) | instid1(VALU_DEP_1)
	v_bfi_b32 v20, v20, 0, v2
	v_cmp_eq_u64_e64 s14, v[20:21], v[58:59]
	s_delay_alu instid0(VALU_DEP_4)
	v_mov_b64_e32 v[58:59], v[56:57]
	s_and_saveexec_b32 s76, s14
; %bb.1026:                             ;   in Loop: Header=BB2_934 Depth=4
	v_bfe_u32 v2, v56, 21, 1
	s_delay_alu instid0(VALU_DEP_1) | instskip(NEXT) | instid1(VALU_DEP_1)
	v_add_nc_u64_e32 v[20:21], v[56:57], v[2:3]
	v_add_nc_u64_e32 v[58:59], -1, v[20:21]
; %bb.1027:                             ;   in Loop: Header=BB2_934 Depth=4
	s_or_b32 exec_lo, exec_lo, s76
	v_add_nc_u32_e32 v2, 0xffffff81, v19
	v_lshrrev_b32_e32 v19, 23, v56
	s_mov_b32 s14, exec_lo
	s_delay_alu instid0(VALU_DEP_2) | instskip(NEXT) | instid1(VALU_DEP_1)
	v_cndmask_b32_e64 v2, v2, 0xffffff82, s13
	v_add3_u32 v59, v60, v2, v19
	v_and_b32_e32 v2, 0x1fffff, v58
                                        ; implicit-def: $vgpr19
	s_delay_alu instid0(VALU_DEP_1) | instskip(NEXT) | instid1(VALU_DEP_1)
	v_dual_add_nc_u32 v58, 14, v59 :: v_dual_add_nc_u32 v2, v2, v56
                                        ; implicit-def: $vgpr56_vgpr57
	v_cmpx_ne_u32_e32 0, v58
	s_xor_b32 s14, exec_lo, s14
; %bb.1028:                             ;   in Loop: Header=BB2_934 Depth=4
	s_delay_alu instid0(VALU_DEP_2) | instskip(SKIP_1) | instid1(VALU_DEP_2)
	v_cmp_lt_u64_e64 s13, 0xffffff, v[2:3]
	v_add_nc_u32_e32 v19, 15, v59
	v_cndmask_b32_e64 v20, 0, 1, s13
	s_delay_alu instid0(VALU_DEP_2) | instskip(NEXT) | instid1(VALU_DEP_2)
	v_cndmask_b32_e64 v19, v58, v19, s13
	v_lshrrev_b64 v[56:57], v20, v[2:3]
; %bb.1029:                             ;   in Loop: Header=BB2_934 Depth=4
	s_and_not1_saveexec_b32 s13, s14
; %bb.1030:                             ;   in Loop: Header=BB2_934 Depth=4
	v_mov_b64_e32 v[56:57], v[2:3]
	v_bfe_u32 v19, v2, 23, 1
; %bb.1031:                             ;   in Loop: Header=BB2_934 Depth=4
	s_or_b32 exec_lo, exec_lo, s13
	s_delay_alu instid0(VALU_DEP_2) | instskip(NEXT) | instid1(VALU_DEP_2)
	v_lshrrev_b64 v[20:21], 21, v[56:57]
	v_cmp_gt_i32_e64 s13, 32, v19
	v_min_i32_e32 v2, 31, v19
	v_cmp_eq_u32_e64 s14, 0, v19
	s_delay_alu instid0(VALU_DEP_2) | instskip(SKIP_1) | instid1(VALU_DEP_2)
	v_dual_cndmask_b32 v21, 0, v21, s13 :: v_dual_lshlrev_b32 v2, 2, v2
	v_cndmask_b32_e64 v20, 3, v20, s13
	v_and_b32_e32 v2, 0xfc, v2
	s_delay_alu instid0(VALU_DEP_2) | instskip(NEXT) | instid1(VALU_DEP_2)
	v_cmp_eq_u64_e64 s13, 0, v[20:21]
	v_and_or_b32 v2, v20, 3, v2
	s_and_b32 s13, s14, s13
	s_delay_alu instid0(VALU_DEP_1) | instid1(SALU_CYCLE_1)
	v_cndmask_b32_e64 v2, v2, 0, s13
	s_delay_alu instid0(VALU_DEP_1)
	v_or_b32_e32 v78, v2, v18
.LBB2_1032:                             ;   in Loop: Header=BB2_934 Depth=4
	s_or_b32 exec_lo, exec_lo, s75
                                        ; implicit-def: $vgpr18
.LBB2_1033:                             ;   in Loop: Header=BB2_934 Depth=4
	s_and_not1_saveexec_b32 s13, s74
; %bb.1034:                             ;   in Loop: Header=BB2_934 Depth=4
	v_or_b32_e32 v78, 0x7b, v18
; %bb.1035:                             ;   in Loop: Header=BB2_934 Depth=4
	s_or_b32 exec_lo, exec_lo, s13
                                        ; implicit-def: $vgpr19
                                        ; implicit-def: $vgpr18
.LBB2_1036:                             ;   in Loop: Header=BB2_934 Depth=4
	s_and_not1_saveexec_b32 s14, s73
	s_cbranch_execz .LBB2_1042
; %bb.1037:                             ;   in Loop: Header=BB2_934 Depth=4
	v_cmp_ne_u64_e64 s13, 0, v[2:3]
                                        ; implicit-def: $vgpr78
	s_and_saveexec_b32 s73, s13
	s_delay_alu instid0(SALU_CYCLE_1)
	s_xor_b32 s13, exec_lo, s73
; %bb.1038:                             ;   in Loop: Header=BB2_934 Depth=4
	v_or_b32_e32 v78, 0x7f, v18
                                        ; implicit-def: $vgpr19
; %bb.1039:                             ;   in Loop: Header=BB2_934 Depth=4
	s_and_not1_saveexec_b32 s73, s13
; %bb.1040:                             ;   in Loop: Header=BB2_934 Depth=4
	v_cmp_lt_i32_e64 s13, -1, v19
	s_delay_alu instid0(VALU_DEP_1)
	v_cndmask_b32_e64 v78, 0xfc, v110, s13
; %bb.1041:                             ;   in Loop: Header=BB2_934 Depth=4
	s_or_b32 exec_lo, exec_lo, s73
.LBB2_1042:                             ;   in Loop: Header=BB2_934 Depth=4
	s_delay_alu instid0(SALU_CYCLE_1)
	s_or_b32 exec_lo, exec_lo, s14
	v_mov_b32_e32 v18, 0
	s_mov_b32 s14, exec_lo
	v_cmpx_lt_u32_e32 0xffffff, v12
	s_cbranch_execz .LBB2_1052
; %bb.1043:                             ;   in Loop: Header=BB2_934 Depth=4
	v_lshrrev_b32_e32 v2, 24, v12
	v_bfrev_b32_e32 v18, 1
	s_mov_b32 s73, exec_lo
	s_delay_alu instid0(VALU_DEP_2)
	v_cmpx_ne_u32_e32 0x80, v2
	s_cbranch_execz .LBB2_1051
; %bb.1044:                             ;   in Loop: Header=BB2_934 Depth=4
	v_and_b32_e32 v18, 0x7c000000, v12
	v_bfe_u32 v19, v12, 24, 2
	s_delay_alu instid0(VALU_DEP_2) | instskip(SKIP_1) | instid1(SALU_CYCLE_1)
	v_cmp_ne_u32_e64 s13, 0x7c000000, v18
                                        ; implicit-def: $vgpr18
	s_and_saveexec_b32 s74, s13
	s_xor_b32 s74, exec_lo, s74
	s_cbranch_execz .LBB2_1048
; %bb.1045:                             ;   in Loop: Header=BB2_934 Depth=4
	v_bfe_u32 v18, v12, 26, 5
	s_mov_b32 s75, exec_lo
	s_delay_alu instid0(VALU_DEP_1)
	v_cmpx_eq_u32_e32 0, v18
; %bb.1046:                             ;   in Loop: Header=BB2_934 Depth=4
	v_clz_i32_u32_e32 v18, v19
	s_delay_alu instid0(VALU_DEP_1) | instskip(NEXT) | instid1(VALU_DEP_1)
	v_min_u32_e32 v18, 32, v18
	v_subrev_nc_u32_e32 v19, 29, v18
	s_delay_alu instid0(VALU_DEP_1) | instskip(NEXT) | instid1(VALU_DEP_1)
	v_lshlrev_b64_e32 v[20:21], v19, v[2:3]
	v_dual_sub_nc_u32 v18, 30, v18 :: v_dual_bitop2_b32 v19, 3, v20 bitop3:0x40
; %bb.1047:                             ;   in Loop: Header=BB2_934 Depth=4
	s_or_b32 exec_lo, exec_lo, s75
	v_and_b32_e32 v2, 0x80000000, v12
	s_delay_alu instid0(VALU_DEP_1) | instskip(NEXT) | instid1(VALU_DEP_1)
	v_lshl_add_u32 v2, v18, 23, v2
	v_lshl_or_b32 v2, v19, 21, v2
                                        ; implicit-def: $vgpr19
	s_delay_alu instid0(VALU_DEP_1)
	v_add_nc_u32_e32 v18, 0x38000000, v2
.LBB2_1048:                             ;   in Loop: Header=BB2_934 Depth=4
	s_and_not1_saveexec_b32 s74, s74
; %bb.1049:                             ;   in Loop: Header=BB2_934 Depth=4
	v_cmp_lt_i32_e64 s13, -1, v12
	s_delay_alu instid0(VALU_DEP_1) | instskip(SKIP_1) | instid1(VALU_DEP_1)
	v_cndmask_b32_e64 v2, 0xff800000, v109, s13
	v_cmp_eq_u32_e64 s13, 0, v19
	v_cndmask_b32_e64 v18, 0x7f800001, v2, s13
; %bb.1050:                             ;   in Loop: Header=BB2_934 Depth=4
	s_or_b32 exec_lo, exec_lo, s74
.LBB2_1051:                             ;   in Loop: Header=BB2_934 Depth=4
	s_delay_alu instid0(SALU_CYCLE_1)
	s_or_b32 exec_lo, exec_lo, s73
.LBB2_1052:                             ;   in Loop: Header=BB2_934 Depth=4
	s_delay_alu instid0(SALU_CYCLE_1) | instskip(SKIP_3) | instid1(VALU_DEP_2)
	s_or_b32 exec_lo, exec_lo, s14
	v_bfe_u32 v19, v8, 24, 2
	v_bfe_u32 v57, v8, 26, 5
                                        ; implicit-def: $vgpr79
	s_mov_b32 s14, exec_lo
	v_clz_i32_u32_e32 v2, v19
	s_delay_alu instid0(VALU_DEP_2) | instskip(NEXT) | instid1(VALU_DEP_2)
	v_cmp_eq_u32_e64 s13, 0, v57
	v_min_u32_e32 v56, 32, v2
	v_lshrrev_b32_e32 v2, 24, v8
	s_delay_alu instid0(VALU_DEP_2) | instskip(NEXT) | instid1(VALU_DEP_1)
	v_subrev_nc_u32_e32 v20, 29, v56
	v_lshlrev_b64_e32 v[20:21], v20, v[2:3]
	v_sub_nc_u32_e32 v21, 30, v56
	v_and_b32_e32 v56, 0x80000000, v8
	s_delay_alu instid0(VALU_DEP_2) | instskip(NEXT) | instid1(VALU_DEP_1)
	v_dual_cndmask_b32 v21, v57, v21, s13 :: v_dual_bitop2_b32 v20, 3, v20 bitop3:0x40
	v_lshl_add_u32 v21, v21, 23, v56
	s_delay_alu instid0(VALU_DEP_2) | instskip(SKIP_1) | instid1(VALU_DEP_2)
	v_cndmask_b32_e64 v20, v19, v20, s13
	v_cmp_lt_i32_e64 s13, -1, v8
	v_lshl_or_b32 v20, v20, 21, v21
	s_delay_alu instid0(VALU_DEP_2) | instskip(SKIP_2) | instid1(VALU_DEP_4)
	v_cndmask_b32_e64 v56, 0xff800000, v109, s13
	v_and_b32_e32 v21, 0x7c000000, v8
	v_cmp_eq_u32_e64 s13, 0, v19
	v_add_nc_u32_e32 v20, 0x38000000, v20
	s_delay_alu instid0(VALU_DEP_2) | instskip(NEXT) | instid1(VALU_DEP_4)
	v_cndmask_b32_e64 v19, 0x7f800001, v56, s13
	v_cmp_eq_u32_e64 s13, 0x7c000000, v21
	s_delay_alu instid0(VALU_DEP_1) | instskip(SKIP_1) | instid1(VALU_DEP_1)
	v_dual_mov_b32 v21, v3 :: v_dual_cndmask_b32 v19, v20, v19, s13
	v_cmp_ne_u32_e64 s13, 0x80, v2
	v_cndmask_b32_e64 v2, 0x80000000, v19, s13
	v_cmp_lt_u32_e64 s13, 0xffffff, v8
	s_delay_alu instid0(VALU_DEP_1) | instskip(NEXT) | instid1(VALU_DEP_1)
	v_cndmask_b32_e64 v2, 0, v2, s13
	v_mul_f32_e32 v19, v2, v18
	s_delay_alu instid0(VALU_DEP_1) | instskip(SKIP_2) | instid1(VALU_DEP_3)
	v_and_b32_e32 v20, 0x7f800000, v19
	v_and_b32_e32 v2, 0x7fffff, v19
	v_lshrrev_b32_e32 v18, 24, v19
	v_cmpx_ne_u64_e32 0x7f800000, v[20:21]
	s_xor_b32 s73, exec_lo, s14
	s_cbranch_execz .LBB2_1066
; %bb.1053:                             ;   in Loop: Header=BB2_934 Depth=4
	v_and_b32_e32 v20, 0x7fffffff, v19
	v_mov_b32_e32 v21, v3
	v_and_b32_e32 v18, 0x80, v18
                                        ; implicit-def: $vgpr79
	s_mov_b32 s14, exec_lo
	s_delay_alu instid0(VALU_DEP_2)
	v_cmpx_gt_u64_e32 0x47600001, v[20:21]
	s_xor_b32 s74, exec_lo, s14
	s_cbranch_execz .LBB2_1063
; %bb.1054:                             ;   in Loop: Header=BB2_934 Depth=4
	v_mov_b32_e32 v79, 0
	s_mov_b32 s75, exec_lo
	v_cmpx_ne_u32_e32 0, v19
	s_cbranch_execz .LBB2_1062
; %bb.1055:                             ;   in Loop: Header=BB2_934 Depth=4
	v_bfe_u32 v19, v19, 23, 8
	v_or_b32_e32 v56, 0x800000, v2
	s_delay_alu instid0(VALU_DEP_2) | instskip(SKIP_1) | instid1(VALU_DEP_1)
	v_sub_nc_u32_e32 v20, 0x71, v19
	v_cmp_gt_u32_e64 s13, 0x72, v19
	v_cndmask_b32_e64 v20, 0, v20, s13
	v_cmp_eq_u32_e64 s13, 0, v19
	s_delay_alu instid0(VALU_DEP_1) | instskip(NEXT) | instid1(VALU_DEP_3)
	v_cndmask_b32_e64 v2, v56, v2, s13
	v_cndmask_b32_e64 v60, v20, 0x70, s13
	s_delay_alu instid0(VALU_DEP_1) | instskip(NEXT) | instid1(VALU_DEP_1)
	v_dual_add_nc_u32 v20, 21, v60 :: v_dual_add_nc_u32 v57, 20, v60
	v_lshlrev_b64_e64 v[20:21], v20, -1
	s_delay_alu instid0(VALU_DEP_2) | instskip(SKIP_1) | instid1(VALU_DEP_3)
	v_lshlrev_b64_e64 v[58:59], v57, 1
	v_lshrrev_b64 v[56:57], v60, v[2:3]
	v_bfi_b32 v21, v21, 0, 0
	s_delay_alu instid0(VALU_DEP_4) | instskip(NEXT) | instid1(VALU_DEP_1)
	v_bfi_b32 v20, v20, 0, v2
	v_cmp_eq_u64_e64 s14, v[20:21], v[58:59]
	s_delay_alu instid0(VALU_DEP_4)
	v_mov_b64_e32 v[58:59], v[56:57]
	s_and_saveexec_b32 s76, s14
; %bb.1056:                             ;   in Loop: Header=BB2_934 Depth=4
	v_bfe_u32 v2, v56, 21, 1
	s_delay_alu instid0(VALU_DEP_1) | instskip(NEXT) | instid1(VALU_DEP_1)
	v_add_nc_u64_e32 v[20:21], v[56:57], v[2:3]
	v_add_nc_u64_e32 v[58:59], -1, v[20:21]
; %bb.1057:                             ;   in Loop: Header=BB2_934 Depth=4
	s_or_b32 exec_lo, exec_lo, s76
	v_add_nc_u32_e32 v2, 0xffffff81, v19
	v_lshrrev_b32_e32 v19, 23, v56
	s_mov_b32 s14, exec_lo
	s_delay_alu instid0(VALU_DEP_2) | instskip(NEXT) | instid1(VALU_DEP_1)
	v_cndmask_b32_e64 v2, v2, 0xffffff82, s13
	v_add3_u32 v59, v60, v2, v19
	v_and_b32_e32 v2, 0x1fffff, v58
                                        ; implicit-def: $vgpr19
	s_delay_alu instid0(VALU_DEP_1) | instskip(NEXT) | instid1(VALU_DEP_1)
	v_dual_add_nc_u32 v58, 14, v59 :: v_dual_add_nc_u32 v2, v2, v56
                                        ; implicit-def: $vgpr56_vgpr57
	v_cmpx_ne_u32_e32 0, v58
	s_xor_b32 s14, exec_lo, s14
; %bb.1058:                             ;   in Loop: Header=BB2_934 Depth=4
	s_delay_alu instid0(VALU_DEP_2) | instskip(SKIP_1) | instid1(VALU_DEP_2)
	v_cmp_lt_u64_e64 s13, 0xffffff, v[2:3]
	v_add_nc_u32_e32 v19, 15, v59
	v_cndmask_b32_e64 v20, 0, 1, s13
	s_delay_alu instid0(VALU_DEP_2) | instskip(NEXT) | instid1(VALU_DEP_2)
	v_cndmask_b32_e64 v19, v58, v19, s13
	v_lshrrev_b64 v[56:57], v20, v[2:3]
; %bb.1059:                             ;   in Loop: Header=BB2_934 Depth=4
	s_and_not1_saveexec_b32 s13, s14
; %bb.1060:                             ;   in Loop: Header=BB2_934 Depth=4
	v_mov_b64_e32 v[56:57], v[2:3]
	v_bfe_u32 v19, v2, 23, 1
; %bb.1061:                             ;   in Loop: Header=BB2_934 Depth=4
	s_or_b32 exec_lo, exec_lo, s13
	s_delay_alu instid0(VALU_DEP_2) | instskip(NEXT) | instid1(VALU_DEP_2)
	v_lshrrev_b64 v[20:21], 21, v[56:57]
	v_cmp_gt_i32_e64 s13, 32, v19
	v_min_i32_e32 v2, 31, v19
	v_cmp_eq_u32_e64 s14, 0, v19
	s_delay_alu instid0(VALU_DEP_2) | instskip(SKIP_1) | instid1(VALU_DEP_2)
	v_dual_cndmask_b32 v21, 0, v21, s13 :: v_dual_lshlrev_b32 v2, 2, v2
	v_cndmask_b32_e64 v20, 3, v20, s13
	v_and_b32_e32 v2, 0xfc, v2
	s_delay_alu instid0(VALU_DEP_2) | instskip(NEXT) | instid1(VALU_DEP_2)
	v_cmp_eq_u64_e64 s13, 0, v[20:21]
	v_and_or_b32 v2, v20, 3, v2
	s_and_b32 s13, s14, s13
	s_delay_alu instid0(VALU_DEP_1) | instid1(SALU_CYCLE_1)
	v_cndmask_b32_e64 v2, v2, 0, s13
	s_delay_alu instid0(VALU_DEP_1)
	v_or_b32_e32 v79, v2, v18
.LBB2_1062:                             ;   in Loop: Header=BB2_934 Depth=4
	s_or_b32 exec_lo, exec_lo, s75
                                        ; implicit-def: $vgpr18
.LBB2_1063:                             ;   in Loop: Header=BB2_934 Depth=4
	s_and_not1_saveexec_b32 s13, s74
; %bb.1064:                             ;   in Loop: Header=BB2_934 Depth=4
	v_or_b32_e32 v79, 0x7b, v18
; %bb.1065:                             ;   in Loop: Header=BB2_934 Depth=4
	s_or_b32 exec_lo, exec_lo, s13
                                        ; implicit-def: $vgpr19
                                        ; implicit-def: $vgpr18
.LBB2_1066:                             ;   in Loop: Header=BB2_934 Depth=4
	s_and_not1_saveexec_b32 s14, s73
	s_cbranch_execz .LBB2_1072
; %bb.1067:                             ;   in Loop: Header=BB2_934 Depth=4
	v_cmp_ne_u64_e64 s13, 0, v[2:3]
                                        ; implicit-def: $vgpr79
	s_and_saveexec_b32 s73, s13
	s_delay_alu instid0(SALU_CYCLE_1)
	s_xor_b32 s13, exec_lo, s73
; %bb.1068:                             ;   in Loop: Header=BB2_934 Depth=4
	v_or_b32_e32 v79, 0x7f, v18
                                        ; implicit-def: $vgpr19
; %bb.1069:                             ;   in Loop: Header=BB2_934 Depth=4
	s_and_not1_saveexec_b32 s73, s13
; %bb.1070:                             ;   in Loop: Header=BB2_934 Depth=4
	v_cmp_lt_i32_e64 s13, -1, v19
	s_delay_alu instid0(VALU_DEP_1)
	v_cndmask_b32_e64 v79, 0xfc, v110, s13
; %bb.1071:                             ;   in Loop: Header=BB2_934 Depth=4
	s_or_b32 exec_lo, exec_lo, s73
.LBB2_1072:                             ;   in Loop: Header=BB2_934 Depth=4
	s_delay_alu instid0(SALU_CYCLE_1) | instskip(SKIP_3) | instid1(VALU_DEP_2)
	s_or_b32 exec_lo, exec_lo, s14
	v_and_b32_e32 v19, 0xff, v13
	v_dual_mov_b32 v2, v13 :: v_dual_mov_b32 v18, 0
	s_mov_b32 s14, exec_lo
	v_cmpx_ne_u16_e32 0, v19
	s_cbranch_execz .LBB2_1082
; %bb.1073:                             ;   in Loop: Header=BB2_934 Depth=4
	v_bfrev_b32_e32 v18, 1
	s_mov_b32 s73, exec_lo
	v_cmpx_ne_u16_e32 0x80, v19
	s_cbranch_execz .LBB2_1081
; %bb.1074:                             ;   in Loop: Header=BB2_934 Depth=4
	v_and_b32_e32 v18, 0x7c, v13
	v_and_b32_e32 v19, 3, v13
	s_delay_alu instid0(VALU_DEP_2) | instskip(SKIP_1) | instid1(SALU_CYCLE_1)
	v_cmp_ne_u32_e64 s13, 0x7c, v18
                                        ; implicit-def: $vgpr18
	s_and_saveexec_b32 s74, s13
	s_xor_b32 s74, exec_lo, s74
	s_cbranch_execz .LBB2_1078
; %bb.1075:                             ;   in Loop: Header=BB2_934 Depth=4
	v_bfe_u32 v18, v13, 2, 5
	s_mov_b32 s75, exec_lo
	s_delay_alu instid0(VALU_DEP_1)
	v_cmpx_eq_u32_e32 0, v18
; %bb.1076:                             ;   in Loop: Header=BB2_934 Depth=4
	v_clz_i32_u32_e32 v18, v19
	s_delay_alu instid0(VALU_DEP_1) | instskip(NEXT) | instid1(VALU_DEP_1)
	v_min_u32_e32 v18, 32, v18
	v_subrev_nc_u32_e32 v19, 29, v18
	s_delay_alu instid0(VALU_DEP_1) | instskip(NEXT) | instid1(VALU_DEP_1)
	v_lshlrev_b64_e32 v[20:21], v19, v[2:3]
	v_dual_sub_nc_u32 v18, 30, v18 :: v_dual_bitop2_b32 v19, 3, v20 bitop3:0x40
; %bb.1077:                             ;   in Loop: Header=BB2_934 Depth=4
	s_or_b32 exec_lo, exec_lo, s75
	v_lshlrev_b32_e32 v20, 24, v13
	s_delay_alu instid0(VALU_DEP_1) | instskip(NEXT) | instid1(VALU_DEP_1)
	v_and_b32_e32 v20, 0x80000000, v20
	v_lshl_add_u32 v18, v18, 23, v20
	s_delay_alu instid0(VALU_DEP_1) | instskip(NEXT) | instid1(VALU_DEP_1)
	v_lshl_or_b32 v18, v19, 21, v18
                                        ; implicit-def: $vgpr19
	v_add_nc_u32_e32 v18, 0x38000000, v18
.LBB2_1078:                             ;   in Loop: Header=BB2_934 Depth=4
	s_and_not1_saveexec_b32 s74, s74
; %bb.1079:                             ;   in Loop: Header=BB2_934 Depth=4
	v_bfe_i32 v18, v13, 0, 8
	s_delay_alu instid0(VALU_DEP_1) | instskip(NEXT) | instid1(VALU_DEP_1)
	v_cmp_lt_i16_e64 s13, -1, v18
	v_cndmask_b32_e64 v18, 0xff800000, v109, s13
	v_cmp_eq_u32_e64 s13, 0, v19
	s_delay_alu instid0(VALU_DEP_1)
	v_cndmask_b32_e64 v18, 0x7f800001, v18, s13
; %bb.1080:                             ;   in Loop: Header=BB2_934 Depth=4
	s_or_b32 exec_lo, exec_lo, s74
.LBB2_1081:                             ;   in Loop: Header=BB2_934 Depth=4
	s_delay_alu instid0(SALU_CYCLE_1)
	s_or_b32 exec_lo, exec_lo, s73
.LBB2_1082:                             ;   in Loop: Header=BB2_934 Depth=4
	s_delay_alu instid0(SALU_CYCLE_1) | instskip(SKIP_4) | instid1(VALU_DEP_2)
	s_or_b32 exec_lo, exec_lo, s14
	v_and_b32_e32 v57, 0xff, v9
	v_mov_b32_e32 v56, v9
	s_mov_b32 s73, 0
	s_mov_b32 s14, exec_lo
	v_cmpx_lt_i16_e32 0x7f, v57
	s_xor_b32 s14, exec_lo, s14
	s_cbranch_execz .LBB2_1491
; %bb.1083:                             ;   in Loop: Header=BB2_934 Depth=4
	s_mov_b32 s73, -1
	s_mov_b32 s74, exec_lo
	v_cmpx_eq_u16_e32 0x80, v57
; %bb.1084:                             ;   in Loop: Header=BB2_934 Depth=4
	s_xor_b32 s73, exec_lo, -1
; %bb.1085:                             ;   in Loop: Header=BB2_934 Depth=4
	s_or_b32 exec_lo, exec_lo, s74
	s_delay_alu instid0(SALU_CYCLE_1)
	s_and_b32 s73, s73, exec_lo
                                        ; implicit-def: $vgpr57
	s_or_saveexec_b32 s14, s14
	v_bfrev_b32_e32 v19, 1
	s_xor_b32 exec_lo, exec_lo, s14
	s_cbranch_execnz .LBB2_1492
.LBB2_1086:                             ;   in Loop: Header=BB2_934 Depth=4
	s_or_b32 exec_lo, exec_lo, s14
	v_mov_b32_e32 v57, v3
	s_and_saveexec_b32 s14, s73
	s_cbranch_execz .LBB2_1088
.LBB2_1087:                             ;   in Loop: Header=BB2_934 Depth=4
	v_and_b32_e32 v19, 3, v9
	s_delay_alu instid0(VALU_DEP_1) | instskip(NEXT) | instid1(VALU_DEP_1)
	v_clz_i32_u32_e32 v20, v19
	v_min_u32_e32 v58, 32, v20
	s_delay_alu instid0(VALU_DEP_1) | instskip(NEXT) | instid1(VALU_DEP_1)
	v_subrev_nc_u32_e32 v20, 29, v58
	v_lshlrev_b64_e32 v[20:21], v20, v[56:57]
	v_bfe_u32 v57, v9, 2, 5
	v_dual_lshlrev_b32 v21, 24, v9 :: v_dual_sub_nc_u32 v58, 30, v58
	s_delay_alu instid0(VALU_DEP_2) | instskip(NEXT) | instid1(VALU_DEP_2)
	v_cmp_eq_u32_e64 s13, 0, v57
	v_and_b32_e32 v21, 0x80000000, v21
	s_delay_alu instid0(VALU_DEP_2) | instskip(SKIP_1) | instid1(VALU_DEP_2)
	v_dual_cndmask_b32 v57, v57, v58, s13 :: v_dual_bitop2_b32 v20, 3, v20 bitop3:0x40
	v_bfe_i32 v58, v9, 0, 8
	v_cndmask_b32_e64 v20, v19, v20, s13
	s_delay_alu instid0(VALU_DEP_3) | instskip(NEXT) | instid1(VALU_DEP_3)
	v_lshl_add_u32 v21, v57, 23, v21
	v_cmp_lt_i16_e64 s13, -1, v58
	s_delay_alu instid0(VALU_DEP_2) | instskip(NEXT) | instid1(VALU_DEP_2)
	v_lshl_or_b32 v20, v20, 21, v21
	v_cndmask_b32_e64 v57, 0xff800000, v109, s13
	v_and_b32_e32 v21, 0x7c, v9
	v_cmp_eq_u32_e64 s13, 0, v19
	s_delay_alu instid0(VALU_DEP_4) | instskip(NEXT) | instid1(VALU_DEP_2)
	v_add_nc_u32_e32 v20, 0x38000000, v20
	v_cndmask_b32_e64 v19, 0x7f800001, v57, s13
	s_delay_alu instid0(VALU_DEP_4) | instskip(NEXT) | instid1(VALU_DEP_1)
	v_cmp_eq_u32_e64 s13, 0x7c, v21
	v_cndmask_b32_e64 v19, v20, v19, s13
.LBB2_1088:                             ;   in Loop: Header=BB2_934 Depth=4
	s_or_b32 exec_lo, exec_lo, s14
	s_delay_alu instid0(VALU_DEP_1) | instskip(SKIP_2) | instid1(VALU_DEP_2)
	v_dual_mul_f32 v19, v18, v19 :: v_dual_mov_b32 v21, v3
	v_mov_b32_e32 v59, v3
                                        ; implicit-def: $vgpr60
	s_mov_b32 s14, exec_lo
	v_and_b32_e32 v20, 0x7f800000, v19
	v_and_b32_e32 v58, 0x7fffff, v19
	v_lshrrev_b32_e32 v18, 24, v19
	s_delay_alu instid0(VALU_DEP_3)
	v_cmpx_ne_u64_e32 0x7f800000, v[20:21]
	s_xor_b32 s73, exec_lo, s14
	s_cbranch_execz .LBB2_1102
; %bb.1089:                             ;   in Loop: Header=BB2_934 Depth=4
	v_and_b32_e32 v20, 0x7fffffff, v19
	v_mov_b32_e32 v21, v3
	v_and_b32_e32 v18, 0x80, v18
                                        ; implicit-def: $vgpr60
	s_mov_b32 s14, exec_lo
	s_delay_alu instid0(VALU_DEP_2)
	v_cmpx_gt_u64_e32 0x47600001, v[20:21]
	s_xor_b32 s74, exec_lo, s14
	s_cbranch_execz .LBB2_1099
; %bb.1090:                             ;   in Loop: Header=BB2_934 Depth=4
	v_mov_b32_e32 v60, 0
	s_mov_b32 s75, exec_lo
	v_cmpx_ne_u32_e32 0, v19
	s_cbranch_execz .LBB2_1098
; %bb.1091:                             ;   in Loop: Header=BB2_934 Depth=4
	v_bfe_u32 v19, v19, 23, 8
	v_or_b32_e32 v60, 0x800000, v58
	s_delay_alu instid0(VALU_DEP_2) | instskip(SKIP_1) | instid1(VALU_DEP_1)
	v_sub_nc_u32_e32 v20, 0x71, v19
	v_cmp_gt_u32_e64 s13, 0x72, v19
	v_cndmask_b32_e64 v20, 0, v20, s13
	v_cmp_eq_u32_e64 s13, 0, v19
	s_delay_alu instid0(VALU_DEP_1) | instskip(NEXT) | instid1(VALU_DEP_1)
	v_cndmask_b32_e64 v57, v20, 0x70, s13
	v_dual_cndmask_b32 v58, v60, v58, s13 :: v_dual_add_nc_u32 v20, 21, v57
	v_add_nc_u32_e32 v61, 20, v57
	s_delay_alu instid0(VALU_DEP_2) | instskip(NEXT) | instid1(VALU_DEP_2)
	v_lshlrev_b64_e64 v[20:21], v20, -1
	v_lshlrev_b64_e64 v[60:61], v61, 1
	s_delay_alu instid0(VALU_DEP_2) | instskip(SKIP_1) | instid1(VALU_DEP_4)
	v_bfi_b32 v20, v20, 0, v58
	v_lshrrev_b64 v[58:59], v57, v[58:59]
	v_bfi_b32 v21, v21, 0, 0
	s_delay_alu instid0(VALU_DEP_1) | instskip(NEXT) | instid1(VALU_DEP_3)
	v_cmp_eq_u64_e64 s14, v[20:21], v[60:61]
	v_mov_b64_e32 v[60:61], v[58:59]
	s_and_saveexec_b32 s76, s14
; %bb.1092:                             ;   in Loop: Header=BB2_934 Depth=4
	v_bfe_u32 v20, v58, 21, 1
	v_mov_b32_e32 v21, v3
	s_delay_alu instid0(VALU_DEP_1) | instskip(NEXT) | instid1(VALU_DEP_1)
	v_add_nc_u64_e32 v[20:21], v[58:59], v[20:21]
	v_add_nc_u64_e32 v[60:61], -1, v[20:21]
; %bb.1093:                             ;   in Loop: Header=BB2_934 Depth=4
	s_or_b32 exec_lo, exec_lo, s76
	v_add_nc_u32_e32 v19, 0xffffff81, v19
	v_dual_mov_b32 v59, v3 :: v_dual_lshrrev_b32 v20, 23, v58
	s_mov_b32 s14, exec_lo
	s_delay_alu instid0(VALU_DEP_2) | instskip(NEXT) | instid1(VALU_DEP_1)
	v_cndmask_b32_e64 v19, v19, 0xffffff82, s13
	v_add3_u32 v57, v57, v19, v20
	v_and_b32_e32 v19, 0x1fffff, v60
	s_delay_alu instid0(VALU_DEP_1) | instskip(NEXT) | instid1(VALU_DEP_1)
	v_dual_add_nc_u32 v60, 14, v57 :: v_dual_add_nc_u32 v58, v19, v58
                                        ; implicit-def: $vgpr19
	v_cmpx_ne_u32_e32 0, v60
	s_xor_b32 s14, exec_lo, s14
; %bb.1094:                             ;   in Loop: Header=BB2_934 Depth=4
	s_delay_alu instid0(VALU_DEP_2) | instskip(SKIP_1) | instid1(VALU_DEP_2)
	v_cmp_lt_u64_e64 s13, 0xffffff, v[58:59]
	v_add_nc_u32_e32 v19, 15, v57
	v_cndmask_b32_e64 v20, 0, 1, s13
	s_delay_alu instid0(VALU_DEP_2) | instskip(NEXT) | instid1(VALU_DEP_2)
	v_cndmask_b32_e64 v19, v60, v19, s13
	v_lshrrev_b64 v[58:59], v20, v[58:59]
; %bb.1095:                             ;   in Loop: Header=BB2_934 Depth=4
	s_and_not1_saveexec_b32 s13, s14
; %bb.1096:                             ;   in Loop: Header=BB2_934 Depth=4
	s_delay_alu instid0(VALU_DEP_1)
	v_bfe_u32 v19, v58, 23, 1
; %bb.1097:                             ;   in Loop: Header=BB2_934 Depth=4
	s_or_b32 exec_lo, exec_lo, s13
	s_delay_alu instid0(VALU_DEP_2) | instskip(NEXT) | instid1(VALU_DEP_2)
	v_lshrrev_b64 v[20:21], 21, v[58:59]
	v_cmp_gt_i32_e64 s13, 32, v19
	v_min_i32_e32 v57, 31, v19
	v_cmp_eq_u32_e64 s14, 0, v19
	s_delay_alu instid0(VALU_DEP_3) | instskip(NEXT) | instid1(VALU_DEP_3)
	v_cndmask_b32_e64 v21, 0, v21, s13
	v_dual_lshlrev_b32 v57, 2, v57 :: v_dual_cndmask_b32 v20, 3, v20, s13
	s_delay_alu instid0(VALU_DEP_1) | instskip(NEXT) | instid1(VALU_DEP_2)
	v_and_b32_e32 v57, 0xfc, v57
	v_cmp_eq_u64_e64 s13, 0, v[20:21]
	s_delay_alu instid0(VALU_DEP_2)
	v_and_or_b32 v19, v20, 3, v57
	s_and_b32 s13, s14, s13
	s_delay_alu instid0(VALU_DEP_1) | instid1(SALU_CYCLE_1)
	v_cndmask_b32_e64 v19, v19, 0, s13
	s_delay_alu instid0(VALU_DEP_1)
	v_or_b32_e32 v60, v19, v18
.LBB2_1098:                             ;   in Loop: Header=BB2_934 Depth=4
	s_or_b32 exec_lo, exec_lo, s75
                                        ; implicit-def: $vgpr18
.LBB2_1099:                             ;   in Loop: Header=BB2_934 Depth=4
	s_and_not1_saveexec_b32 s13, s74
; %bb.1100:                             ;   in Loop: Header=BB2_934 Depth=4
	v_or_b32_e32 v60, 0x7b, v18
; %bb.1101:                             ;   in Loop: Header=BB2_934 Depth=4
	s_or_b32 exec_lo, exec_lo, s13
                                        ; implicit-def: $vgpr19
                                        ; implicit-def: $vgpr58_vgpr59
                                        ; implicit-def: $vgpr18
.LBB2_1102:                             ;   in Loop: Header=BB2_934 Depth=4
	s_and_not1_saveexec_b32 s14, s73
	s_cbranch_execz .LBB2_1108
; %bb.1103:                             ;   in Loop: Header=BB2_934 Depth=4
	v_cmp_ne_u64_e64 s13, 0, v[58:59]
                                        ; implicit-def: $vgpr60
	s_and_saveexec_b32 s73, s13
	s_delay_alu instid0(SALU_CYCLE_1)
	s_xor_b32 s13, exec_lo, s73
; %bb.1104:                             ;   in Loop: Header=BB2_934 Depth=4
	v_or_b32_e32 v60, 0x7f, v18
                                        ; implicit-def: $vgpr19
; %bb.1105:                             ;   in Loop: Header=BB2_934 Depth=4
	s_and_not1_saveexec_b32 s73, s13
; %bb.1106:                             ;   in Loop: Header=BB2_934 Depth=4
	v_cmp_lt_i32_e64 s13, -1, v19
	s_delay_alu instid0(VALU_DEP_1)
	v_cndmask_b32_e64 v60, 0xfc, v110, s13
; %bb.1107:                             ;   in Loop: Header=BB2_934 Depth=4
	s_or_b32 exec_lo, exec_lo, s73
.LBB2_1108:                             ;   in Loop: Header=BB2_934 Depth=4
	s_delay_alu instid0(SALU_CYCLE_1) | instskip(SKIP_3) | instid1(VALU_DEP_2)
	s_or_b32 exec_lo, exec_lo, s14
	v_lshrrev_b16 v58, 8, v2
	v_mov_b32_e32 v18, 0
	s_mov_b32 s14, exec_lo
	v_cmpx_ne_u16_e32 0, v58
	s_cbranch_execz .LBB2_1118
; %bb.1109:                             ;   in Loop: Header=BB2_934 Depth=4
	v_bfrev_b32_e32 v18, 1
	s_mov_b32 s73, exec_lo
	v_cmpx_ne_u16_e32 0x80, v58
	s_cbranch_execz .LBB2_1117
; %bb.1110:                             ;   in Loop: Header=BB2_934 Depth=4
	v_and_b32_e32 v57, 0xffff, v58
	s_delay_alu instid0(VALU_DEP_1) | instskip(SKIP_1) | instid1(VALU_DEP_2)
	v_and_b32_e32 v18, 0x7c, v57
	v_and_b32_e32 v19, 3, v57
	v_cmp_ne_u32_e64 s13, 0x7c, v18
                                        ; implicit-def: $vgpr18
	s_and_saveexec_b32 s74, s13
	s_delay_alu instid0(SALU_CYCLE_1)
	s_xor_b32 s74, exec_lo, s74
	s_cbranch_execz .LBB2_1114
; %bb.1111:                             ;   in Loop: Header=BB2_934 Depth=4
	v_bfe_u32 v18, v57, 2, 5
	s_mov_b32 s75, exec_lo
	s_delay_alu instid0(VALU_DEP_1)
	v_cmpx_eq_u32_e32 0, v18
	s_cbranch_execz .LBB2_1113
; %bb.1112:                             ;   in Loop: Header=BB2_934 Depth=4
	v_clz_i32_u32_e32 v18, v19
	s_delay_alu instid0(VALU_DEP_1) | instskip(SKIP_1) | instid1(VALU_DEP_2)
	v_min_u32_e32 v18, 32, v18
	v_mov_b32_e32 v59, v3
	v_subrev_nc_u32_e32 v19, 29, v18
	v_sub_nc_u32_e32 v18, 30, v18
	s_delay_alu instid0(VALU_DEP_2) | instskip(NEXT) | instid1(VALU_DEP_1)
	v_lshlrev_b64_e32 v[20:21], v19, v[58:59]
	v_and_b32_e32 v19, 3, v20
.LBB2_1113:                             ;   in Loop: Header=BB2_934 Depth=4
	s_or_b32 exec_lo, exec_lo, s75
	v_lshlrev_b32_e32 v2, 16, v2
	s_delay_alu instid0(VALU_DEP_1) | instskip(NEXT) | instid1(VALU_DEP_1)
	v_and_b32_e32 v2, 0x80000000, v2
	v_lshl_add_u32 v2, v18, 23, v2
	s_delay_alu instid0(VALU_DEP_1) | instskip(NEXT) | instid1(VALU_DEP_1)
	v_lshl_or_b32 v2, v19, 21, v2
                                        ; implicit-def: $vgpr19
	v_add_nc_u32_e32 v18, 0x38000000, v2
.LBB2_1114:                             ;   in Loop: Header=BB2_934 Depth=4
	s_and_not1_saveexec_b32 s74, s74
; %bb.1115:                             ;   in Loop: Header=BB2_934 Depth=4
	v_cmp_lt_i16_e64 s13, -1, v2
	s_delay_alu instid0(VALU_DEP_1) | instskip(SKIP_1) | instid1(VALU_DEP_1)
	v_cndmask_b32_e64 v2, 0xff800000, v109, s13
	v_cmp_eq_u32_e64 s13, 0, v19
	v_cndmask_b32_e64 v18, 0x7f800001, v2, s13
; %bb.1116:                             ;   in Loop: Header=BB2_934 Depth=4
	s_or_b32 exec_lo, exec_lo, s74
.LBB2_1117:                             ;   in Loop: Header=BB2_934 Depth=4
	s_delay_alu instid0(SALU_CYCLE_1)
	s_or_b32 exec_lo, exec_lo, s73
.LBB2_1118:                             ;   in Loop: Header=BB2_934 Depth=4
	s_delay_alu instid0(SALU_CYCLE_1) | instskip(SKIP_3) | instid1(VALU_DEP_1)
	s_or_b32 exec_lo, exec_lo, s14
	v_lshrrev_b16 v2, 8, v56
	s_mov_b32 s73, 0
	s_mov_b32 s14, exec_lo
	v_cmpx_lt_i16_e32 0x7f, v2
	s_xor_b32 s14, exec_lo, s14
	s_cbranch_execz .LBB2_1493
; %bb.1119:                             ;   in Loop: Header=BB2_934 Depth=4
	s_mov_b32 s73, -1
	s_mov_b32 s74, exec_lo
	v_cmpx_eq_u16_e32 0x80, v2
; %bb.1120:                             ;   in Loop: Header=BB2_934 Depth=4
	s_xor_b32 s73, exec_lo, -1
; %bb.1121:                             ;   in Loop: Header=BB2_934 Depth=4
	s_or_b32 exec_lo, exec_lo, s74
	s_delay_alu instid0(SALU_CYCLE_1)
	s_and_b32 s73, s73, exec_lo
	s_or_saveexec_b32 s14, s14
	v_bfrev_b32_e32 v19, 1
	s_xor_b32 exec_lo, exec_lo, s14
	s_cbranch_execnz .LBB2_1494
.LBB2_1122:                             ;   in Loop: Header=BB2_934 Depth=4
	s_or_b32 exec_lo, exec_lo, s14
	s_and_saveexec_b32 s14, s73
	s_cbranch_execz .LBB2_1124
.LBB2_1123:                             ;   in Loop: Header=BB2_934 Depth=4
	v_and_b32_e32 v19, 0xffff, v2
	s_delay_alu instid0(VALU_DEP_1) | instskip(NEXT) | instid1(VALU_DEP_1)
	v_and_b32_e32 v57, 3, v19
	v_clz_i32_u32_e32 v20, v57
	s_delay_alu instid0(VALU_DEP_1) | instskip(NEXT) | instid1(VALU_DEP_1)
	v_min_u32_e32 v58, 32, v20
	v_subrev_nc_u32_e32 v20, 29, v58
	s_delay_alu instid0(VALU_DEP_1) | instskip(SKIP_4) | instid1(VALU_DEP_4)
	v_lshlrev_b64_e32 v[20:21], v20, v[2:3]
	v_bfe_u32 v21, v19, 2, 5
	v_lshlrev_b32_e32 v2, 24, v2
	v_sub_nc_u32_e32 v58, 30, v58
	v_and_b32_e32 v19, 0x7c, v19
	v_cmp_eq_u32_e64 s13, 0, v21
	s_delay_alu instid0(VALU_DEP_4) | instskip(NEXT) | instid1(VALU_DEP_2)
	v_and_b32_e32 v2, 0x80000000, v2
	v_dual_cndmask_b32 v21, v21, v58, s13 :: v_dual_bitop2_b32 v20, 3, v20 bitop3:0x40
	s_delay_alu instid0(VALU_DEP_1) | instskip(SKIP_1) | instid1(VALU_DEP_3)
	v_cndmask_b32_e64 v20, v57, v20, s13
	v_cmp_lt_i16_e64 s13, -1, v56
	v_lshl_add_u32 v2, v21, 23, v2
	s_delay_alu instid0(VALU_DEP_2) | instskip(SKIP_1) | instid1(VALU_DEP_3)
	v_cndmask_b32_e64 v21, 0xff800000, v109, s13
	v_cmp_eq_u32_e64 s13, 0, v57
	v_lshl_or_b32 v2, v20, 21, v2
	s_delay_alu instid0(VALU_DEP_2) | instskip(NEXT) | instid1(VALU_DEP_2)
	v_cndmask_b32_e64 v20, 0x7f800001, v21, s13
	v_add_nc_u32_e32 v2, 0x38000000, v2
	v_cmp_eq_u32_e64 s13, 0x7c, v19
	s_delay_alu instid0(VALU_DEP_1)
	v_cndmask_b32_e64 v19, v2, v20, s13
.LBB2_1124:                             ;   in Loop: Header=BB2_934 Depth=4
	s_or_b32 exec_lo, exec_lo, s14
	s_delay_alu instid0(VALU_DEP_1) | instskip(SKIP_1) | instid1(VALU_DEP_1)
	v_dual_mul_f32 v19, v18, v19 :: v_dual_mov_b32 v21, v3
                                        ; implicit-def: $vgpr61
	s_mov_b32 s14, exec_lo
	v_and_b32_e32 v20, 0x7f800000, v19
	v_and_b32_e32 v2, 0x7fffff, v19
	v_lshrrev_b32_e32 v18, 24, v19
	s_delay_alu instid0(VALU_DEP_3)
	v_cmpx_ne_u64_e32 0x7f800000, v[20:21]
	s_xor_b32 s73, exec_lo, s14
	s_cbranch_execz .LBB2_1138
; %bb.1125:                             ;   in Loop: Header=BB2_934 Depth=4
	v_and_b32_e32 v20, 0x7fffffff, v19
	v_mov_b32_e32 v21, v3
	v_and_b32_e32 v18, 0x80, v18
                                        ; implicit-def: $vgpr61
	s_mov_b32 s14, exec_lo
	s_delay_alu instid0(VALU_DEP_2)
	v_cmpx_gt_u64_e32 0x47600001, v[20:21]
	s_xor_b32 s74, exec_lo, s14
	s_cbranch_execz .LBB2_1135
; %bb.1126:                             ;   in Loop: Header=BB2_934 Depth=4
	v_mov_b32_e32 v61, 0
	s_mov_b32 s75, exec_lo
	v_cmpx_ne_u32_e32 0, v19
	s_cbranch_execz .LBB2_1134
; %bb.1127:                             ;   in Loop: Header=BB2_934 Depth=4
	v_bfe_u32 v19, v19, 23, 8
	v_or_b32_e32 v56, 0x800000, v2
	s_delay_alu instid0(VALU_DEP_2) | instskip(SKIP_1) | instid1(VALU_DEP_1)
	v_sub_nc_u32_e32 v20, 0x71, v19
	v_cmp_gt_u32_e64 s13, 0x72, v19
	v_cndmask_b32_e64 v20, 0, v20, s13
	v_cmp_eq_u32_e64 s13, 0, v19
	s_delay_alu instid0(VALU_DEP_1) | instskip(NEXT) | instid1(VALU_DEP_1)
	v_cndmask_b32_e64 v61, v20, 0x70, s13
	v_dual_cndmask_b32 v2, v56, v2, s13 :: v_dual_add_nc_u32 v20, 21, v61
	v_add_nc_u32_e32 v57, 20, v61
	s_delay_alu instid0(VALU_DEP_2) | instskip(NEXT) | instid1(VALU_DEP_2)
	v_lshlrev_b64_e64 v[20:21], v20, -1
	v_lshlrev_b64_e64 v[58:59], v57, 1
	s_delay_alu instid0(VALU_DEP_4) | instskip(NEXT) | instid1(VALU_DEP_3)
	v_lshrrev_b64 v[56:57], v61, v[2:3]
	v_bfi_b32 v21, v21, 0, 0
	s_delay_alu instid0(VALU_DEP_4) | instskip(NEXT) | instid1(VALU_DEP_1)
	v_bfi_b32 v20, v20, 0, v2
	v_cmp_eq_u64_e64 s14, v[20:21], v[58:59]
	s_delay_alu instid0(VALU_DEP_4)
	v_mov_b64_e32 v[58:59], v[56:57]
	s_and_saveexec_b32 s76, s14
; %bb.1128:                             ;   in Loop: Header=BB2_934 Depth=4
	v_bfe_u32 v2, v56, 21, 1
	s_delay_alu instid0(VALU_DEP_1) | instskip(NEXT) | instid1(VALU_DEP_1)
	v_add_nc_u64_e32 v[20:21], v[56:57], v[2:3]
	v_add_nc_u64_e32 v[58:59], -1, v[20:21]
; %bb.1129:                             ;   in Loop: Header=BB2_934 Depth=4
	s_or_b32 exec_lo, exec_lo, s76
	v_add_nc_u32_e32 v2, 0xffffff81, v19
	v_lshrrev_b32_e32 v19, 23, v56
	s_mov_b32 s14, exec_lo
	s_delay_alu instid0(VALU_DEP_2) | instskip(NEXT) | instid1(VALU_DEP_1)
	v_cndmask_b32_e64 v2, v2, 0xffffff82, s13
	v_add3_u32 v59, v61, v2, v19
	v_and_b32_e32 v2, 0x1fffff, v58
                                        ; implicit-def: $vgpr19
	s_delay_alu instid0(VALU_DEP_1) | instskip(NEXT) | instid1(VALU_DEP_1)
	v_dual_add_nc_u32 v58, 14, v59 :: v_dual_add_nc_u32 v2, v2, v56
                                        ; implicit-def: $vgpr56_vgpr57
	v_cmpx_ne_u32_e32 0, v58
	s_xor_b32 s14, exec_lo, s14
; %bb.1130:                             ;   in Loop: Header=BB2_934 Depth=4
	s_delay_alu instid0(VALU_DEP_2) | instskip(SKIP_1) | instid1(VALU_DEP_2)
	v_cmp_lt_u64_e64 s13, 0xffffff, v[2:3]
	v_add_nc_u32_e32 v19, 15, v59
	v_cndmask_b32_e64 v20, 0, 1, s13
	s_delay_alu instid0(VALU_DEP_2) | instskip(NEXT) | instid1(VALU_DEP_2)
	v_cndmask_b32_e64 v19, v58, v19, s13
	v_lshrrev_b64 v[56:57], v20, v[2:3]
; %bb.1131:                             ;   in Loop: Header=BB2_934 Depth=4
	s_and_not1_saveexec_b32 s13, s14
; %bb.1132:                             ;   in Loop: Header=BB2_934 Depth=4
	v_mov_b64_e32 v[56:57], v[2:3]
	v_bfe_u32 v19, v2, 23, 1
; %bb.1133:                             ;   in Loop: Header=BB2_934 Depth=4
	s_or_b32 exec_lo, exec_lo, s13
	s_delay_alu instid0(VALU_DEP_2) | instskip(NEXT) | instid1(VALU_DEP_2)
	v_lshrrev_b64 v[20:21], 21, v[56:57]
	v_cmp_gt_i32_e64 s13, 32, v19
	v_min_i32_e32 v2, 31, v19
	v_cmp_eq_u32_e64 s14, 0, v19
	s_delay_alu instid0(VALU_DEP_2) | instskip(SKIP_1) | instid1(VALU_DEP_2)
	v_dual_cndmask_b32 v21, 0, v21, s13 :: v_dual_lshlrev_b32 v2, 2, v2
	v_cndmask_b32_e64 v20, 3, v20, s13
	v_and_b32_e32 v2, 0xfc, v2
	s_delay_alu instid0(VALU_DEP_2) | instskip(NEXT) | instid1(VALU_DEP_2)
	v_cmp_eq_u64_e64 s13, 0, v[20:21]
	v_and_or_b32 v2, v20, 3, v2
	s_and_b32 s13, s14, s13
	s_delay_alu instid0(VALU_DEP_1) | instid1(SALU_CYCLE_1)
	v_cndmask_b32_e64 v2, v2, 0, s13
	s_delay_alu instid0(VALU_DEP_1)
	v_or_b32_e32 v61, v2, v18
.LBB2_1134:                             ;   in Loop: Header=BB2_934 Depth=4
	s_or_b32 exec_lo, exec_lo, s75
                                        ; implicit-def: $vgpr18
.LBB2_1135:                             ;   in Loop: Header=BB2_934 Depth=4
	s_and_not1_saveexec_b32 s13, s74
; %bb.1136:                             ;   in Loop: Header=BB2_934 Depth=4
	v_or_b32_e32 v61, 0x7b, v18
; %bb.1137:                             ;   in Loop: Header=BB2_934 Depth=4
	s_or_b32 exec_lo, exec_lo, s13
                                        ; implicit-def: $vgpr19
                                        ; implicit-def: $vgpr18
.LBB2_1138:                             ;   in Loop: Header=BB2_934 Depth=4
	s_and_not1_saveexec_b32 s14, s73
	s_cbranch_execz .LBB2_1144
; %bb.1139:                             ;   in Loop: Header=BB2_934 Depth=4
	v_cmp_ne_u64_e64 s13, 0, v[2:3]
                                        ; implicit-def: $vgpr61
	s_and_saveexec_b32 s73, s13
	s_delay_alu instid0(SALU_CYCLE_1)
	s_xor_b32 s13, exec_lo, s73
; %bb.1140:                             ;   in Loop: Header=BB2_934 Depth=4
	v_or_b32_e32 v61, 0x7f, v18
                                        ; implicit-def: $vgpr19
; %bb.1141:                             ;   in Loop: Header=BB2_934 Depth=4
	s_and_not1_saveexec_b32 s73, s13
; %bb.1142:                             ;   in Loop: Header=BB2_934 Depth=4
	v_cmp_lt_i32_e64 s13, -1, v19
	s_delay_alu instid0(VALU_DEP_1)
	v_cndmask_b32_e64 v61, 0xfc, v110, s13
; %bb.1143:                             ;   in Loop: Header=BB2_934 Depth=4
	s_or_b32 exec_lo, exec_lo, s73
.LBB2_1144:                             ;   in Loop: Header=BB2_934 Depth=4
	s_delay_alu instid0(SALU_CYCLE_1) | instskip(SKIP_2) | instid1(VALU_DEP_1)
	s_or_b32 exec_lo, exec_lo, s14
	v_dual_lshrrev_b32 v2, 16, v13 :: v_dual_mov_b32 v18, 0
	s_mov_b32 s14, exec_lo
	v_and_b32_e32 v19, 0xff, v2
	s_delay_alu instid0(VALU_DEP_1)
	v_cmpx_ne_u16_e32 0, v19
	s_cbranch_execz .LBB2_1154
; %bb.1145:                             ;   in Loop: Header=BB2_934 Depth=4
	v_bfrev_b32_e32 v18, 1
	s_mov_b32 s73, exec_lo
	v_cmpx_ne_u16_e32 0x80, v19
	s_cbranch_execz .LBB2_1153
; %bb.1146:                             ;   in Loop: Header=BB2_934 Depth=4
	v_and_b32_e32 v18, 0x7c0000, v13
	v_bfe_u32 v19, v13, 16, 2
	s_delay_alu instid0(VALU_DEP_2) | instskip(SKIP_1) | instid1(SALU_CYCLE_1)
	v_cmp_ne_u32_e64 s13, 0x7c0000, v18
                                        ; implicit-def: $vgpr18
	s_and_saveexec_b32 s74, s13
	s_xor_b32 s74, exec_lo, s74
	s_cbranch_execz .LBB2_1150
; %bb.1147:                             ;   in Loop: Header=BB2_934 Depth=4
	v_bfe_u32 v18, v13, 18, 5
	s_mov_b32 s75, exec_lo
	s_delay_alu instid0(VALU_DEP_1)
	v_cmpx_eq_u32_e32 0, v18
; %bb.1148:                             ;   in Loop: Header=BB2_934 Depth=4
	v_clz_i32_u32_e32 v18, v19
	s_delay_alu instid0(VALU_DEP_1) | instskip(NEXT) | instid1(VALU_DEP_1)
	v_min_u32_e32 v18, 32, v18
	v_subrev_nc_u32_e32 v19, 29, v18
	s_delay_alu instid0(VALU_DEP_1) | instskip(NEXT) | instid1(VALU_DEP_1)
	v_lshlrev_b64_e32 v[20:21], v19, v[2:3]
	v_dual_sub_nc_u32 v18, 30, v18 :: v_dual_bitop2_b32 v19, 3, v20 bitop3:0x40
; %bb.1149:                             ;   in Loop: Header=BB2_934 Depth=4
	s_or_b32 exec_lo, exec_lo, s75
	v_lshlrev_b32_e32 v2, 24, v2
	s_delay_alu instid0(VALU_DEP_1) | instskip(NEXT) | instid1(VALU_DEP_1)
	v_and_b32_e32 v2, 0x80000000, v2
	v_lshl_add_u32 v2, v18, 23, v2
	s_delay_alu instid0(VALU_DEP_1) | instskip(NEXT) | instid1(VALU_DEP_1)
	v_lshl_or_b32 v2, v19, 21, v2
                                        ; implicit-def: $vgpr19
	v_add_nc_u32_e32 v18, 0x38000000, v2
                                        ; implicit-def: $vgpr2
.LBB2_1150:                             ;   in Loop: Header=BB2_934 Depth=4
	s_and_not1_saveexec_b32 s74, s74
; %bb.1151:                             ;   in Loop: Header=BB2_934 Depth=4
	v_bfe_i32 v2, v2, 0, 8
	s_delay_alu instid0(VALU_DEP_1) | instskip(NEXT) | instid1(VALU_DEP_1)
	v_cmp_lt_i16_e64 s13, -1, v2
	v_cndmask_b32_e64 v2, 0xff800000, v109, s13
	v_cmp_eq_u32_e64 s13, 0, v19
	s_delay_alu instid0(VALU_DEP_1)
	v_cndmask_b32_e64 v18, 0x7f800001, v2, s13
; %bb.1152:                             ;   in Loop: Header=BB2_934 Depth=4
	s_or_b32 exec_lo, exec_lo, s74
.LBB2_1153:                             ;   in Loop: Header=BB2_934 Depth=4
	s_delay_alu instid0(SALU_CYCLE_1)
	s_or_b32 exec_lo, exec_lo, s73
.LBB2_1154:                             ;   in Loop: Header=BB2_934 Depth=4
	s_delay_alu instid0(SALU_CYCLE_1) | instskip(SKIP_3) | instid1(VALU_DEP_1)
	s_or_b32 exec_lo, exec_lo, s14
	v_lshrrev_b32_e32 v2, 16, v9
	s_mov_b32 s73, 0
	s_mov_b32 s14, exec_lo
	v_and_b32_e32 v56, 0xff, v2
	s_delay_alu instid0(VALU_DEP_1)
	v_cmpx_lt_i16_e32 0x7f, v56
	s_xor_b32 s14, exec_lo, s14
	s_cbranch_execz .LBB2_1495
; %bb.1155:                             ;   in Loop: Header=BB2_934 Depth=4
	s_mov_b32 s73, -1
	s_mov_b32 s74, exec_lo
	v_cmpx_eq_u16_e32 0x80, v56
; %bb.1156:                             ;   in Loop: Header=BB2_934 Depth=4
	s_xor_b32 s73, exec_lo, -1
; %bb.1157:                             ;   in Loop: Header=BB2_934 Depth=4
	s_or_b32 exec_lo, exec_lo, s74
	s_delay_alu instid0(SALU_CYCLE_1)
	s_and_b32 s73, s73, exec_lo
                                        ; implicit-def: $vgpr56
	s_or_saveexec_b32 s14, s14
	v_bfrev_b32_e32 v19, 1
	s_xor_b32 exec_lo, exec_lo, s14
	s_cbranch_execnz .LBB2_1496
.LBB2_1158:                             ;   in Loop: Header=BB2_934 Depth=4
	s_or_b32 exec_lo, exec_lo, s14
	s_and_saveexec_b32 s14, s73
	s_cbranch_execz .LBB2_1160
.LBB2_1159:                             ;   in Loop: Header=BB2_934 Depth=4
	v_and_b32_e32 v19, 3, v2
	v_bfe_u32 v57, v9, 18, 5
	s_delay_alu instid0(VALU_DEP_2) | instskip(NEXT) | instid1(VALU_DEP_2)
	v_clz_i32_u32_e32 v20, v19
	v_cmp_eq_u32_e64 s13, 0, v57
	s_delay_alu instid0(VALU_DEP_2) | instskip(NEXT) | instid1(VALU_DEP_1)
	v_min_u32_e32 v56, 32, v20
	v_subrev_nc_u32_e32 v20, 29, v56
	v_sub_nc_u32_e32 v56, 30, v56
	s_delay_alu instid0(VALU_DEP_2) | instskip(NEXT) | instid1(VALU_DEP_2)
	v_lshlrev_b64_e32 v[20:21], v20, v[2:3]
	v_dual_lshlrev_b32 v21, 24, v2 :: v_dual_cndmask_b32 v56, v57, v56, s13
	v_bfe_i32 v2, v2, 0, 8
	s_delay_alu instid0(VALU_DEP_2) | instskip(NEXT) | instid1(VALU_DEP_4)
	v_and_b32_e32 v21, 0x80000000, v21
	v_and_b32_e32 v20, 3, v20
	s_delay_alu instid0(VALU_DEP_2) | instskip(NEXT) | instid1(VALU_DEP_2)
	v_lshl_add_u32 v21, v56, 23, v21
	v_cndmask_b32_e64 v20, v19, v20, s13
	v_cmp_lt_i16_e64 s13, -1, v2
	s_delay_alu instid0(VALU_DEP_2) | instskip(NEXT) | instid1(VALU_DEP_2)
	v_lshl_or_b32 v20, v20, 21, v21
	v_cndmask_b32_e64 v2, 0xff800000, v109, s13
	v_and_b32_e32 v21, 0x7c0000, v9
	v_cmp_eq_u32_e64 s13, 0, v19
	s_delay_alu instid0(VALU_DEP_4) | instskip(NEXT) | instid1(VALU_DEP_2)
	v_add_nc_u32_e32 v19, 0x38000000, v20
	v_cndmask_b32_e64 v2, 0x7f800001, v2, s13
	s_delay_alu instid0(VALU_DEP_4) | instskip(NEXT) | instid1(VALU_DEP_1)
	v_cmp_eq_u32_e64 s13, 0x7c0000, v21
	v_cndmask_b32_e64 v19, v19, v2, s13
.LBB2_1160:                             ;   in Loop: Header=BB2_934 Depth=4
	s_or_b32 exec_lo, exec_lo, s14
	s_delay_alu instid0(VALU_DEP_1) | instskip(SKIP_1) | instid1(VALU_DEP_1)
	v_dual_mul_f32 v19, v18, v19 :: v_dual_mov_b32 v21, v3
                                        ; implicit-def: $vgpr58
	s_mov_b32 s14, exec_lo
	v_and_b32_e32 v20, 0x7f800000, v19
	v_and_b32_e32 v2, 0x7fffff, v19
	v_lshrrev_b32_e32 v18, 24, v19
	s_delay_alu instid0(VALU_DEP_3)
	v_cmpx_ne_u64_e32 0x7f800000, v[20:21]
	s_xor_b32 s73, exec_lo, s14
	s_cbranch_execz .LBB2_1174
; %bb.1161:                             ;   in Loop: Header=BB2_934 Depth=4
	v_and_b32_e32 v20, 0x7fffffff, v19
	v_mov_b32_e32 v21, v3
	v_and_b32_e32 v18, 0x80, v18
                                        ; implicit-def: $vgpr58
	s_mov_b32 s14, exec_lo
	s_delay_alu instid0(VALU_DEP_2)
	v_cmpx_gt_u64_e32 0x47600001, v[20:21]
	s_xor_b32 s74, exec_lo, s14
	s_cbranch_execz .LBB2_1171
; %bb.1162:                             ;   in Loop: Header=BB2_934 Depth=4
	v_mov_b32_e32 v58, 0
	s_mov_b32 s75, exec_lo
	v_cmpx_ne_u32_e32 0, v19
	s_cbranch_execz .LBB2_1170
; %bb.1163:                             ;   in Loop: Header=BB2_934 Depth=4
	v_bfe_u32 v19, v19, 23, 8
	v_or_b32_e32 v56, 0x800000, v2
	s_delay_alu instid0(VALU_DEP_2) | instskip(SKIP_1) | instid1(VALU_DEP_1)
	v_sub_nc_u32_e32 v20, 0x71, v19
	v_cmp_gt_u32_e64 s13, 0x72, v19
	v_cndmask_b32_e64 v20, 0, v20, s13
	v_cmp_eq_u32_e64 s13, 0, v19
	s_delay_alu instid0(VALU_DEP_1) | instskip(NEXT) | instid1(VALU_DEP_3)
	v_cndmask_b32_e64 v2, v56, v2, s13
	v_cndmask_b32_e64 v88, v20, 0x70, s13
	s_delay_alu instid0(VALU_DEP_1) | instskip(NEXT) | instid1(VALU_DEP_1)
	v_dual_add_nc_u32 v20, 21, v88 :: v_dual_add_nc_u32 v57, 20, v88
	v_lshlrev_b64_e64 v[20:21], v20, -1
	s_delay_alu instid0(VALU_DEP_2) | instskip(SKIP_1) | instid1(VALU_DEP_3)
	v_lshlrev_b64_e64 v[58:59], v57, 1
	v_lshrrev_b64 v[56:57], v88, v[2:3]
	v_bfi_b32 v21, v21, 0, 0
	s_delay_alu instid0(VALU_DEP_4) | instskip(NEXT) | instid1(VALU_DEP_1)
	v_bfi_b32 v20, v20, 0, v2
	v_cmp_eq_u64_e64 s14, v[20:21], v[58:59]
	s_delay_alu instid0(VALU_DEP_4)
	v_mov_b64_e32 v[58:59], v[56:57]
	s_and_saveexec_b32 s76, s14
; %bb.1164:                             ;   in Loop: Header=BB2_934 Depth=4
	v_bfe_u32 v2, v56, 21, 1
	s_delay_alu instid0(VALU_DEP_1) | instskip(NEXT) | instid1(VALU_DEP_1)
	v_add_nc_u64_e32 v[20:21], v[56:57], v[2:3]
	v_add_nc_u64_e32 v[58:59], -1, v[20:21]
; %bb.1165:                             ;   in Loop: Header=BB2_934 Depth=4
	s_or_b32 exec_lo, exec_lo, s76
	v_add_nc_u32_e32 v2, 0xffffff81, v19
	v_lshrrev_b32_e32 v19, 23, v56
	s_mov_b32 s14, exec_lo
	s_delay_alu instid0(VALU_DEP_2) | instskip(NEXT) | instid1(VALU_DEP_1)
	v_cndmask_b32_e64 v2, v2, 0xffffff82, s13
	v_add3_u32 v59, v88, v2, v19
	v_and_b32_e32 v2, 0x1fffff, v58
                                        ; implicit-def: $vgpr19
	s_delay_alu instid0(VALU_DEP_1) | instskip(NEXT) | instid1(VALU_DEP_1)
	v_dual_add_nc_u32 v58, 14, v59 :: v_dual_add_nc_u32 v2, v2, v56
                                        ; implicit-def: $vgpr56_vgpr57
	v_cmpx_ne_u32_e32 0, v58
	s_xor_b32 s14, exec_lo, s14
; %bb.1166:                             ;   in Loop: Header=BB2_934 Depth=4
	s_delay_alu instid0(VALU_DEP_2) | instskip(SKIP_1) | instid1(VALU_DEP_2)
	v_cmp_lt_u64_e64 s13, 0xffffff, v[2:3]
	v_add_nc_u32_e32 v19, 15, v59
	v_cndmask_b32_e64 v20, 0, 1, s13
	s_delay_alu instid0(VALU_DEP_2) | instskip(NEXT) | instid1(VALU_DEP_2)
	v_cndmask_b32_e64 v19, v58, v19, s13
	v_lshrrev_b64 v[56:57], v20, v[2:3]
; %bb.1167:                             ;   in Loop: Header=BB2_934 Depth=4
	s_and_not1_saveexec_b32 s13, s14
; %bb.1168:                             ;   in Loop: Header=BB2_934 Depth=4
	v_mov_b64_e32 v[56:57], v[2:3]
	v_bfe_u32 v19, v2, 23, 1
; %bb.1169:                             ;   in Loop: Header=BB2_934 Depth=4
	s_or_b32 exec_lo, exec_lo, s13
	s_delay_alu instid0(VALU_DEP_2) | instskip(NEXT) | instid1(VALU_DEP_2)
	v_lshrrev_b64 v[20:21], 21, v[56:57]
	v_cmp_gt_i32_e64 s13, 32, v19
	v_min_i32_e32 v2, 31, v19
	v_cmp_eq_u32_e64 s14, 0, v19
	s_delay_alu instid0(VALU_DEP_2) | instskip(SKIP_1) | instid1(VALU_DEP_2)
	v_dual_cndmask_b32 v21, 0, v21, s13 :: v_dual_lshlrev_b32 v2, 2, v2
	v_cndmask_b32_e64 v20, 3, v20, s13
	v_and_b32_e32 v2, 0xfc, v2
	s_delay_alu instid0(VALU_DEP_2) | instskip(NEXT) | instid1(VALU_DEP_2)
	v_cmp_eq_u64_e64 s13, 0, v[20:21]
	v_and_or_b32 v2, v20, 3, v2
	s_and_b32 s13, s14, s13
	s_delay_alu instid0(VALU_DEP_1) | instid1(SALU_CYCLE_1)
	v_cndmask_b32_e64 v2, v2, 0, s13
	s_delay_alu instid0(VALU_DEP_1)
	v_or_b32_e32 v58, v2, v18
.LBB2_1170:                             ;   in Loop: Header=BB2_934 Depth=4
	s_or_b32 exec_lo, exec_lo, s75
                                        ; implicit-def: $vgpr18
.LBB2_1171:                             ;   in Loop: Header=BB2_934 Depth=4
	s_and_not1_saveexec_b32 s13, s74
; %bb.1172:                             ;   in Loop: Header=BB2_934 Depth=4
	v_or_b32_e32 v58, 0x7b, v18
; %bb.1173:                             ;   in Loop: Header=BB2_934 Depth=4
	s_or_b32 exec_lo, exec_lo, s13
                                        ; implicit-def: $vgpr19
                                        ; implicit-def: $vgpr18
.LBB2_1174:                             ;   in Loop: Header=BB2_934 Depth=4
	s_and_not1_saveexec_b32 s14, s73
	s_cbranch_execz .LBB2_1180
; %bb.1175:                             ;   in Loop: Header=BB2_934 Depth=4
	v_cmp_ne_u64_e64 s13, 0, v[2:3]
                                        ; implicit-def: $vgpr58
	s_and_saveexec_b32 s73, s13
	s_delay_alu instid0(SALU_CYCLE_1)
	s_xor_b32 s13, exec_lo, s73
; %bb.1176:                             ;   in Loop: Header=BB2_934 Depth=4
	v_or_b32_e32 v58, 0x7f, v18
                                        ; implicit-def: $vgpr19
; %bb.1177:                             ;   in Loop: Header=BB2_934 Depth=4
	s_and_not1_saveexec_b32 s73, s13
; %bb.1178:                             ;   in Loop: Header=BB2_934 Depth=4
	v_cmp_lt_i32_e64 s13, -1, v19
	s_delay_alu instid0(VALU_DEP_1)
	v_cndmask_b32_e64 v58, 0xfc, v110, s13
; %bb.1179:                             ;   in Loop: Header=BB2_934 Depth=4
	s_or_b32 exec_lo, exec_lo, s73
.LBB2_1180:                             ;   in Loop: Header=BB2_934 Depth=4
	s_delay_alu instid0(SALU_CYCLE_1)
	s_or_b32 exec_lo, exec_lo, s14
	v_mov_b32_e32 v18, 0
	s_mov_b32 s14, exec_lo
	v_cmpx_lt_u64_e64 s[22:23], v[12:13]
	s_cbranch_execz .LBB2_1190
; %bb.1181:                             ;   in Loop: Header=BB2_934 Depth=4
	v_lshrrev_b32_e32 v2, 24, v13
	v_bfrev_b32_e32 v18, 1
	s_mov_b32 s73, exec_lo
	s_delay_alu instid0(VALU_DEP_2)
	v_cmpx_ne_u32_e32 0x80, v2
	s_cbranch_execz .LBB2_1189
; %bb.1182:                             ;   in Loop: Header=BB2_934 Depth=4
	v_and_b32_e32 v18, 0x7c000000, v13
	v_bfe_u32 v19, v13, 24, 2
	s_delay_alu instid0(VALU_DEP_2) | instskip(SKIP_1) | instid1(SALU_CYCLE_1)
	v_cmp_ne_u32_e64 s13, 0x7c000000, v18
                                        ; implicit-def: $vgpr18
	s_and_saveexec_b32 s74, s13
	s_xor_b32 s74, exec_lo, s74
	s_cbranch_execz .LBB2_1186
; %bb.1183:                             ;   in Loop: Header=BB2_934 Depth=4
	v_bfe_u32 v18, v13, 26, 5
	s_mov_b32 s75, exec_lo
	s_delay_alu instid0(VALU_DEP_1)
	v_cmpx_eq_u32_e32 0, v18
; %bb.1184:                             ;   in Loop: Header=BB2_934 Depth=4
	v_clz_i32_u32_e32 v18, v19
	s_delay_alu instid0(VALU_DEP_1) | instskip(NEXT) | instid1(VALU_DEP_1)
	v_min_u32_e32 v18, 32, v18
	v_subrev_nc_u32_e32 v19, 29, v18
	s_delay_alu instid0(VALU_DEP_1) | instskip(NEXT) | instid1(VALU_DEP_1)
	v_lshlrev_b64_e32 v[20:21], v19, v[2:3]
	v_dual_sub_nc_u32 v18, 30, v18 :: v_dual_bitop2_b32 v19, 3, v20 bitop3:0x40
; %bb.1185:                             ;   in Loop: Header=BB2_934 Depth=4
	s_or_b32 exec_lo, exec_lo, s75
	v_and_b32_e32 v2, 0x80000000, v13
	s_delay_alu instid0(VALU_DEP_1) | instskip(NEXT) | instid1(VALU_DEP_1)
	v_lshl_add_u32 v2, v18, 23, v2
	v_lshl_or_b32 v2, v19, 21, v2
                                        ; implicit-def: $vgpr19
	s_delay_alu instid0(VALU_DEP_1)
	v_add_nc_u32_e32 v18, 0x38000000, v2
.LBB2_1186:                             ;   in Loop: Header=BB2_934 Depth=4
	s_and_not1_saveexec_b32 s74, s74
; %bb.1187:                             ;   in Loop: Header=BB2_934 Depth=4
	v_cmp_lt_i64_e64 s13, -1, v[12:13]
	s_delay_alu instid0(VALU_DEP_1) | instskip(SKIP_1) | instid1(VALU_DEP_1)
	v_cndmask_b32_e64 v2, 0xff800000, v109, s13
	v_cmp_eq_u32_e64 s13, 0, v19
	v_cndmask_b32_e64 v18, 0x7f800001, v2, s13
; %bb.1188:                             ;   in Loop: Header=BB2_934 Depth=4
	s_or_b32 exec_lo, exec_lo, s74
.LBB2_1189:                             ;   in Loop: Header=BB2_934 Depth=4
	s_delay_alu instid0(SALU_CYCLE_1)
	s_or_b32 exec_lo, exec_lo, s73
.LBB2_1190:                             ;   in Loop: Header=BB2_934 Depth=4
	s_delay_alu instid0(SALU_CYCLE_1) | instskip(SKIP_3) | instid1(VALU_DEP_2)
	s_or_b32 exec_lo, exec_lo, s14
	v_bfe_u32 v19, v9, 24, 2
	v_bfe_u32 v21, v9, 26, 5
	s_mov_b32 s14, exec_lo
	v_clz_i32_u32_e32 v2, v19
	s_delay_alu instid0(VALU_DEP_2) | instskip(NEXT) | instid1(VALU_DEP_2)
	v_cmp_eq_u32_e64 s13, 0, v21
	v_min_u32_e32 v20, 32, v2
	v_lshrrev_b32_e32 v2, 24, v9
	s_delay_alu instid0(VALU_DEP_2) | instskip(NEXT) | instid1(VALU_DEP_1)
	v_subrev_nc_u32_e32 v12, 29, v20
	v_lshlrev_b64_e32 v[12:13], v12, v[2:3]
	v_sub_nc_u32_e32 v13, 30, v20
	v_and_b32_e32 v20, 0x80000000, v9
	s_delay_alu instid0(VALU_DEP_2) | instskip(NEXT) | instid1(VALU_DEP_1)
	v_dual_cndmask_b32 v13, v21, v13, s13 :: v_dual_bitop2_b32 v12, 3, v12 bitop3:0x40
	v_lshl_add_u32 v13, v13, 23, v20
	s_delay_alu instid0(VALU_DEP_2) | instskip(SKIP_1) | instid1(VALU_DEP_2)
	v_cndmask_b32_e64 v12, v19, v12, s13
	v_cmp_lt_i64_e64 s13, -1, v[8:9]
	v_lshl_or_b32 v12, v12, 21, v13
	v_and_b32_e32 v13, 0x7c000000, v9
	s_delay_alu instid0(VALU_DEP_3) | instskip(SKIP_1) | instid1(VALU_DEP_4)
	v_cndmask_b32_e64 v20, 0xff800000, v109, s13
	v_cmp_eq_u32_e64 s13, 0, v19
	v_add_nc_u32_e32 v12, 0x38000000, v12
	s_delay_alu instid0(VALU_DEP_2) | instskip(SKIP_1) | instid1(VALU_DEP_1)
	v_cndmask_b32_e64 v19, 0x7f800001, v20, s13
	v_cmp_eq_u32_e64 s13, 0x7c000000, v13
	v_dual_mov_b32 v13, v3 :: v_dual_cndmask_b32 v12, v12, v19, s13
	v_cmp_ne_u32_e64 s13, 0x80, v2
	s_delay_alu instid0(VALU_DEP_1) | instskip(SKIP_1) | instid1(VALU_DEP_1)
	v_cndmask_b32_e64 v2, 0x80000000, v12, s13
	v_cmp_lt_u64_e64 s13, s[22:23], v[8:9]
	v_cndmask_b32_e64 v2, 0, v2, s13
	s_delay_alu instid0(VALU_DEP_1) | instskip(NEXT) | instid1(VALU_DEP_1)
	v_mul_f32_e32 v8, v2, v18
                                        ; implicit-def: $vgpr18
	v_and_b32_e32 v12, 0x7f800000, v8
	v_and_b32_e32 v2, 0x7fffff, v8
	v_lshrrev_b32_e32 v9, 24, v8
	s_delay_alu instid0(VALU_DEP_3)
	v_cmpx_ne_u64_e32 0x7f800000, v[12:13]
	s_xor_b32 s73, exec_lo, s14
	s_cbranch_execz .LBB2_1204
; %bb.1191:                             ;   in Loop: Header=BB2_934 Depth=4
	v_and_b32_e32 v12, 0x7fffffff, v8
	v_mov_b32_e32 v13, v3
	v_and_b32_e32 v19, 0x80, v9
                                        ; implicit-def: $vgpr18
	s_mov_b32 s14, exec_lo
	s_delay_alu instid0(VALU_DEP_2)
	v_cmpx_gt_u64_e32 0x47600001, v[12:13]
	s_xor_b32 s74, exec_lo, s14
	s_cbranch_execz .LBB2_1201
; %bb.1192:                             ;   in Loop: Header=BB2_934 Depth=4
	v_mov_b32_e32 v18, 0
	s_mov_b32 s75, exec_lo
	v_cmpx_ne_u32_e32 0, v8
	s_cbranch_execz .LBB2_1200
; %bb.1193:                             ;   in Loop: Header=BB2_934 Depth=4
	v_bfe_u32 v18, v8, 23, 8
	v_or_b32_e32 v12, 0x800000, v2
	s_delay_alu instid0(VALU_DEP_2) | instskip(SKIP_1) | instid1(VALU_DEP_1)
	v_sub_nc_u32_e32 v8, 0x71, v18
	v_cmp_gt_u32_e64 s13, 0x72, v18
	v_cndmask_b32_e64 v8, 0, v8, s13
	v_cmp_eq_u32_e64 s13, 0, v18
	s_delay_alu instid0(VALU_DEP_1) | instskip(NEXT) | instid1(VALU_DEP_3)
	v_cndmask_b32_e64 v2, v12, v2, s13
	v_cndmask_b32_e64 v56, v8, 0x70, s13
	s_delay_alu instid0(VALU_DEP_1) | instskip(NEXT) | instid1(VALU_DEP_1)
	v_dual_add_nc_u32 v8, 21, v56 :: v_dual_add_nc_u32 v13, 20, v56
	v_lshlrev_b64_e64 v[8:9], v8, -1
	s_delay_alu instid0(VALU_DEP_2) | instskip(NEXT) | instid1(VALU_DEP_2)
	v_lshlrev_b64_e64 v[12:13], v13, 1
	v_bfi_b32 v21, v9, 0, 0
	s_delay_alu instid0(VALU_DEP_3) | instskip(SKIP_1) | instid1(VALU_DEP_2)
	v_bfi_b32 v20, v8, 0, v2
	v_lshrrev_b64 v[8:9], v56, v[2:3]
	v_cmp_eq_u64_e64 s14, v[20:21], v[12:13]
	s_delay_alu instid0(VALU_DEP_2)
	v_mov_b64_e32 v[12:13], v[8:9]
	s_and_saveexec_b32 s76, s14
; %bb.1194:                             ;   in Loop: Header=BB2_934 Depth=4
	v_bfe_u32 v2, v8, 21, 1
	s_delay_alu instid0(VALU_DEP_1) | instskip(NEXT) | instid1(VALU_DEP_1)
	v_add_nc_u64_e32 v[12:13], v[8:9], v[2:3]
	v_add_nc_u64_e32 v[12:13], -1, v[12:13]
; %bb.1195:                             ;   in Loop: Header=BB2_934 Depth=4
	s_or_b32 exec_lo, exec_lo, s76
	v_add_nc_u32_e32 v2, 0xffffff81, v18
	v_lshrrev_b32_e32 v9, 23, v8
	s_mov_b32 s14, exec_lo
	s_delay_alu instid0(VALU_DEP_2) | instskip(NEXT) | instid1(VALU_DEP_1)
	v_cndmask_b32_e64 v2, v2, 0xffffff82, s13
	v_add3_u32 v13, v56, v2, v9
	v_and_b32_e32 v2, 0x1fffff, v12
                                        ; implicit-def: $vgpr12
	s_delay_alu instid0(VALU_DEP_1) | instskip(NEXT) | instid1(VALU_DEP_1)
	v_dual_add_nc_u32 v18, 14, v13 :: v_dual_add_nc_u32 v2, v2, v8
                                        ; implicit-def: $vgpr8_vgpr9
	v_cmpx_ne_u32_e32 0, v18
	s_xor_b32 s14, exec_lo, s14
; %bb.1196:                             ;   in Loop: Header=BB2_934 Depth=4
	s_delay_alu instid0(VALU_DEP_2) | instskip(SKIP_1) | instid1(VALU_DEP_1)
	v_cmp_lt_u64_e64 s13, 0xffffff, v[2:3]
	v_add_nc_u32_e32 v8, 15, v13
	v_cndmask_b32_e64 v12, v18, v8, s13
	v_cndmask_b32_e64 v8, 0, 1, s13
	s_delay_alu instid0(VALU_DEP_1)
	v_lshrrev_b64 v[8:9], v8, v[2:3]
; %bb.1197:                             ;   in Loop: Header=BB2_934 Depth=4
	s_and_not1_saveexec_b32 s13, s14
; %bb.1198:                             ;   in Loop: Header=BB2_934 Depth=4
	v_mov_b64_e32 v[8:9], v[2:3]
	v_bfe_u32 v12, v2, 23, 1
; %bb.1199:                             ;   in Loop: Header=BB2_934 Depth=4
	s_or_b32 exec_lo, exec_lo, s13
	s_delay_alu instid0(VALU_DEP_2) | instskip(NEXT) | instid1(VALU_DEP_2)
	v_lshrrev_b64 v[8:9], 21, v[8:9]
	v_cmp_gt_i32_e64 s13, 32, v12
	v_min_i32_e32 v2, 31, v12
	v_cmp_eq_u32_e64 s14, 0, v12
	s_delay_alu instid0(VALU_DEP_2) | instskip(SKIP_1) | instid1(VALU_DEP_2)
	v_dual_cndmask_b32 v9, 0, v9, s13 :: v_dual_lshlrev_b32 v2, 2, v2
	v_cndmask_b32_e64 v8, 3, v8, s13
	v_and_b32_e32 v2, 0xfc, v2
	s_delay_alu instid0(VALU_DEP_2) | instskip(NEXT) | instid1(VALU_DEP_2)
	v_cmp_eq_u64_e64 s13, 0, v[8:9]
	v_and_or_b32 v2, v8, 3, v2
	s_and_b32 s13, s14, s13
	s_delay_alu instid0(VALU_DEP_1) | instid1(SALU_CYCLE_1)
	v_cndmask_b32_e64 v2, v2, 0, s13
	s_delay_alu instid0(VALU_DEP_1)
	v_or_b32_e32 v18, v2, v19
.LBB2_1200:                             ;   in Loop: Header=BB2_934 Depth=4
	s_or_b32 exec_lo, exec_lo, s75
                                        ; implicit-def: $vgpr19
.LBB2_1201:                             ;   in Loop: Header=BB2_934 Depth=4
	s_and_not1_saveexec_b32 s13, s74
; %bb.1202:                             ;   in Loop: Header=BB2_934 Depth=4
	v_or_b32_e32 v18, 0x7b, v19
; %bb.1203:                             ;   in Loop: Header=BB2_934 Depth=4
	s_or_b32 exec_lo, exec_lo, s13
                                        ; implicit-def: $vgpr8
                                        ; implicit-def: $vgpr9
.LBB2_1204:                             ;   in Loop: Header=BB2_934 Depth=4
	s_and_not1_saveexec_b32 s14, s73
	s_cbranch_execz .LBB2_1210
; %bb.1205:                             ;   in Loop: Header=BB2_934 Depth=4
	v_cmp_ne_u64_e64 s13, 0, v[2:3]
                                        ; implicit-def: $vgpr18
	s_and_saveexec_b32 s73, s13
	s_delay_alu instid0(SALU_CYCLE_1)
	s_xor_b32 s13, exec_lo, s73
; %bb.1206:                             ;   in Loop: Header=BB2_934 Depth=4
	v_or_b32_e32 v18, 0x7f, v9
                                        ; implicit-def: $vgpr8
; %bb.1207:                             ;   in Loop: Header=BB2_934 Depth=4
	s_and_not1_saveexec_b32 s73, s13
; %bb.1208:                             ;   in Loop: Header=BB2_934 Depth=4
	v_cmp_lt_i32_e64 s13, -1, v8
	s_delay_alu instid0(VALU_DEP_1)
	v_cndmask_b32_e64 v18, 0xfc, v110, s13
; %bb.1209:                             ;   in Loop: Header=BB2_934 Depth=4
	s_or_b32 exec_lo, exec_lo, s73
.LBB2_1210:                             ;   in Loop: Header=BB2_934 Depth=4
	s_delay_alu instid0(SALU_CYCLE_1) | instskip(SKIP_1) | instid1(VALU_DEP_1)
	s_or_b32 exec_lo, exec_lo, s14
	v_and_b32_e32 v2, 0xff, v14
	v_cmp_ne_u16_e64 s13, 0, v2
	v_mov_b32_e32 v2, 0
	s_and_saveexec_b32 s14, s13
	s_cbranch_execz .LBB2_1220
; %bb.1211:                             ;   in Loop: Header=BB2_934 Depth=4
	v_bfe_i32 v9, v14, 0, 8
	v_bfrev_b32_e32 v2, 1
	s_mov_b32 s73, exec_lo
	s_delay_alu instid0(VALU_DEP_2)
	v_cmpx_ne_u16_e32 0xff80, v9
	s_cbranch_execz .LBB2_1219
; %bb.1212:                             ;   in Loop: Header=BB2_934 Depth=4
	v_and_b32_e32 v2, 0x7c, v14
	v_and_b32_e32 v8, 3, v14
	s_delay_alu instid0(VALU_DEP_2) | instskip(SKIP_1) | instid1(SALU_CYCLE_1)
	v_cmp_ne_u32_e64 s13, 0x7c, v2
                                        ; implicit-def: $vgpr2
	s_and_saveexec_b32 s74, s13
	s_xor_b32 s74, exec_lo, s74
	s_cbranch_execz .LBB2_1216
; %bb.1213:                             ;   in Loop: Header=BB2_934 Depth=4
	v_bfe_u32 v2, v14, 2, 5
	s_mov_b32 s75, exec_lo
	s_delay_alu instid0(VALU_DEP_1)
	v_cmpx_eq_u32_e32 0, v2
; %bb.1214:                             ;   in Loop: Header=BB2_934 Depth=4
	v_clz_i32_u32_e32 v2, v8
	s_delay_alu instid0(VALU_DEP_1) | instskip(NEXT) | instid1(VALU_DEP_1)
	v_min_u32_e32 v2, 32, v2
	v_subrev_nc_u32_e32 v8, 29, v2
	s_delay_alu instid0(VALU_DEP_1) | instskip(NEXT) | instid1(VALU_DEP_1)
	v_lshlrev_b64_e32 v[8:9], v8, v[14:15]
	v_dual_sub_nc_u32 v2, 30, v2 :: v_dual_bitop2_b32 v8, 3, v8 bitop3:0x40
; %bb.1215:                             ;   in Loop: Header=BB2_934 Depth=4
	s_or_b32 exec_lo, exec_lo, s75
	v_lshlrev_b32_e32 v9, 24, v14
	s_delay_alu instid0(VALU_DEP_1) | instskip(NEXT) | instid1(VALU_DEP_1)
	v_and_b32_e32 v9, 0x80000000, v9
	v_lshl_add_u32 v2, v2, 23, v9
                                        ; implicit-def: $vgpr9
	s_delay_alu instid0(VALU_DEP_1) | instskip(NEXT) | instid1(VALU_DEP_1)
	v_lshl_or_b32 v2, v8, 21, v2
                                        ; implicit-def: $vgpr8
	v_add_nc_u32_e32 v2, 0x38000000, v2
.LBB2_1216:                             ;   in Loop: Header=BB2_934 Depth=4
	s_and_not1_saveexec_b32 s74, s74
; %bb.1217:                             ;   in Loop: Header=BB2_934 Depth=4
	v_cmp_lt_i16_e64 s13, -1, v9
	s_delay_alu instid0(VALU_DEP_1) | instskip(SKIP_1) | instid1(VALU_DEP_1)
	v_cndmask_b32_e64 v2, 0xff800000, v109, s13
	v_cmp_eq_u32_e64 s13, 0, v8
	v_cndmask_b32_e64 v2, 0x7f800001, v2, s13
; %bb.1218:                             ;   in Loop: Header=BB2_934 Depth=4
	s_or_b32 exec_lo, exec_lo, s74
.LBB2_1219:                             ;   in Loop: Header=BB2_934 Depth=4
	s_delay_alu instid0(SALU_CYCLE_1)
	s_or_b32 exec_lo, exec_lo, s73
.LBB2_1220:                             ;   in Loop: Header=BB2_934 Depth=4
	s_delay_alu instid0(SALU_CYCLE_1) | instskip(SKIP_3) | instid1(VALU_DEP_1)
	s_or_b32 exec_lo, exec_lo, s14
	v_and_b32_e32 v9, 0xff, v10
	s_mov_b32 s73, 0
	s_mov_b32 s14, exec_lo
	v_cmpx_lt_i16_e32 0x7f, v9
	s_xor_b32 s14, exec_lo, s14
	s_cbranch_execz .LBB2_1497
; %bb.1221:                             ;   in Loop: Header=BB2_934 Depth=4
	s_mov_b32 s73, -1
	s_mov_b32 s74, exec_lo
	v_cmpx_eq_u16_e32 0x80, v9
; %bb.1222:                             ;   in Loop: Header=BB2_934 Depth=4
	s_xor_b32 s73, exec_lo, -1
; %bb.1223:                             ;   in Loop: Header=BB2_934 Depth=4
	s_or_b32 exec_lo, exec_lo, s74
	s_delay_alu instid0(SALU_CYCLE_1)
	s_and_b32 s73, s73, exec_lo
                                        ; implicit-def: $vgpr9
	s_or_saveexec_b32 s14, s14
	v_bfrev_b32_e32 v8, 1
	s_xor_b32 exec_lo, exec_lo, s14
	s_cbranch_execnz .LBB2_1498
.LBB2_1224:                             ;   in Loop: Header=BB2_934 Depth=4
	s_or_b32 exec_lo, exec_lo, s14
	s_and_saveexec_b32 s14, s73
	s_cbranch_execz .LBB2_1226
.LBB2_1225:                             ;   in Loop: Header=BB2_934 Depth=4
	v_and_b32_e32 v12, 3, v10
	v_bfe_u32 v19, v10, 2, 5
	s_delay_alu instid0(VALU_DEP_2) | instskip(NEXT) | instid1(VALU_DEP_2)
	v_clz_i32_u32_e32 v8, v12
	v_cmp_eq_u32_e64 s13, 0, v19
	s_delay_alu instid0(VALU_DEP_2) | instskip(NEXT) | instid1(VALU_DEP_1)
	v_min_u32_e32 v13, 32, v8
	v_subrev_nc_u32_e32 v8, 29, v13
	s_delay_alu instid0(VALU_DEP_1) | instskip(SKIP_1) | instid1(VALU_DEP_1)
	v_lshlrev_b64_e32 v[8:9], v8, v[10:11]
	v_dual_lshlrev_b32 v9, 24, v10 :: v_dual_sub_nc_u32 v13, 30, v13
	v_and_b32_e32 v9, 0x80000000, v9
	s_delay_alu instid0(VALU_DEP_2) | instskip(SKIP_1) | instid1(VALU_DEP_2)
	v_dual_cndmask_b32 v13, v19, v13, s13 :: v_dual_bitop2_b32 v8, 3, v8 bitop3:0x40
	v_bfe_i32 v19, v10, 0, 8
	v_cndmask_b32_e64 v8, v12, v8, s13
	s_delay_alu instid0(VALU_DEP_3) | instskip(NEXT) | instid1(VALU_DEP_3)
	v_lshl_add_u32 v9, v13, 23, v9
	v_cmp_lt_i16_e64 s13, -1, v19
	s_delay_alu instid0(VALU_DEP_2) | instskip(NEXT) | instid1(VALU_DEP_2)
	v_lshl_or_b32 v8, v8, 21, v9
	v_cndmask_b32_e64 v13, 0xff800000, v109, s13
	v_and_b32_e32 v9, 0x7c, v10
	v_cmp_eq_u32_e64 s13, 0, v12
	s_delay_alu instid0(VALU_DEP_4) | instskip(NEXT) | instid1(VALU_DEP_2)
	v_add_nc_u32_e32 v8, 0x38000000, v8
	v_cndmask_b32_e64 v12, 0x7f800001, v13, s13
	s_delay_alu instid0(VALU_DEP_4) | instskip(NEXT) | instid1(VALU_DEP_1)
	v_cmp_eq_u32_e64 s13, 0x7c, v9
	v_cndmask_b32_e64 v8, v8, v12, s13
.LBB2_1226:                             ;   in Loop: Header=BB2_934 Depth=4
	s_or_b32 exec_lo, exec_lo, s14
	s_delay_alu instid0(VALU_DEP_1) | instskip(SKIP_1) | instid1(VALU_DEP_1)
	v_dual_mul_f32 v8, v2, v8 :: v_dual_mov_b32 v13, v3
                                        ; implicit-def: $vgpr19
	s_mov_b32 s14, exec_lo
	v_and_b32_e32 v12, 0x7f800000, v8
	v_and_b32_e32 v2, 0x7fffff, v8
	v_lshrrev_b32_e32 v9, 24, v8
	s_delay_alu instid0(VALU_DEP_3)
	v_cmpx_ne_u64_e32 0x7f800000, v[12:13]
	s_xor_b32 s73, exec_lo, s14
	s_cbranch_execz .LBB2_1240
; %bb.1227:                             ;   in Loop: Header=BB2_934 Depth=4
	v_and_b32_e32 v12, 0x7fffffff, v8
	v_mov_b32_e32 v13, v3
	v_and_b32_e32 v56, 0x80, v9
                                        ; implicit-def: $vgpr19
	s_mov_b32 s14, exec_lo
	s_delay_alu instid0(VALU_DEP_2)
	v_cmpx_gt_u64_e32 0x47600001, v[12:13]
	s_xor_b32 s74, exec_lo, s14
	s_cbranch_execz .LBB2_1237
; %bb.1228:                             ;   in Loop: Header=BB2_934 Depth=4
	v_mov_b32_e32 v19, 0
	s_mov_b32 s75, exec_lo
	v_cmpx_ne_u32_e32 0, v8
	s_cbranch_execz .LBB2_1236
; %bb.1229:                             ;   in Loop: Header=BB2_934 Depth=4
	v_bfe_u32 v19, v8, 23, 8
	v_or_b32_e32 v12, 0x800000, v2
	s_delay_alu instid0(VALU_DEP_2) | instskip(SKIP_1) | instid1(VALU_DEP_1)
	v_sub_nc_u32_e32 v8, 0x71, v19
	v_cmp_gt_u32_e64 s13, 0x72, v19
	v_cndmask_b32_e64 v8, 0, v8, s13
	v_cmp_eq_u32_e64 s13, 0, v19
	s_delay_alu instid0(VALU_DEP_1) | instskip(NEXT) | instid1(VALU_DEP_1)
	v_cndmask_b32_e64 v57, v8, 0x70, s13
	v_dual_cndmask_b32 v2, v12, v2, s13 :: v_dual_add_nc_u32 v8, 21, v57
	v_add_nc_u32_e32 v13, 20, v57
	s_delay_alu instid0(VALU_DEP_2) | instskip(NEXT) | instid1(VALU_DEP_2)
	v_lshlrev_b64_e64 v[8:9], v8, -1
	v_lshlrev_b64_e64 v[12:13], v13, 1
	s_delay_alu instid0(VALU_DEP_2) | instskip(NEXT) | instid1(VALU_DEP_3)
	v_bfi_b32 v21, v9, 0, 0
	v_bfi_b32 v20, v8, 0, v2
	v_lshrrev_b64 v[8:9], v57, v[2:3]
	s_delay_alu instid0(VALU_DEP_2) | instskip(NEXT) | instid1(VALU_DEP_2)
	v_cmp_eq_u64_e64 s14, v[20:21], v[12:13]
	v_mov_b64_e32 v[12:13], v[8:9]
	s_and_saveexec_b32 s76, s14
; %bb.1230:                             ;   in Loop: Header=BB2_934 Depth=4
	v_bfe_u32 v2, v8, 21, 1
	s_delay_alu instid0(VALU_DEP_1) | instskip(NEXT) | instid1(VALU_DEP_1)
	v_add_nc_u64_e32 v[12:13], v[8:9], v[2:3]
	v_add_nc_u64_e32 v[12:13], -1, v[12:13]
; %bb.1231:                             ;   in Loop: Header=BB2_934 Depth=4
	s_or_b32 exec_lo, exec_lo, s76
	v_add_nc_u32_e32 v2, 0xffffff81, v19
	v_lshrrev_b32_e32 v9, 23, v8
	s_mov_b32 s14, exec_lo
	s_delay_alu instid0(VALU_DEP_2) | instskip(NEXT) | instid1(VALU_DEP_1)
	v_cndmask_b32_e64 v2, v2, 0xffffff82, s13
	v_add3_u32 v13, v57, v2, v9
	v_and_b32_e32 v2, 0x1fffff, v12
                                        ; implicit-def: $vgpr12
	s_delay_alu instid0(VALU_DEP_1) | instskip(NEXT) | instid1(VALU_DEP_1)
	v_dual_add_nc_u32 v19, 14, v13 :: v_dual_add_nc_u32 v2, v2, v8
                                        ; implicit-def: $vgpr8_vgpr9
	v_cmpx_ne_u32_e32 0, v19
	s_xor_b32 s14, exec_lo, s14
; %bb.1232:                             ;   in Loop: Header=BB2_934 Depth=4
	s_delay_alu instid0(VALU_DEP_2) | instskip(SKIP_1) | instid1(VALU_DEP_1)
	v_cmp_lt_u64_e64 s13, 0xffffff, v[2:3]
	v_add_nc_u32_e32 v8, 15, v13
	v_cndmask_b32_e64 v12, v19, v8, s13
	v_cndmask_b32_e64 v8, 0, 1, s13
	s_delay_alu instid0(VALU_DEP_1)
	v_lshrrev_b64 v[8:9], v8, v[2:3]
; %bb.1233:                             ;   in Loop: Header=BB2_934 Depth=4
	s_and_not1_saveexec_b32 s13, s14
; %bb.1234:                             ;   in Loop: Header=BB2_934 Depth=4
	v_mov_b64_e32 v[8:9], v[2:3]
	v_bfe_u32 v12, v2, 23, 1
; %bb.1235:                             ;   in Loop: Header=BB2_934 Depth=4
	s_or_b32 exec_lo, exec_lo, s13
	s_delay_alu instid0(VALU_DEP_2) | instskip(NEXT) | instid1(VALU_DEP_2)
	v_lshrrev_b64 v[8:9], 21, v[8:9]
	v_cmp_gt_i32_e64 s13, 32, v12
	v_min_i32_e32 v2, 31, v12
	v_cmp_eq_u32_e64 s14, 0, v12
	s_delay_alu instid0(VALU_DEP_2) | instskip(SKIP_1) | instid1(VALU_DEP_2)
	v_dual_cndmask_b32 v9, 0, v9, s13 :: v_dual_lshlrev_b32 v2, 2, v2
	v_cndmask_b32_e64 v8, 3, v8, s13
	v_and_b32_e32 v2, 0xfc, v2
	s_delay_alu instid0(VALU_DEP_2) | instskip(NEXT) | instid1(VALU_DEP_2)
	v_cmp_eq_u64_e64 s13, 0, v[8:9]
	v_and_or_b32 v2, v8, 3, v2
	s_and_b32 s13, s14, s13
	s_delay_alu instid0(VALU_DEP_1) | instid1(SALU_CYCLE_1)
	v_cndmask_b32_e64 v2, v2, 0, s13
	s_delay_alu instid0(VALU_DEP_1)
	v_or_b32_e32 v19, v2, v56
.LBB2_1236:                             ;   in Loop: Header=BB2_934 Depth=4
	s_or_b32 exec_lo, exec_lo, s75
                                        ; implicit-def: $vgpr56
.LBB2_1237:                             ;   in Loop: Header=BB2_934 Depth=4
	s_and_not1_saveexec_b32 s13, s74
; %bb.1238:                             ;   in Loop: Header=BB2_934 Depth=4
	v_or_b32_e32 v19, 0x7b, v56
; %bb.1239:                             ;   in Loop: Header=BB2_934 Depth=4
	s_or_b32 exec_lo, exec_lo, s13
                                        ; implicit-def: $vgpr8
                                        ; implicit-def: $vgpr9
.LBB2_1240:                             ;   in Loop: Header=BB2_934 Depth=4
	s_and_not1_saveexec_b32 s14, s73
	s_cbranch_execz .LBB2_1246
; %bb.1241:                             ;   in Loop: Header=BB2_934 Depth=4
	v_cmp_ne_u64_e64 s13, 0, v[2:3]
                                        ; implicit-def: $vgpr19
	s_and_saveexec_b32 s73, s13
	s_delay_alu instid0(SALU_CYCLE_1)
	s_xor_b32 s13, exec_lo, s73
; %bb.1242:                             ;   in Loop: Header=BB2_934 Depth=4
	v_or_b32_e32 v19, 0x7f, v9
                                        ; implicit-def: $vgpr8
; %bb.1243:                             ;   in Loop: Header=BB2_934 Depth=4
	s_and_not1_saveexec_b32 s73, s13
; %bb.1244:                             ;   in Loop: Header=BB2_934 Depth=4
	v_cmp_lt_i32_e64 s13, -1, v8
	s_delay_alu instid0(VALU_DEP_1)
	v_cndmask_b32_e64 v19, 0xfc, v110, s13
; %bb.1245:                             ;   in Loop: Header=BB2_934 Depth=4
	s_or_b32 exec_lo, exec_lo, s73
.LBB2_1246:                             ;   in Loop: Header=BB2_934 Depth=4
	s_delay_alu instid0(SALU_CYCLE_1) | instskip(SKIP_3) | instid1(VALU_DEP_2)
	s_or_b32 exec_lo, exec_lo, s14
	v_lshrrev_b16 v2, 8, v14
	v_mov_b32_e32 v8, 0
	s_mov_b32 s14, exec_lo
	v_cmpx_ne_u16_e32 0, v2
	s_cbranch_execz .LBB2_1256
; %bb.1247:                             ;   in Loop: Header=BB2_934 Depth=4
	v_bfrev_b32_e32 v8, 1
	s_mov_b32 s73, exec_lo
	v_cmpx_ne_u16_e32 0x80, v2
	s_cbranch_execz .LBB2_1255
; %bb.1248:                             ;   in Loop: Header=BB2_934 Depth=4
	v_and_b32_e32 v12, 0xffff, v2
	s_delay_alu instid0(VALU_DEP_1) | instskip(SKIP_1) | instid1(VALU_DEP_2)
	v_and_b32_e32 v8, 0x7c, v12
	v_and_b32_e32 v9, 3, v12
	v_cmp_ne_u32_e64 s13, 0x7c, v8
                                        ; implicit-def: $vgpr8
	s_and_saveexec_b32 s74, s13
	s_delay_alu instid0(SALU_CYCLE_1)
	s_xor_b32 s74, exec_lo, s74
	s_cbranch_execz .LBB2_1252
; %bb.1249:                             ;   in Loop: Header=BB2_934 Depth=4
	v_bfe_u32 v8, v12, 2, 5
	s_mov_b32 s75, exec_lo
	s_delay_alu instid0(VALU_DEP_1)
	v_cmpx_eq_u32_e32 0, v8
; %bb.1250:                             ;   in Loop: Header=BB2_934 Depth=4
	v_clz_i32_u32_e32 v8, v9
	s_delay_alu instid0(VALU_DEP_1) | instskip(NEXT) | instid1(VALU_DEP_1)
	v_min_u32_e32 v8, 32, v8
	v_subrev_nc_u32_e32 v9, 29, v8
	v_sub_nc_u32_e32 v8, 30, v8
	s_delay_alu instid0(VALU_DEP_2) | instskip(NEXT) | instid1(VALU_DEP_1)
	v_lshlrev_b64_e32 v[12:13], v9, v[2:3]
	v_and_b32_e32 v9, 3, v12
; %bb.1251:                             ;   in Loop: Header=BB2_934 Depth=4
	s_or_b32 exec_lo, exec_lo, s75
	v_lshlrev_b32_e32 v2, 16, v14
	s_delay_alu instid0(VALU_DEP_1) | instskip(NEXT) | instid1(VALU_DEP_1)
	v_and_b32_e32 v2, 0x80000000, v2
	v_lshl_add_u32 v2, v8, 23, v2
	s_delay_alu instid0(VALU_DEP_1) | instskip(NEXT) | instid1(VALU_DEP_1)
	v_lshl_or_b32 v2, v9, 21, v2
                                        ; implicit-def: $vgpr9
	v_add_nc_u32_e32 v8, 0x38000000, v2
.LBB2_1252:                             ;   in Loop: Header=BB2_934 Depth=4
	s_and_not1_saveexec_b32 s74, s74
; %bb.1253:                             ;   in Loop: Header=BB2_934 Depth=4
	v_cmp_lt_i16_e64 s13, -1, v14
	s_delay_alu instid0(VALU_DEP_1) | instskip(SKIP_1) | instid1(VALU_DEP_1)
	v_cndmask_b32_e64 v2, 0xff800000, v109, s13
	v_cmp_eq_u32_e64 s13, 0, v9
	v_cndmask_b32_e64 v8, 0x7f800001, v2, s13
; %bb.1254:                             ;   in Loop: Header=BB2_934 Depth=4
	s_or_b32 exec_lo, exec_lo, s74
.LBB2_1255:                             ;   in Loop: Header=BB2_934 Depth=4
	s_delay_alu instid0(SALU_CYCLE_1)
	s_or_b32 exec_lo, exec_lo, s73
.LBB2_1256:                             ;   in Loop: Header=BB2_934 Depth=4
	s_delay_alu instid0(SALU_CYCLE_1) | instskip(SKIP_3) | instid1(VALU_DEP_1)
	s_or_b32 exec_lo, exec_lo, s14
	v_lshrrev_b16 v2, 8, v10
	s_mov_b32 s73, 0
	s_mov_b32 s14, exec_lo
	v_cmpx_lt_i16_e32 0x7f, v2
	s_xor_b32 s14, exec_lo, s14
	s_cbranch_execz .LBB2_1499
; %bb.1257:                             ;   in Loop: Header=BB2_934 Depth=4
	s_mov_b32 s73, -1
	s_mov_b32 s74, exec_lo
	v_cmpx_eq_u16_e32 0x80, v2
; %bb.1258:                             ;   in Loop: Header=BB2_934 Depth=4
	s_xor_b32 s73, exec_lo, -1
; %bb.1259:                             ;   in Loop: Header=BB2_934 Depth=4
	s_or_b32 exec_lo, exec_lo, s74
	s_delay_alu instid0(SALU_CYCLE_1)
	s_and_b32 s73, s73, exec_lo
	s_or_saveexec_b32 s14, s14
	v_bfrev_b32_e32 v9, 1
	s_xor_b32 exec_lo, exec_lo, s14
	s_cbranch_execnz .LBB2_1500
.LBB2_1260:                             ;   in Loop: Header=BB2_934 Depth=4
	s_or_b32 exec_lo, exec_lo, s14
	s_and_saveexec_b32 s14, s73
	s_cbranch_execz .LBB2_1262
.LBB2_1261:                             ;   in Loop: Header=BB2_934 Depth=4
	v_and_b32_e32 v9, 0xffff, v2
	s_delay_alu instid0(VALU_DEP_1) | instskip(NEXT) | instid1(VALU_DEP_1)
	v_and_b32_e32 v20, 3, v9
	v_clz_i32_u32_e32 v12, v20
	s_delay_alu instid0(VALU_DEP_1) | instskip(NEXT) | instid1(VALU_DEP_1)
	v_min_u32_e32 v21, 32, v12
	v_subrev_nc_u32_e32 v12, 29, v21
	s_delay_alu instid0(VALU_DEP_1) | instskip(SKIP_3) | instid1(VALU_DEP_3)
	v_lshlrev_b64_e32 v[12:13], v12, v[2:3]
	v_bfe_u32 v13, v9, 2, 5
	v_dual_lshlrev_b32 v2, 24, v2 :: v_dual_sub_nc_u32 v21, 30, v21
	v_and_b32_e32 v9, 0x7c, v9
	v_cmp_eq_u32_e64 s13, 0, v13
	s_delay_alu instid0(VALU_DEP_3) | instskip(NEXT) | instid1(VALU_DEP_2)
	v_and_b32_e32 v2, 0x80000000, v2
	v_dual_cndmask_b32 v13, v13, v21, s13 :: v_dual_bitop2_b32 v12, 3, v12 bitop3:0x40
	s_delay_alu instid0(VALU_DEP_1) | instskip(SKIP_1) | instid1(VALU_DEP_3)
	v_cndmask_b32_e64 v12, v20, v12, s13
	v_cmp_lt_i16_e64 s13, -1, v10
	v_lshl_add_u32 v2, v13, 23, v2
	s_delay_alu instid0(VALU_DEP_2) | instskip(SKIP_1) | instid1(VALU_DEP_3)
	v_cndmask_b32_e64 v13, 0xff800000, v109, s13
	v_cmp_eq_u32_e64 s13, 0, v20
	v_lshl_or_b32 v2, v12, 21, v2
	s_delay_alu instid0(VALU_DEP_2) | instskip(NEXT) | instid1(VALU_DEP_2)
	v_cndmask_b32_e64 v12, 0x7f800001, v13, s13
	v_add_nc_u32_e32 v2, 0x38000000, v2
	v_cmp_eq_u32_e64 s13, 0x7c, v9
	s_delay_alu instid0(VALU_DEP_1)
	v_cndmask_b32_e64 v9, v2, v12, s13
.LBB2_1262:                             ;   in Loop: Header=BB2_934 Depth=4
	s_or_b32 exec_lo, exec_lo, s14
	s_delay_alu instid0(VALU_DEP_1) | instskip(SKIP_1) | instid1(VALU_DEP_1)
	v_dual_mul_f32 v8, v8, v9 :: v_dual_mov_b32 v13, v3
                                        ; implicit-def: $vgpr59
	s_mov_b32 s14, exec_lo
	v_and_b32_e32 v12, 0x7f800000, v8
	v_and_b32_e32 v2, 0x7fffff, v8
	v_lshrrev_b32_e32 v9, 24, v8
	s_delay_alu instid0(VALU_DEP_3)
	v_cmpx_ne_u64_e32 0x7f800000, v[12:13]
	s_xor_b32 s73, exec_lo, s14
	s_cbranch_execz .LBB2_1276
; %bb.1263:                             ;   in Loop: Header=BB2_934 Depth=4
	v_and_b32_e32 v12, 0x7fffffff, v8
	v_mov_b32_e32 v13, v3
	v_and_b32_e32 v56, 0x80, v9
                                        ; implicit-def: $vgpr59
	s_mov_b32 s14, exec_lo
	s_delay_alu instid0(VALU_DEP_2)
	v_cmpx_gt_u64_e32 0x47600001, v[12:13]
	s_xor_b32 s74, exec_lo, s14
	s_cbranch_execz .LBB2_1273
; %bb.1264:                             ;   in Loop: Header=BB2_934 Depth=4
	v_mov_b32_e32 v59, 0
	s_mov_b32 s75, exec_lo
	v_cmpx_ne_u32_e32 0, v8
	s_cbranch_execz .LBB2_1272
; %bb.1265:                             ;   in Loop: Header=BB2_934 Depth=4
	v_bfe_u32 v57, v8, 23, 8
	v_or_b32_e32 v12, 0x800000, v2
	s_delay_alu instid0(VALU_DEP_2) | instskip(SKIP_1) | instid1(VALU_DEP_1)
	v_sub_nc_u32_e32 v8, 0x71, v57
	v_cmp_gt_u32_e64 s13, 0x72, v57
	v_cndmask_b32_e64 v8, 0, v8, s13
	v_cmp_eq_u32_e64 s13, 0, v57
	s_delay_alu instid0(VALU_DEP_1) | instskip(NEXT) | instid1(VALU_DEP_1)
	v_cndmask_b32_e64 v59, v8, 0x70, s13
	v_dual_cndmask_b32 v2, v12, v2, s13 :: v_dual_add_nc_u32 v8, 21, v59
	v_add_nc_u32_e32 v13, 20, v59
	s_delay_alu instid0(VALU_DEP_2) | instskip(NEXT) | instid1(VALU_DEP_2)
	v_lshlrev_b64_e64 v[8:9], v8, -1
	v_lshlrev_b64_e64 v[12:13], v13, 1
	s_delay_alu instid0(VALU_DEP_2) | instskip(NEXT) | instid1(VALU_DEP_3)
	v_bfi_b32 v21, v9, 0, 0
	v_bfi_b32 v20, v8, 0, v2
	v_lshrrev_b64 v[8:9], v59, v[2:3]
	s_delay_alu instid0(VALU_DEP_2) | instskip(NEXT) | instid1(VALU_DEP_2)
	v_cmp_eq_u64_e64 s14, v[20:21], v[12:13]
	v_mov_b64_e32 v[12:13], v[8:9]
	s_and_saveexec_b32 s76, s14
; %bb.1266:                             ;   in Loop: Header=BB2_934 Depth=4
	v_bfe_u32 v2, v8, 21, 1
	s_delay_alu instid0(VALU_DEP_1) | instskip(NEXT) | instid1(VALU_DEP_1)
	v_add_nc_u64_e32 v[12:13], v[8:9], v[2:3]
	v_add_nc_u64_e32 v[12:13], -1, v[12:13]
; %bb.1267:                             ;   in Loop: Header=BB2_934 Depth=4
	s_or_b32 exec_lo, exec_lo, s76
	v_add_nc_u32_e32 v2, 0xffffff81, v57
	v_lshrrev_b32_e32 v9, 23, v8
	s_mov_b32 s14, exec_lo
	s_delay_alu instid0(VALU_DEP_2) | instskip(NEXT) | instid1(VALU_DEP_1)
	v_cndmask_b32_e64 v2, v2, 0xffffff82, s13
	v_add3_u32 v13, v59, v2, v9
	v_and_b32_e32 v2, 0x1fffff, v12
                                        ; implicit-def: $vgpr12
	s_delay_alu instid0(VALU_DEP_1) | instskip(NEXT) | instid1(VALU_DEP_1)
	v_dual_add_nc_u32 v57, 14, v13 :: v_dual_add_nc_u32 v2, v2, v8
                                        ; implicit-def: $vgpr8_vgpr9
	v_cmpx_ne_u32_e32 0, v57
	s_xor_b32 s14, exec_lo, s14
; %bb.1268:                             ;   in Loop: Header=BB2_934 Depth=4
	s_delay_alu instid0(VALU_DEP_2) | instskip(SKIP_1) | instid1(VALU_DEP_1)
	v_cmp_lt_u64_e64 s13, 0xffffff, v[2:3]
	v_add_nc_u32_e32 v8, 15, v13
	v_cndmask_b32_e64 v12, v57, v8, s13
	v_cndmask_b32_e64 v8, 0, 1, s13
	s_delay_alu instid0(VALU_DEP_1)
	v_lshrrev_b64 v[8:9], v8, v[2:3]
; %bb.1269:                             ;   in Loop: Header=BB2_934 Depth=4
	s_and_not1_saveexec_b32 s13, s14
; %bb.1270:                             ;   in Loop: Header=BB2_934 Depth=4
	v_mov_b64_e32 v[8:9], v[2:3]
	v_bfe_u32 v12, v2, 23, 1
; %bb.1271:                             ;   in Loop: Header=BB2_934 Depth=4
	s_or_b32 exec_lo, exec_lo, s13
	s_delay_alu instid0(VALU_DEP_2) | instskip(NEXT) | instid1(VALU_DEP_2)
	v_lshrrev_b64 v[8:9], 21, v[8:9]
	v_cmp_gt_i32_e64 s13, 32, v12
	v_min_i32_e32 v2, 31, v12
	v_cmp_eq_u32_e64 s14, 0, v12
	s_delay_alu instid0(VALU_DEP_2) | instskip(SKIP_1) | instid1(VALU_DEP_2)
	v_dual_cndmask_b32 v9, 0, v9, s13 :: v_dual_lshlrev_b32 v2, 2, v2
	v_cndmask_b32_e64 v8, 3, v8, s13
	v_and_b32_e32 v2, 0xfc, v2
	s_delay_alu instid0(VALU_DEP_2) | instskip(NEXT) | instid1(VALU_DEP_2)
	v_cmp_eq_u64_e64 s13, 0, v[8:9]
	v_and_or_b32 v2, v8, 3, v2
	s_and_b32 s13, s14, s13
	s_delay_alu instid0(VALU_DEP_1) | instid1(SALU_CYCLE_1)
	v_cndmask_b32_e64 v2, v2, 0, s13
	s_delay_alu instid0(VALU_DEP_1)
	v_or_b32_e32 v59, v2, v56
.LBB2_1272:                             ;   in Loop: Header=BB2_934 Depth=4
	s_or_b32 exec_lo, exec_lo, s75
                                        ; implicit-def: $vgpr56
.LBB2_1273:                             ;   in Loop: Header=BB2_934 Depth=4
	s_and_not1_saveexec_b32 s13, s74
; %bb.1274:                             ;   in Loop: Header=BB2_934 Depth=4
	v_or_b32_e32 v59, 0x7b, v56
; %bb.1275:                             ;   in Loop: Header=BB2_934 Depth=4
	s_or_b32 exec_lo, exec_lo, s13
                                        ; implicit-def: $vgpr8
                                        ; implicit-def: $vgpr9
.LBB2_1276:                             ;   in Loop: Header=BB2_934 Depth=4
	s_and_not1_saveexec_b32 s14, s73
	s_cbranch_execz .LBB2_1282
; %bb.1277:                             ;   in Loop: Header=BB2_934 Depth=4
	v_cmp_ne_u64_e64 s13, 0, v[2:3]
                                        ; implicit-def: $vgpr59
	s_and_saveexec_b32 s73, s13
	s_delay_alu instid0(SALU_CYCLE_1)
	s_xor_b32 s13, exec_lo, s73
; %bb.1278:                             ;   in Loop: Header=BB2_934 Depth=4
	v_or_b32_e32 v59, 0x7f, v9
                                        ; implicit-def: $vgpr8
; %bb.1279:                             ;   in Loop: Header=BB2_934 Depth=4
	s_and_not1_saveexec_b32 s73, s13
; %bb.1280:                             ;   in Loop: Header=BB2_934 Depth=4
	v_cmp_lt_i32_e64 s13, -1, v8
	s_delay_alu instid0(VALU_DEP_1)
	v_cndmask_b32_e64 v59, 0xfc, v110, s13
; %bb.1281:                             ;   in Loop: Header=BB2_934 Depth=4
	s_or_b32 exec_lo, exec_lo, s73
.LBB2_1282:                             ;   in Loop: Header=BB2_934 Depth=4
	s_delay_alu instid0(SALU_CYCLE_1) | instskip(SKIP_2) | instid1(VALU_DEP_1)
	s_or_b32 exec_lo, exec_lo, s14
	v_dual_lshrrev_b32 v2, 16, v14 :: v_dual_mov_b32 v8, 0
	s_mov_b32 s14, exec_lo
	v_and_b32_e32 v9, 0xff, v2
	s_delay_alu instid0(VALU_DEP_1)
	v_cmpx_ne_u16_e32 0, v9
	s_cbranch_execz .LBB2_1292
; %bb.1283:                             ;   in Loop: Header=BB2_934 Depth=4
	v_bfrev_b32_e32 v8, 1
	s_mov_b32 s73, exec_lo
	v_cmpx_ne_u16_e32 0x80, v9
	s_cbranch_execz .LBB2_1291
; %bb.1284:                             ;   in Loop: Header=BB2_934 Depth=4
	v_and_b32_e32 v8, 0x7c0000, v14
	v_bfe_u32 v9, v14, 16, 2
	s_delay_alu instid0(VALU_DEP_2) | instskip(SKIP_1) | instid1(SALU_CYCLE_1)
	v_cmp_ne_u32_e64 s13, 0x7c0000, v8
                                        ; implicit-def: $vgpr8
	s_and_saveexec_b32 s74, s13
	s_xor_b32 s74, exec_lo, s74
	s_cbranch_execz .LBB2_1288
; %bb.1285:                             ;   in Loop: Header=BB2_934 Depth=4
	v_bfe_u32 v8, v14, 18, 5
	s_mov_b32 s75, exec_lo
	s_delay_alu instid0(VALU_DEP_1)
	v_cmpx_eq_u32_e32 0, v8
; %bb.1286:                             ;   in Loop: Header=BB2_934 Depth=4
	v_clz_i32_u32_e32 v8, v9
	s_delay_alu instid0(VALU_DEP_1) | instskip(NEXT) | instid1(VALU_DEP_1)
	v_min_u32_e32 v8, 32, v8
	v_subrev_nc_u32_e32 v9, 29, v8
	v_sub_nc_u32_e32 v8, 30, v8
	s_delay_alu instid0(VALU_DEP_2) | instskip(NEXT) | instid1(VALU_DEP_1)
	v_lshlrev_b64_e32 v[12:13], v9, v[2:3]
	v_and_b32_e32 v9, 3, v12
; %bb.1287:                             ;   in Loop: Header=BB2_934 Depth=4
	s_or_b32 exec_lo, exec_lo, s75
	v_lshlrev_b32_e32 v2, 24, v2
	s_delay_alu instid0(VALU_DEP_1) | instskip(NEXT) | instid1(VALU_DEP_1)
	v_and_b32_e32 v2, 0x80000000, v2
	v_lshl_add_u32 v2, v8, 23, v2
	s_delay_alu instid0(VALU_DEP_1) | instskip(NEXT) | instid1(VALU_DEP_1)
	v_lshl_or_b32 v2, v9, 21, v2
                                        ; implicit-def: $vgpr9
	v_add_nc_u32_e32 v8, 0x38000000, v2
                                        ; implicit-def: $vgpr2
.LBB2_1288:                             ;   in Loop: Header=BB2_934 Depth=4
	s_and_not1_saveexec_b32 s74, s74
; %bb.1289:                             ;   in Loop: Header=BB2_934 Depth=4
	v_bfe_i32 v2, v2, 0, 8
	s_delay_alu instid0(VALU_DEP_1) | instskip(NEXT) | instid1(VALU_DEP_1)
	v_cmp_lt_i16_e64 s13, -1, v2
	v_cndmask_b32_e64 v2, 0xff800000, v109, s13
	v_cmp_eq_u32_e64 s13, 0, v9
	s_delay_alu instid0(VALU_DEP_1)
	v_cndmask_b32_e64 v8, 0x7f800001, v2, s13
; %bb.1290:                             ;   in Loop: Header=BB2_934 Depth=4
	s_or_b32 exec_lo, exec_lo, s74
.LBB2_1291:                             ;   in Loop: Header=BB2_934 Depth=4
	s_delay_alu instid0(SALU_CYCLE_1)
	s_or_b32 exec_lo, exec_lo, s73
.LBB2_1292:                             ;   in Loop: Header=BB2_934 Depth=4
	s_delay_alu instid0(SALU_CYCLE_1) | instskip(SKIP_3) | instid1(VALU_DEP_1)
	s_or_b32 exec_lo, exec_lo, s14
	v_lshrrev_b32_e32 v2, 16, v10
	s_mov_b32 s73, 0
	s_mov_b32 s14, exec_lo
	v_and_b32_e32 v12, 0xff, v2
	s_delay_alu instid0(VALU_DEP_1)
	v_cmpx_lt_i16_e32 0x7f, v12
	s_xor_b32 s14, exec_lo, s14
	s_cbranch_execz .LBB2_1501
; %bb.1293:                             ;   in Loop: Header=BB2_934 Depth=4
	s_mov_b32 s73, -1
	s_mov_b32 s74, exec_lo
	v_cmpx_eq_u16_e32 0x80, v12
; %bb.1294:                             ;   in Loop: Header=BB2_934 Depth=4
	s_xor_b32 s73, exec_lo, -1
; %bb.1295:                             ;   in Loop: Header=BB2_934 Depth=4
	s_or_b32 exec_lo, exec_lo, s74
	s_delay_alu instid0(SALU_CYCLE_1)
	s_and_b32 s73, s73, exec_lo
                                        ; implicit-def: $vgpr12
	s_or_saveexec_b32 s14, s14
	v_bfrev_b32_e32 v9, 1
	s_xor_b32 exec_lo, exec_lo, s14
	s_cbranch_execnz .LBB2_1502
.LBB2_1296:                             ;   in Loop: Header=BB2_934 Depth=4
	s_or_b32 exec_lo, exec_lo, s14
	s_and_saveexec_b32 s14, s73
	s_cbranch_execz .LBB2_1298
.LBB2_1297:                             ;   in Loop: Header=BB2_934 Depth=4
	v_and_b32_e32 v9, 3, v2
	v_bfe_u32 v21, v10, 18, 5
	s_delay_alu instid0(VALU_DEP_2) | instskip(NEXT) | instid1(VALU_DEP_2)
	v_clz_i32_u32_e32 v12, v9
	v_cmp_eq_u32_e64 s13, 0, v21
	s_delay_alu instid0(VALU_DEP_2) | instskip(NEXT) | instid1(VALU_DEP_1)
	v_min_u32_e32 v20, 32, v12
	v_subrev_nc_u32_e32 v12, 29, v20
	v_sub_nc_u32_e32 v20, 30, v20
	s_delay_alu instid0(VALU_DEP_2) | instskip(NEXT) | instid1(VALU_DEP_2)
	v_lshlrev_b64_e32 v[12:13], v12, v[2:3]
	v_dual_lshlrev_b32 v13, 24, v2 :: v_dual_cndmask_b32 v20, v21, v20, s13
	v_bfe_i32 v2, v2, 0, 8
	s_delay_alu instid0(VALU_DEP_2) | instskip(NEXT) | instid1(VALU_DEP_4)
	v_and_b32_e32 v13, 0x80000000, v13
	v_and_b32_e32 v12, 3, v12
	s_delay_alu instid0(VALU_DEP_2) | instskip(NEXT) | instid1(VALU_DEP_2)
	v_lshl_add_u32 v13, v20, 23, v13
	v_cndmask_b32_e64 v12, v9, v12, s13
	v_cmp_lt_i16_e64 s13, -1, v2
	s_delay_alu instid0(VALU_DEP_2) | instskip(NEXT) | instid1(VALU_DEP_2)
	v_lshl_or_b32 v12, v12, 21, v13
	v_cndmask_b32_e64 v2, 0xff800000, v109, s13
	v_and_b32_e32 v13, 0x7c0000, v10
	v_cmp_eq_u32_e64 s13, 0, v9
	s_delay_alu instid0(VALU_DEP_4) | instskip(NEXT) | instid1(VALU_DEP_2)
	v_add_nc_u32_e32 v9, 0x38000000, v12
	v_cndmask_b32_e64 v2, 0x7f800001, v2, s13
	s_delay_alu instid0(VALU_DEP_4) | instskip(NEXT) | instid1(VALU_DEP_1)
	v_cmp_eq_u32_e64 s13, 0x7c0000, v13
	v_cndmask_b32_e64 v9, v9, v2, s13
.LBB2_1298:                             ;   in Loop: Header=BB2_934 Depth=4
	s_or_b32 exec_lo, exec_lo, s14
	s_delay_alu instid0(VALU_DEP_1) | instskip(SKIP_1) | instid1(VALU_DEP_1)
	v_dual_mul_f32 v8, v8, v9 :: v_dual_mov_b32 v13, v3
                                        ; implicit-def: $vgpr88
	s_mov_b32 s14, exec_lo
	v_and_b32_e32 v12, 0x7f800000, v8
	v_and_b32_e32 v2, 0x7fffff, v8
	v_lshrrev_b32_e32 v9, 24, v8
	s_delay_alu instid0(VALU_DEP_3)
	v_cmpx_ne_u64_e32 0x7f800000, v[12:13]
	s_xor_b32 s73, exec_lo, s14
	s_cbranch_execz .LBB2_1312
; %bb.1299:                             ;   in Loop: Header=BB2_934 Depth=4
	v_and_b32_e32 v12, 0x7fffffff, v8
	v_mov_b32_e32 v13, v3
	v_and_b32_e32 v56, 0x80, v9
                                        ; implicit-def: $vgpr88
	s_mov_b32 s14, exec_lo
	s_delay_alu instid0(VALU_DEP_2)
	v_cmpx_gt_u64_e32 0x47600001, v[12:13]
	s_xor_b32 s74, exec_lo, s14
	s_cbranch_execz .LBB2_1309
; %bb.1300:                             ;   in Loop: Header=BB2_934 Depth=4
	v_mov_b32_e32 v88, 0
	s_mov_b32 s75, exec_lo
	v_cmpx_ne_u32_e32 0, v8
	s_cbranch_execz .LBB2_1308
; %bb.1301:                             ;   in Loop: Header=BB2_934 Depth=4
	v_bfe_u32 v57, v8, 23, 8
	v_or_b32_e32 v12, 0x800000, v2
	s_delay_alu instid0(VALU_DEP_2) | instskip(SKIP_1) | instid1(VALU_DEP_1)
	v_sub_nc_u32_e32 v8, 0x71, v57
	v_cmp_gt_u32_e64 s13, 0x72, v57
	v_cndmask_b32_e64 v8, 0, v8, s13
	v_cmp_eq_u32_e64 s13, 0, v57
	s_delay_alu instid0(VALU_DEP_1) | instskip(NEXT) | instid1(VALU_DEP_3)
	v_cndmask_b32_e64 v2, v12, v2, s13
	v_cndmask_b32_e64 v88, v8, 0x70, s13
	s_delay_alu instid0(VALU_DEP_1) | instskip(NEXT) | instid1(VALU_DEP_1)
	v_dual_add_nc_u32 v8, 21, v88 :: v_dual_add_nc_u32 v13, 20, v88
	v_lshlrev_b64_e64 v[8:9], v8, -1
	s_delay_alu instid0(VALU_DEP_2) | instskip(NEXT) | instid1(VALU_DEP_2)
	v_lshlrev_b64_e64 v[12:13], v13, 1
	v_bfi_b32 v21, v9, 0, 0
	s_delay_alu instid0(VALU_DEP_3) | instskip(SKIP_1) | instid1(VALU_DEP_2)
	v_bfi_b32 v20, v8, 0, v2
	v_lshrrev_b64 v[8:9], v88, v[2:3]
	v_cmp_eq_u64_e64 s14, v[20:21], v[12:13]
	s_delay_alu instid0(VALU_DEP_2)
	v_mov_b64_e32 v[12:13], v[8:9]
	s_and_saveexec_b32 s76, s14
; %bb.1302:                             ;   in Loop: Header=BB2_934 Depth=4
	v_bfe_u32 v2, v8, 21, 1
	s_delay_alu instid0(VALU_DEP_1) | instskip(NEXT) | instid1(VALU_DEP_1)
	v_add_nc_u64_e32 v[12:13], v[8:9], v[2:3]
	v_add_nc_u64_e32 v[12:13], -1, v[12:13]
; %bb.1303:                             ;   in Loop: Header=BB2_934 Depth=4
	s_or_b32 exec_lo, exec_lo, s76
	v_add_nc_u32_e32 v2, 0xffffff81, v57
	v_lshrrev_b32_e32 v9, 23, v8
	s_mov_b32 s14, exec_lo
	s_delay_alu instid0(VALU_DEP_2) | instskip(NEXT) | instid1(VALU_DEP_1)
	v_cndmask_b32_e64 v2, v2, 0xffffff82, s13
	v_add3_u32 v13, v88, v2, v9
	v_and_b32_e32 v2, 0x1fffff, v12
                                        ; implicit-def: $vgpr12
	s_delay_alu instid0(VALU_DEP_1) | instskip(NEXT) | instid1(VALU_DEP_1)
	v_dual_add_nc_u32 v57, 14, v13 :: v_dual_add_nc_u32 v2, v2, v8
                                        ; implicit-def: $vgpr8_vgpr9
	v_cmpx_ne_u32_e32 0, v57
	s_xor_b32 s14, exec_lo, s14
; %bb.1304:                             ;   in Loop: Header=BB2_934 Depth=4
	s_delay_alu instid0(VALU_DEP_2) | instskip(SKIP_1) | instid1(VALU_DEP_1)
	v_cmp_lt_u64_e64 s13, 0xffffff, v[2:3]
	v_add_nc_u32_e32 v8, 15, v13
	v_cndmask_b32_e64 v12, v57, v8, s13
	v_cndmask_b32_e64 v8, 0, 1, s13
	s_delay_alu instid0(VALU_DEP_1)
	v_lshrrev_b64 v[8:9], v8, v[2:3]
; %bb.1305:                             ;   in Loop: Header=BB2_934 Depth=4
	s_and_not1_saveexec_b32 s13, s14
; %bb.1306:                             ;   in Loop: Header=BB2_934 Depth=4
	v_mov_b64_e32 v[8:9], v[2:3]
	v_bfe_u32 v12, v2, 23, 1
; %bb.1307:                             ;   in Loop: Header=BB2_934 Depth=4
	s_or_b32 exec_lo, exec_lo, s13
	s_delay_alu instid0(VALU_DEP_2) | instskip(NEXT) | instid1(VALU_DEP_2)
	v_lshrrev_b64 v[8:9], 21, v[8:9]
	v_cmp_gt_i32_e64 s13, 32, v12
	v_min_i32_e32 v2, 31, v12
	v_cmp_eq_u32_e64 s14, 0, v12
	s_delay_alu instid0(VALU_DEP_2) | instskip(SKIP_1) | instid1(VALU_DEP_2)
	v_dual_cndmask_b32 v9, 0, v9, s13 :: v_dual_lshlrev_b32 v2, 2, v2
	v_cndmask_b32_e64 v8, 3, v8, s13
	v_and_b32_e32 v2, 0xfc, v2
	s_delay_alu instid0(VALU_DEP_2) | instskip(NEXT) | instid1(VALU_DEP_2)
	v_cmp_eq_u64_e64 s13, 0, v[8:9]
	v_and_or_b32 v2, v8, 3, v2
	s_and_b32 s13, s14, s13
	s_delay_alu instid0(VALU_DEP_1) | instid1(SALU_CYCLE_1)
	v_cndmask_b32_e64 v2, v2, 0, s13
	s_delay_alu instid0(VALU_DEP_1)
	v_or_b32_e32 v88, v2, v56
.LBB2_1308:                             ;   in Loop: Header=BB2_934 Depth=4
	s_or_b32 exec_lo, exec_lo, s75
                                        ; implicit-def: $vgpr56
.LBB2_1309:                             ;   in Loop: Header=BB2_934 Depth=4
	s_and_not1_saveexec_b32 s13, s74
; %bb.1310:                             ;   in Loop: Header=BB2_934 Depth=4
	v_or_b32_e32 v88, 0x7b, v56
; %bb.1311:                             ;   in Loop: Header=BB2_934 Depth=4
	s_or_b32 exec_lo, exec_lo, s13
                                        ; implicit-def: $vgpr8
                                        ; implicit-def: $vgpr9
.LBB2_1312:                             ;   in Loop: Header=BB2_934 Depth=4
	s_and_not1_saveexec_b32 s14, s73
	s_cbranch_execz .LBB2_1318
; %bb.1313:                             ;   in Loop: Header=BB2_934 Depth=4
	v_cmp_ne_u64_e64 s13, 0, v[2:3]
                                        ; implicit-def: $vgpr88
	s_and_saveexec_b32 s73, s13
	s_delay_alu instid0(SALU_CYCLE_1)
	s_xor_b32 s13, exec_lo, s73
; %bb.1314:                             ;   in Loop: Header=BB2_934 Depth=4
	v_or_b32_e32 v88, 0x7f, v9
                                        ; implicit-def: $vgpr8
; %bb.1315:                             ;   in Loop: Header=BB2_934 Depth=4
	s_and_not1_saveexec_b32 s73, s13
; %bb.1316:                             ;   in Loop: Header=BB2_934 Depth=4
	v_cmp_lt_i32_e64 s13, -1, v8
	s_delay_alu instid0(VALU_DEP_1)
	v_cndmask_b32_e64 v88, 0xfc, v110, s13
; %bb.1317:                             ;   in Loop: Header=BB2_934 Depth=4
	s_or_b32 exec_lo, exec_lo, s73
.LBB2_1318:                             ;   in Loop: Header=BB2_934 Depth=4
	s_delay_alu instid0(SALU_CYCLE_1)
	s_or_b32 exec_lo, exec_lo, s14
	v_mov_b32_e32 v8, 0
	s_mov_b32 s14, exec_lo
	v_cmpx_lt_u32_e32 0xffffff, v14
	s_cbranch_execz .LBB2_1328
; %bb.1319:                             ;   in Loop: Header=BB2_934 Depth=4
	v_lshrrev_b32_e32 v2, 24, v14
	v_bfrev_b32_e32 v8, 1
	s_mov_b32 s73, exec_lo
	s_delay_alu instid0(VALU_DEP_2)
	v_cmpx_ne_u32_e32 0x80, v2
	s_cbranch_execz .LBB2_1327
; %bb.1320:                             ;   in Loop: Header=BB2_934 Depth=4
	v_and_b32_e32 v8, 0x7c000000, v14
	v_bfe_u32 v9, v14, 24, 2
	s_delay_alu instid0(VALU_DEP_2) | instskip(SKIP_1) | instid1(SALU_CYCLE_1)
	v_cmp_ne_u32_e64 s13, 0x7c000000, v8
                                        ; implicit-def: $vgpr8
	s_and_saveexec_b32 s74, s13
	s_xor_b32 s74, exec_lo, s74
	s_cbranch_execz .LBB2_1324
; %bb.1321:                             ;   in Loop: Header=BB2_934 Depth=4
	v_bfe_u32 v8, v14, 26, 5
	s_mov_b32 s75, exec_lo
	s_delay_alu instid0(VALU_DEP_1)
	v_cmpx_eq_u32_e32 0, v8
; %bb.1322:                             ;   in Loop: Header=BB2_934 Depth=4
	v_clz_i32_u32_e32 v8, v9
	s_delay_alu instid0(VALU_DEP_1) | instskip(NEXT) | instid1(VALU_DEP_1)
	v_min_u32_e32 v8, 32, v8
	v_subrev_nc_u32_e32 v9, 29, v8
	v_sub_nc_u32_e32 v8, 30, v8
	s_delay_alu instid0(VALU_DEP_2) | instskip(NEXT) | instid1(VALU_DEP_1)
	v_lshlrev_b64_e32 v[12:13], v9, v[2:3]
	v_and_b32_e32 v9, 3, v12
; %bb.1323:                             ;   in Loop: Header=BB2_934 Depth=4
	s_or_b32 exec_lo, exec_lo, s75
	v_and_b32_e32 v2, 0x80000000, v14
	s_delay_alu instid0(VALU_DEP_1) | instskip(NEXT) | instid1(VALU_DEP_1)
	v_lshl_add_u32 v2, v8, 23, v2
	v_lshl_or_b32 v2, v9, 21, v2
                                        ; implicit-def: $vgpr9
	s_delay_alu instid0(VALU_DEP_1)
	v_add_nc_u32_e32 v8, 0x38000000, v2
.LBB2_1324:                             ;   in Loop: Header=BB2_934 Depth=4
	s_and_not1_saveexec_b32 s74, s74
; %bb.1325:                             ;   in Loop: Header=BB2_934 Depth=4
	v_cmp_lt_i32_e64 s13, -1, v14
	s_delay_alu instid0(VALU_DEP_1) | instskip(SKIP_1) | instid1(VALU_DEP_1)
	v_cndmask_b32_e64 v2, 0xff800000, v109, s13
	v_cmp_eq_u32_e64 s13, 0, v9
	v_cndmask_b32_e64 v8, 0x7f800001, v2, s13
; %bb.1326:                             ;   in Loop: Header=BB2_934 Depth=4
	s_or_b32 exec_lo, exec_lo, s74
.LBB2_1327:                             ;   in Loop: Header=BB2_934 Depth=4
	s_delay_alu instid0(SALU_CYCLE_1)
	s_or_b32 exec_lo, exec_lo, s73
.LBB2_1328:                             ;   in Loop: Header=BB2_934 Depth=4
	s_delay_alu instid0(SALU_CYCLE_1) | instskip(SKIP_3) | instid1(VALU_DEP_2)
	s_or_b32 exec_lo, exec_lo, s14
	v_bfe_u32 v9, v10, 24, 2
	v_bfe_u32 v21, v10, 26, 5
                                        ; implicit-def: $vgpr89
	s_mov_b32 s14, exec_lo
	v_clz_i32_u32_e32 v2, v9
	s_delay_alu instid0(VALU_DEP_2) | instskip(NEXT) | instid1(VALU_DEP_2)
	v_cmp_eq_u32_e64 s13, 0, v21
	v_min_u32_e32 v20, 32, v2
	v_lshrrev_b32_e32 v2, 24, v10
	s_delay_alu instid0(VALU_DEP_2) | instskip(NEXT) | instid1(VALU_DEP_1)
	v_subrev_nc_u32_e32 v12, 29, v20
	v_lshlrev_b64_e32 v[12:13], v12, v[2:3]
	v_sub_nc_u32_e32 v13, 30, v20
	v_and_b32_e32 v20, 0x80000000, v10
	s_delay_alu instid0(VALU_DEP_2) | instskip(NEXT) | instid1(VALU_DEP_1)
	v_dual_cndmask_b32 v13, v21, v13, s13 :: v_dual_bitop2_b32 v12, 3, v12 bitop3:0x40
	v_lshl_add_u32 v13, v13, 23, v20
	s_delay_alu instid0(VALU_DEP_2) | instskip(SKIP_1) | instid1(VALU_DEP_2)
	v_cndmask_b32_e64 v12, v9, v12, s13
	v_cmp_lt_i32_e64 s13, -1, v10
	v_lshl_or_b32 v12, v12, 21, v13
	s_delay_alu instid0(VALU_DEP_2) | instskip(SKIP_2) | instid1(VALU_DEP_4)
	v_cndmask_b32_e64 v20, 0xff800000, v109, s13
	v_and_b32_e32 v13, 0x7c000000, v10
	v_cmp_eq_u32_e64 s13, 0, v9
	v_add_nc_u32_e32 v12, 0x38000000, v12
	s_delay_alu instid0(VALU_DEP_2) | instskip(NEXT) | instid1(VALU_DEP_4)
	v_cndmask_b32_e64 v9, 0x7f800001, v20, s13
	v_cmp_eq_u32_e64 s13, 0x7c000000, v13
	s_delay_alu instid0(VALU_DEP_1) | instskip(SKIP_1) | instid1(VALU_DEP_1)
	v_dual_mov_b32 v13, v3 :: v_dual_cndmask_b32 v9, v12, v9, s13
	v_cmp_ne_u32_e64 s13, 0x80, v2
	v_cndmask_b32_e64 v2, 0x80000000, v9, s13
	v_cmp_lt_u32_e64 s13, 0xffffff, v10
	s_delay_alu instid0(VALU_DEP_1) | instskip(NEXT) | instid1(VALU_DEP_1)
	v_cndmask_b32_e64 v2, 0, v2, s13
	v_mul_f32_e32 v8, v2, v8
	s_delay_alu instid0(VALU_DEP_1) | instskip(SKIP_2) | instid1(VALU_DEP_3)
	v_and_b32_e32 v12, 0x7f800000, v8
	v_and_b32_e32 v2, 0x7fffff, v8
	v_lshrrev_b32_e32 v9, 24, v8
	v_cmpx_ne_u64_e32 0x7f800000, v[12:13]
	s_xor_b32 s73, exec_lo, s14
	s_cbranch_execz .LBB2_1342
; %bb.1329:                             ;   in Loop: Header=BB2_934 Depth=4
	v_and_b32_e32 v12, 0x7fffffff, v8
	v_mov_b32_e32 v13, v3
	v_and_b32_e32 v56, 0x80, v9
                                        ; implicit-def: $vgpr89
	s_mov_b32 s14, exec_lo
	s_delay_alu instid0(VALU_DEP_2)
	v_cmpx_gt_u64_e32 0x47600001, v[12:13]
	s_xor_b32 s74, exec_lo, s14
	s_cbranch_execz .LBB2_1339
; %bb.1330:                             ;   in Loop: Header=BB2_934 Depth=4
	v_mov_b32_e32 v89, 0
	s_mov_b32 s75, exec_lo
	v_cmpx_ne_u32_e32 0, v8
	s_cbranch_execz .LBB2_1338
; %bb.1331:                             ;   in Loop: Header=BB2_934 Depth=4
	v_bfe_u32 v57, v8, 23, 8
	v_or_b32_e32 v12, 0x800000, v2
	s_delay_alu instid0(VALU_DEP_2) | instskip(SKIP_1) | instid1(VALU_DEP_1)
	v_sub_nc_u32_e32 v8, 0x71, v57
	v_cmp_gt_u32_e64 s13, 0x72, v57
	v_cndmask_b32_e64 v8, 0, v8, s13
	v_cmp_eq_u32_e64 s13, 0, v57
	s_delay_alu instid0(VALU_DEP_1) | instskip(NEXT) | instid1(VALU_DEP_1)
	v_cndmask_b32_e64 v89, v8, 0x70, s13
	v_dual_cndmask_b32 v2, v12, v2, s13 :: v_dual_add_nc_u32 v8, 21, v89
	v_add_nc_u32_e32 v13, 20, v89
	s_delay_alu instid0(VALU_DEP_2) | instskip(NEXT) | instid1(VALU_DEP_2)
	v_lshlrev_b64_e64 v[8:9], v8, -1
	v_lshlrev_b64_e64 v[12:13], v13, 1
	s_delay_alu instid0(VALU_DEP_2) | instskip(NEXT) | instid1(VALU_DEP_3)
	v_bfi_b32 v21, v9, 0, 0
	v_bfi_b32 v20, v8, 0, v2
	v_lshrrev_b64 v[8:9], v89, v[2:3]
	s_delay_alu instid0(VALU_DEP_2) | instskip(NEXT) | instid1(VALU_DEP_2)
	v_cmp_eq_u64_e64 s14, v[20:21], v[12:13]
	v_mov_b64_e32 v[12:13], v[8:9]
	s_and_saveexec_b32 s76, s14
; %bb.1332:                             ;   in Loop: Header=BB2_934 Depth=4
	v_bfe_u32 v2, v8, 21, 1
	s_delay_alu instid0(VALU_DEP_1) | instskip(NEXT) | instid1(VALU_DEP_1)
	v_add_nc_u64_e32 v[12:13], v[8:9], v[2:3]
	v_add_nc_u64_e32 v[12:13], -1, v[12:13]
; %bb.1333:                             ;   in Loop: Header=BB2_934 Depth=4
	s_or_b32 exec_lo, exec_lo, s76
	v_add_nc_u32_e32 v2, 0xffffff81, v57
	v_lshrrev_b32_e32 v9, 23, v8
	s_mov_b32 s14, exec_lo
	s_delay_alu instid0(VALU_DEP_2) | instskip(NEXT) | instid1(VALU_DEP_1)
	v_cndmask_b32_e64 v2, v2, 0xffffff82, s13
	v_add3_u32 v13, v89, v2, v9
	v_and_b32_e32 v2, 0x1fffff, v12
                                        ; implicit-def: $vgpr12
	s_delay_alu instid0(VALU_DEP_1) | instskip(NEXT) | instid1(VALU_DEP_1)
	v_dual_add_nc_u32 v57, 14, v13 :: v_dual_add_nc_u32 v2, v2, v8
                                        ; implicit-def: $vgpr8_vgpr9
	v_cmpx_ne_u32_e32 0, v57
	s_xor_b32 s14, exec_lo, s14
; %bb.1334:                             ;   in Loop: Header=BB2_934 Depth=4
	s_delay_alu instid0(VALU_DEP_2) | instskip(SKIP_1) | instid1(VALU_DEP_1)
	v_cmp_lt_u64_e64 s13, 0xffffff, v[2:3]
	v_add_nc_u32_e32 v8, 15, v13
	v_cndmask_b32_e64 v12, v57, v8, s13
	v_cndmask_b32_e64 v8, 0, 1, s13
	s_delay_alu instid0(VALU_DEP_1)
	v_lshrrev_b64 v[8:9], v8, v[2:3]
; %bb.1335:                             ;   in Loop: Header=BB2_934 Depth=4
	s_and_not1_saveexec_b32 s13, s14
; %bb.1336:                             ;   in Loop: Header=BB2_934 Depth=4
	v_mov_b64_e32 v[8:9], v[2:3]
	v_bfe_u32 v12, v2, 23, 1
; %bb.1337:                             ;   in Loop: Header=BB2_934 Depth=4
	s_or_b32 exec_lo, exec_lo, s13
	s_delay_alu instid0(VALU_DEP_2) | instskip(NEXT) | instid1(VALU_DEP_2)
	v_lshrrev_b64 v[8:9], 21, v[8:9]
	v_cmp_gt_i32_e64 s13, 32, v12
	v_min_i32_e32 v2, 31, v12
	v_cmp_eq_u32_e64 s14, 0, v12
	s_delay_alu instid0(VALU_DEP_2) | instskip(SKIP_1) | instid1(VALU_DEP_2)
	v_dual_cndmask_b32 v9, 0, v9, s13 :: v_dual_lshlrev_b32 v2, 2, v2
	v_cndmask_b32_e64 v8, 3, v8, s13
	v_and_b32_e32 v2, 0xfc, v2
	s_delay_alu instid0(VALU_DEP_2) | instskip(NEXT) | instid1(VALU_DEP_2)
	v_cmp_eq_u64_e64 s13, 0, v[8:9]
	v_and_or_b32 v2, v8, 3, v2
	s_and_b32 s13, s14, s13
	s_delay_alu instid0(VALU_DEP_1) | instid1(SALU_CYCLE_1)
	v_cndmask_b32_e64 v2, v2, 0, s13
	s_delay_alu instid0(VALU_DEP_1)
	v_or_b32_e32 v89, v2, v56
.LBB2_1338:                             ;   in Loop: Header=BB2_934 Depth=4
	s_or_b32 exec_lo, exec_lo, s75
                                        ; implicit-def: $vgpr56
.LBB2_1339:                             ;   in Loop: Header=BB2_934 Depth=4
	s_and_not1_saveexec_b32 s13, s74
; %bb.1340:                             ;   in Loop: Header=BB2_934 Depth=4
	v_or_b32_e32 v89, 0x7b, v56
; %bb.1341:                             ;   in Loop: Header=BB2_934 Depth=4
	s_or_b32 exec_lo, exec_lo, s13
                                        ; implicit-def: $vgpr8
                                        ; implicit-def: $vgpr9
.LBB2_1342:                             ;   in Loop: Header=BB2_934 Depth=4
	s_and_not1_saveexec_b32 s14, s73
	s_cbranch_execz .LBB2_1348
; %bb.1343:                             ;   in Loop: Header=BB2_934 Depth=4
	v_cmp_ne_u64_e64 s13, 0, v[2:3]
                                        ; implicit-def: $vgpr89
	s_and_saveexec_b32 s73, s13
	s_delay_alu instid0(SALU_CYCLE_1)
	s_xor_b32 s13, exec_lo, s73
; %bb.1344:                             ;   in Loop: Header=BB2_934 Depth=4
	v_or_b32_e32 v89, 0x7f, v9
                                        ; implicit-def: $vgpr8
; %bb.1345:                             ;   in Loop: Header=BB2_934 Depth=4
	s_and_not1_saveexec_b32 s73, s13
; %bb.1346:                             ;   in Loop: Header=BB2_934 Depth=4
	v_cmp_lt_i32_e64 s13, -1, v8
	s_delay_alu instid0(VALU_DEP_1)
	v_cndmask_b32_e64 v89, 0xfc, v110, s13
; %bb.1347:                             ;   in Loop: Header=BB2_934 Depth=4
	s_or_b32 exec_lo, exec_lo, s73
.LBB2_1348:                             ;   in Loop: Header=BB2_934 Depth=4
	s_delay_alu instid0(SALU_CYCLE_1) | instskip(SKIP_3) | instid1(VALU_DEP_2)
	s_or_b32 exec_lo, exec_lo, s14
	v_and_b32_e32 v8, 0xff, v15
	v_dual_mov_b32 v2, v15 :: v_dual_mov_b32 v12, 0
	s_mov_b32 s14, exec_lo
	v_cmpx_ne_u16_e32 0, v8
	s_cbranch_execz .LBB2_1358
; %bb.1349:                             ;   in Loop: Header=BB2_934 Depth=4
	v_bfrev_b32_e32 v12, 1
	s_mov_b32 s73, exec_lo
	v_cmpx_ne_u16_e32 0x80, v8
	s_cbranch_execz .LBB2_1357
; %bb.1350:                             ;   in Loop: Header=BB2_934 Depth=4
	v_and_b32_e32 v9, 0x7c, v15
	v_and_b32_e32 v8, 3, v15
	s_mov_b32 s74, exec_lo
                                        ; implicit-def: $vgpr12
	s_delay_alu instid0(VALU_DEP_2)
	v_cmpx_ne_u32_e32 0x7c, v9
	s_xor_b32 s74, exec_lo, s74
	s_cbranch_execz .LBB2_1354
; %bb.1351:                             ;   in Loop: Header=BB2_934 Depth=4
	v_bfe_u32 v9, v15, 2, 5
	s_mov_b32 s75, exec_lo
	s_delay_alu instid0(VALU_DEP_1)
	v_cmpx_eq_u32_e32 0, v9
; %bb.1352:                             ;   in Loop: Header=BB2_934 Depth=4
	v_clz_i32_u32_e32 v8, v8
	s_delay_alu instid0(VALU_DEP_1) | instskip(NEXT) | instid1(VALU_DEP_1)
	v_min_u32_e32 v12, 32, v8
	v_subrev_nc_u32_e32 v8, 29, v12
	s_delay_alu instid0(VALU_DEP_1) | instskip(SKIP_1) | instid1(VALU_DEP_2)
	v_lshlrev_b64_e32 v[8:9], v8, v[2:3]
	v_sub_nc_u32_e32 v9, 30, v12
	v_and_b32_e32 v8, 3, v8
; %bb.1353:                             ;   in Loop: Header=BB2_934 Depth=4
	s_or_b32 exec_lo, exec_lo, s75
	v_lshlrev_b32_e32 v12, 24, v15
	s_delay_alu instid0(VALU_DEP_1) | instskip(NEXT) | instid1(VALU_DEP_1)
	v_and_b32_e32 v12, 0x80000000, v12
	v_lshl_add_u32 v9, v9, 23, v12
	s_delay_alu instid0(VALU_DEP_1) | instskip(NEXT) | instid1(VALU_DEP_1)
	v_lshl_or_b32 v8, v8, 21, v9
	v_add_nc_u32_e32 v12, 0x38000000, v8
                                        ; implicit-def: $vgpr8
.LBB2_1354:                             ;   in Loop: Header=BB2_934 Depth=4
	s_and_not1_saveexec_b32 s74, s74
; %bb.1355:                             ;   in Loop: Header=BB2_934 Depth=4
	v_bfe_i32 v9, v15, 0, 8
	s_delay_alu instid0(VALU_DEP_1) | instskip(NEXT) | instid1(VALU_DEP_1)
	v_cmp_lt_i16_e64 s13, -1, v9
	v_cndmask_b32_e64 v9, 0xff800000, v109, s13
	v_cmp_eq_u32_e64 s13, 0, v8
	s_delay_alu instid0(VALU_DEP_1)
	v_cndmask_b32_e64 v12, 0x7f800001, v9, s13
; %bb.1356:                             ;   in Loop: Header=BB2_934 Depth=4
	s_or_b32 exec_lo, exec_lo, s74
.LBB2_1357:                             ;   in Loop: Header=BB2_934 Depth=4
	s_delay_alu instid0(SALU_CYCLE_1)
	s_or_b32 exec_lo, exec_lo, s73
.LBB2_1358:                             ;   in Loop: Header=BB2_934 Depth=4
	s_delay_alu instid0(SALU_CYCLE_1) | instskip(SKIP_4) | instid1(VALU_DEP_2)
	s_or_b32 exec_lo, exec_lo, s14
	v_and_b32_e32 v9, 0xff, v11
	v_mov_b32_e32 v8, v11
	s_mov_b32 s73, 0
	s_mov_b32 s14, exec_lo
	v_cmpx_lt_i16_e32 0x7f, v9
	s_xor_b32 s14, exec_lo, s14
	s_cbranch_execz .LBB2_1503
; %bb.1359:                             ;   in Loop: Header=BB2_934 Depth=4
	s_mov_b32 s73, -1
	s_mov_b32 s74, exec_lo
	v_cmpx_eq_u16_e32 0x80, v9
; %bb.1360:                             ;   in Loop: Header=BB2_934 Depth=4
	s_xor_b32 s73, exec_lo, -1
; %bb.1361:                             ;   in Loop: Header=BB2_934 Depth=4
	s_or_b32 exec_lo, exec_lo, s74
	s_delay_alu instid0(SALU_CYCLE_1)
	s_and_b32 s73, s73, exec_lo
                                        ; implicit-def: $vgpr9
	s_or_saveexec_b32 s14, s14
	v_bfrev_b32_e32 v13, 1
	s_xor_b32 exec_lo, exec_lo, s14
	s_cbranch_execnz .LBB2_1504
.LBB2_1362:                             ;   in Loop: Header=BB2_934 Depth=4
	s_or_b32 exec_lo, exec_lo, s14
	v_mov_b32_e32 v9, v3
	s_and_saveexec_b32 s14, s73
	s_cbranch_execz .LBB2_1364
.LBB2_1363:                             ;   in Loop: Header=BB2_934 Depth=4
	v_and_b32_e32 v13, 3, v11
	s_delay_alu instid0(VALU_DEP_1) | instskip(NEXT) | instid1(VALU_DEP_1)
	v_clz_i32_u32_e32 v20, v13
	v_min_u32_e32 v56, 32, v20
	s_delay_alu instid0(VALU_DEP_1) | instskip(SKIP_1) | instid1(VALU_DEP_2)
	v_subrev_nc_u32_e32 v20, 29, v56
	v_sub_nc_u32_e32 v56, 30, v56
	v_lshlrev_b64_e32 v[20:21], v20, v[8:9]
	v_bfe_u32 v21, v11, 2, 5
	v_lshlrev_b32_e32 v9, 24, v11
	s_delay_alu instid0(VALU_DEP_2) | instskip(NEXT) | instid1(VALU_DEP_2)
	v_cmp_eq_u32_e64 s13, 0, v21
	v_and_b32_e32 v9, 0x80000000, v9
	v_and_b32_e32 v20, 3, v20
	s_delay_alu instid0(VALU_DEP_3) | instskip(SKIP_1) | instid1(VALU_DEP_3)
	v_cndmask_b32_e64 v21, v21, v56, s13
	v_bfe_i32 v56, v11, 0, 8
	v_cndmask_b32_e64 v20, v13, v20, s13
	s_delay_alu instid0(VALU_DEP_3) | instskip(NEXT) | instid1(VALU_DEP_3)
	v_lshl_add_u32 v9, v21, 23, v9
	v_cmp_lt_i16_e64 s13, -1, v56
	s_delay_alu instid0(VALU_DEP_2) | instskip(NEXT) | instid1(VALU_DEP_2)
	v_lshl_or_b32 v9, v20, 21, v9
	v_cndmask_b32_e64 v21, 0xff800000, v109, s13
	v_and_b32_e32 v20, 0x7c, v11
	v_cmp_eq_u32_e64 s13, 0, v13
	s_delay_alu instid0(VALU_DEP_4) | instskip(NEXT) | instid1(VALU_DEP_2)
	v_add_nc_u32_e32 v9, 0x38000000, v9
	v_cndmask_b32_e64 v13, 0x7f800001, v21, s13
	s_delay_alu instid0(VALU_DEP_4) | instskip(NEXT) | instid1(VALU_DEP_1)
	v_cmp_eq_u32_e64 s13, 0x7c, v20
	v_cndmask_b32_e64 v13, v9, v13, s13
.LBB2_1364:                             ;   in Loop: Header=BB2_934 Depth=4
	s_or_b32 exec_lo, exec_lo, s14
	s_delay_alu instid0(VALU_DEP_1) | instskip(SKIP_2) | instid1(VALU_DEP_2)
	v_dual_mul_f32 v57, v12, v13 :: v_dual_mov_b32 v21, v3
	v_mov_b32_e32 v13, v3
                                        ; implicit-def: $vgpr56
	s_mov_b32 s14, exec_lo
	v_and_b32_e32 v20, 0x7f800000, v57
	v_and_b32_e32 v12, 0x7fffff, v57
	v_lshrrev_b32_e32 v9, 24, v57
	s_delay_alu instid0(VALU_DEP_3)
	v_cmpx_ne_u64_e32 0x7f800000, v[20:21]
	s_xor_b32 s73, exec_lo, s14
	s_cbranch_execz .LBB2_1378
; %bb.1365:                             ;   in Loop: Header=BB2_934 Depth=4
	v_and_b32_e32 v20, 0x7fffffff, v57
	v_mov_b32_e32 v21, v3
	v_and_b32_e32 v9, 0x80, v9
                                        ; implicit-def: $vgpr56
	s_mov_b32 s14, exec_lo
	s_delay_alu instid0(VALU_DEP_2)
	v_cmpx_gt_u64_e32 0x47600001, v[20:21]
	s_xor_b32 s74, exec_lo, s14
	s_cbranch_execz .LBB2_1375
; %bb.1366:                             ;   in Loop: Header=BB2_934 Depth=4
	v_mov_b32_e32 v56, 0
	s_mov_b32 s75, exec_lo
	v_cmpx_ne_u32_e32 0, v57
	s_cbranch_execz .LBB2_1374
; %bb.1367:                             ;   in Loop: Header=BB2_934 Depth=4
	v_bfe_u32 v90, v57, 23, 8
	v_or_b32_e32 v56, 0x800000, v12
	s_delay_alu instid0(VALU_DEP_2) | instskip(SKIP_1) | instid1(VALU_DEP_1)
	v_sub_nc_u32_e32 v20, 0x71, v90
	v_cmp_gt_u32_e64 s13, 0x72, v90
	v_cndmask_b32_e64 v20, 0, v20, s13
	v_cmp_eq_u32_e64 s13, 0, v90
	s_delay_alu instid0(VALU_DEP_1) | instskip(NEXT) | instid1(VALU_DEP_1)
	v_cndmask_b32_e64 v91, v20, 0x70, s13
	v_dual_cndmask_b32 v12, v56, v12, s13 :: v_dual_add_nc_u32 v20, 21, v91
	v_add_nc_u32_e32 v57, 20, v91
	s_delay_alu instid0(VALU_DEP_2) | instskip(NEXT) | instid1(VALU_DEP_2)
	v_lshlrev_b64_e64 v[20:21], v20, -1
	v_lshlrev_b64_e64 v[56:57], v57, 1
	s_delay_alu instid0(VALU_DEP_2) | instskip(SKIP_1) | instid1(VALU_DEP_4)
	v_bfi_b32 v20, v20, 0, v12
	v_lshrrev_b64 v[12:13], v91, v[12:13]
	v_bfi_b32 v21, v21, 0, 0
	s_delay_alu instid0(VALU_DEP_1) | instskip(NEXT) | instid1(VALU_DEP_3)
	v_cmp_eq_u64_e64 s14, v[20:21], v[56:57]
	v_mov_b64_e32 v[56:57], v[12:13]
	s_and_saveexec_b32 s76, s14
; %bb.1368:                             ;   in Loop: Header=BB2_934 Depth=4
	v_bfe_u32 v20, v12, 21, 1
	v_mov_b32_e32 v21, v3
	s_delay_alu instid0(VALU_DEP_1) | instskip(NEXT) | instid1(VALU_DEP_1)
	v_add_nc_u64_e32 v[20:21], v[12:13], v[20:21]
	v_add_nc_u64_e32 v[56:57], -1, v[20:21]
; %bb.1369:                             ;   in Loop: Header=BB2_934 Depth=4
	s_or_b32 exec_lo, exec_lo, s76
	v_add_nc_u32_e32 v13, 0xffffff81, v90
	v_lshrrev_b32_e32 v20, 23, v12
	s_mov_b32 s14, exec_lo
	s_delay_alu instid0(VALU_DEP_2) | instskip(NEXT) | instid1(VALU_DEP_1)
	v_cndmask_b32_e64 v13, v13, 0xffffff82, s13
	v_add3_u32 v57, v91, v13, v20
	v_and_b32_e32 v13, 0x1fffff, v56
                                        ; implicit-def: $vgpr56
	s_delay_alu instid0(VALU_DEP_1) | instskip(SKIP_1) | instid1(VALU_DEP_2)
	v_dual_add_nc_u32 v90, 14, v57 :: v_dual_add_nc_u32 v12, v13, v12
	v_mov_b32_e32 v13, v3
	v_cmpx_ne_u32_e32 0, v90
	s_xor_b32 s14, exec_lo, s14
; %bb.1370:                             ;   in Loop: Header=BB2_934 Depth=4
	s_delay_alu instid0(VALU_DEP_2) | instskip(SKIP_1) | instid1(VALU_DEP_1)
	v_cmp_lt_u64_e64 s13, 0xffffff, v[12:13]
	v_add_nc_u32_e32 v20, 15, v57
	v_cndmask_b32_e64 v56, v90, v20, s13
	v_cndmask_b32_e64 v20, 0, 1, s13
	s_delay_alu instid0(VALU_DEP_1)
	v_lshrrev_b64 v[12:13], v20, v[12:13]
; %bb.1371:                             ;   in Loop: Header=BB2_934 Depth=4
	s_and_not1_saveexec_b32 s13, s14
; %bb.1372:                             ;   in Loop: Header=BB2_934 Depth=4
	s_delay_alu instid0(VALU_DEP_1)
	v_bfe_u32 v56, v12, 23, 1
; %bb.1373:                             ;   in Loop: Header=BB2_934 Depth=4
	s_or_b32 exec_lo, exec_lo, s13
	s_delay_alu instid0(VALU_DEP_2) | instskip(NEXT) | instid1(VALU_DEP_2)
	v_lshrrev_b64 v[12:13], 21, v[12:13]
	v_cmp_gt_i32_e64 s13, 32, v56
	v_min_i32_e32 v20, 31, v56
	v_cmp_eq_u32_e64 s14, 0, v56
	s_delay_alu instid0(VALU_DEP_2) | instskip(SKIP_1) | instid1(VALU_DEP_2)
	v_dual_cndmask_b32 v13, 0, v13, s13 :: v_dual_lshlrev_b32 v20, 2, v20
	v_cndmask_b32_e64 v12, 3, v12, s13
	v_and_b32_e32 v20, 0xfc, v20
	s_delay_alu instid0(VALU_DEP_2) | instskip(NEXT) | instid1(VALU_DEP_2)
	v_cmp_eq_u64_e64 s13, 0, v[12:13]
	v_and_or_b32 v12, v12, 3, v20
	s_and_b32 s13, s14, s13
	s_delay_alu instid0(VALU_DEP_1) | instid1(SALU_CYCLE_1)
	v_cndmask_b32_e64 v12, v12, 0, s13
	s_delay_alu instid0(VALU_DEP_1)
	v_or_b32_e32 v56, v12, v9
.LBB2_1374:                             ;   in Loop: Header=BB2_934 Depth=4
	s_or_b32 exec_lo, exec_lo, s75
                                        ; implicit-def: $vgpr9
.LBB2_1375:                             ;   in Loop: Header=BB2_934 Depth=4
	s_and_not1_saveexec_b32 s13, s74
; %bb.1376:                             ;   in Loop: Header=BB2_934 Depth=4
	v_or_b32_e32 v56, 0x7b, v9
; %bb.1377:                             ;   in Loop: Header=BB2_934 Depth=4
	s_or_b32 exec_lo, exec_lo, s13
                                        ; implicit-def: $vgpr57
                                        ; implicit-def: $vgpr12_vgpr13
                                        ; implicit-def: $vgpr9
.LBB2_1378:                             ;   in Loop: Header=BB2_934 Depth=4
	s_and_not1_saveexec_b32 s14, s73
	s_cbranch_execz .LBB2_1384
; %bb.1379:                             ;   in Loop: Header=BB2_934 Depth=4
	v_cmp_ne_u64_e64 s13, 0, v[12:13]
                                        ; implicit-def: $vgpr56
	s_and_saveexec_b32 s73, s13
	s_delay_alu instid0(SALU_CYCLE_1)
	s_xor_b32 s13, exec_lo, s73
; %bb.1380:                             ;   in Loop: Header=BB2_934 Depth=4
	v_or_b32_e32 v56, 0x7f, v9
                                        ; implicit-def: $vgpr57
; %bb.1381:                             ;   in Loop: Header=BB2_934 Depth=4
	s_and_not1_saveexec_b32 s73, s13
; %bb.1382:                             ;   in Loop: Header=BB2_934 Depth=4
	v_cmp_lt_i32_e64 s13, -1, v57
	s_delay_alu instid0(VALU_DEP_1)
	v_cndmask_b32_e64 v56, 0xfc, v110, s13
; %bb.1383:                             ;   in Loop: Header=BB2_934 Depth=4
	s_or_b32 exec_lo, exec_lo, s73
.LBB2_1384:                             ;   in Loop: Header=BB2_934 Depth=4
	s_delay_alu instid0(SALU_CYCLE_1) | instskip(SKIP_3) | instid1(VALU_DEP_2)
	s_or_b32 exec_lo, exec_lo, s14
	v_lshrrev_b16 v12, 8, v2
	v_mov_b32_e32 v9, 0
	s_mov_b32 s14, exec_lo
	v_cmpx_ne_u16_e32 0, v12
	s_cbranch_execz .LBB2_1394
; %bb.1385:                             ;   in Loop: Header=BB2_934 Depth=4
	v_bfrev_b32_e32 v9, 1
	s_mov_b32 s73, exec_lo
	v_cmpx_ne_u16_e32 0x80, v12
	s_cbranch_execz .LBB2_1393
; %bb.1386:                             ;   in Loop: Header=BB2_934 Depth=4
	v_and_b32_e32 v57, 0xffff, v12
	s_delay_alu instid0(VALU_DEP_1) | instskip(SKIP_1) | instid1(VALU_DEP_2)
	v_and_b32_e32 v9, 0x7c, v57
	v_and_b32_e32 v13, 3, v57
	v_cmp_ne_u32_e64 s13, 0x7c, v9
                                        ; implicit-def: $vgpr9
	s_and_saveexec_b32 s74, s13
	s_delay_alu instid0(SALU_CYCLE_1)
	s_xor_b32 s74, exec_lo, s74
	s_cbranch_execz .LBB2_1390
; %bb.1387:                             ;   in Loop: Header=BB2_934 Depth=4
	v_bfe_u32 v9, v57, 2, 5
	s_mov_b32 s75, exec_lo
	s_delay_alu instid0(VALU_DEP_1)
	v_cmpx_eq_u32_e32 0, v9
	s_cbranch_execz .LBB2_1389
; %bb.1388:                             ;   in Loop: Header=BB2_934 Depth=4
	v_clz_i32_u32_e32 v9, v13
	s_delay_alu instid0(VALU_DEP_1) | instskip(SKIP_1) | instid1(VALU_DEP_2)
	v_min_u32_e32 v9, 32, v9
	v_mov_b32_e32 v13, v3
	v_subrev_nc_u32_e32 v20, 29, v9
	v_sub_nc_u32_e32 v9, 30, v9
	s_delay_alu instid0(VALU_DEP_2) | instskip(NEXT) | instid1(VALU_DEP_1)
	v_lshlrev_b64_e32 v[12:13], v20, v[12:13]
	v_and_b32_e32 v13, 3, v12
.LBB2_1389:                             ;   in Loop: Header=BB2_934 Depth=4
	s_or_b32 exec_lo, exec_lo, s75
	v_lshlrev_b32_e32 v2, 16, v2
	s_delay_alu instid0(VALU_DEP_1) | instskip(NEXT) | instid1(VALU_DEP_1)
	v_and_b32_e32 v2, 0x80000000, v2
	v_lshl_add_u32 v2, v9, 23, v2
	s_delay_alu instid0(VALU_DEP_1) | instskip(NEXT) | instid1(VALU_DEP_1)
	v_lshl_or_b32 v2, v13, 21, v2
                                        ; implicit-def: $vgpr13
	v_add_nc_u32_e32 v9, 0x38000000, v2
.LBB2_1390:                             ;   in Loop: Header=BB2_934 Depth=4
	s_and_not1_saveexec_b32 s74, s74
; %bb.1391:                             ;   in Loop: Header=BB2_934 Depth=4
	v_cmp_lt_i16_e64 s13, -1, v2
	s_delay_alu instid0(VALU_DEP_1) | instskip(SKIP_1) | instid1(VALU_DEP_1)
	v_cndmask_b32_e64 v2, 0xff800000, v109, s13
	v_cmp_eq_u32_e64 s13, 0, v13
	v_cndmask_b32_e64 v9, 0x7f800001, v2, s13
; %bb.1392:                             ;   in Loop: Header=BB2_934 Depth=4
	s_or_b32 exec_lo, exec_lo, s74
.LBB2_1393:                             ;   in Loop: Header=BB2_934 Depth=4
	s_delay_alu instid0(SALU_CYCLE_1)
	s_or_b32 exec_lo, exec_lo, s73
.LBB2_1394:                             ;   in Loop: Header=BB2_934 Depth=4
	s_delay_alu instid0(SALU_CYCLE_1) | instskip(SKIP_3) | instid1(VALU_DEP_1)
	s_or_b32 exec_lo, exec_lo, s14
	v_lshrrev_b16 v2, 8, v8
	s_mov_b32 s73, 0
	s_mov_b32 s14, exec_lo
	v_cmpx_lt_i16_e32 0x7f, v2
	s_xor_b32 s14, exec_lo, s14
	s_cbranch_execz .LBB2_1505
; %bb.1395:                             ;   in Loop: Header=BB2_934 Depth=4
	s_mov_b32 s73, -1
	s_mov_b32 s74, exec_lo
	v_cmpx_eq_u16_e32 0x80, v2
; %bb.1396:                             ;   in Loop: Header=BB2_934 Depth=4
	s_xor_b32 s73, exec_lo, -1
; %bb.1397:                             ;   in Loop: Header=BB2_934 Depth=4
	s_or_b32 exec_lo, exec_lo, s74
	s_delay_alu instid0(SALU_CYCLE_1)
	s_and_b32 s73, s73, exec_lo
	s_or_saveexec_b32 s14, s14
	v_bfrev_b32_e32 v12, 1
	s_xor_b32 exec_lo, exec_lo, s14
	s_cbranch_execnz .LBB2_1506
.LBB2_1398:                             ;   in Loop: Header=BB2_934 Depth=4
	s_or_b32 exec_lo, exec_lo, s14
	s_and_saveexec_b32 s14, s73
	s_cbranch_execz .LBB2_1400
.LBB2_1399:                             ;   in Loop: Header=BB2_934 Depth=4
	v_and_b32_e32 v20, 0xffff, v2
	s_delay_alu instid0(VALU_DEP_1) | instskip(NEXT) | instid1(VALU_DEP_1)
	v_and_b32_e32 v21, 3, v20
	v_clz_i32_u32_e32 v12, v21
	s_delay_alu instid0(VALU_DEP_1) | instskip(NEXT) | instid1(VALU_DEP_1)
	v_min_u32_e32 v57, 32, v12
	v_subrev_nc_u32_e32 v12, 29, v57
	s_delay_alu instid0(VALU_DEP_1) | instskip(SKIP_2) | instid1(VALU_DEP_2)
	v_lshlrev_b64_e32 v[12:13], v12, v[2:3]
	v_bfe_u32 v13, v20, 2, 5
	v_dual_lshlrev_b32 v2, 24, v2 :: v_dual_sub_nc_u32 v57, 30, v57
	v_cmp_eq_u32_e64 s13, 0, v13
	s_delay_alu instid0(VALU_DEP_2) | instskip(NEXT) | instid1(VALU_DEP_2)
	v_and_b32_e32 v2, 0x80000000, v2
	v_dual_cndmask_b32 v13, v13, v57, s13 :: v_dual_bitop2_b32 v12, 3, v12 bitop3:0x40
	s_delay_alu instid0(VALU_DEP_1) | instskip(SKIP_1) | instid1(VALU_DEP_3)
	v_cndmask_b32_e64 v12, v21, v12, s13
	v_cmp_lt_i16_e64 s13, -1, v8
	v_lshl_add_u32 v2, v13, 23, v2
	s_delay_alu instid0(VALU_DEP_2) | instskip(SKIP_1) | instid1(VALU_DEP_3)
	v_cndmask_b32_e64 v8, 0xff800000, v109, s13
	v_cmp_eq_u32_e64 s13, 0, v21
	v_lshl_or_b32 v2, v12, 21, v2
	v_and_b32_e32 v12, 0x7c, v20
	s_delay_alu instid0(VALU_DEP_3) | instskip(NEXT) | instid1(VALU_DEP_3)
	v_cndmask_b32_e64 v8, 0x7f800001, v8, s13
	v_add_nc_u32_e32 v2, 0x38000000, v2
	s_delay_alu instid0(VALU_DEP_3) | instskip(NEXT) | instid1(VALU_DEP_1)
	v_cmp_eq_u32_e64 s13, 0x7c, v12
	v_cndmask_b32_e64 v12, v2, v8, s13
.LBB2_1400:                             ;   in Loop: Header=BB2_934 Depth=4
	s_or_b32 exec_lo, exec_lo, s14
	s_delay_alu instid0(VALU_DEP_1) | instskip(SKIP_1) | instid1(VALU_DEP_1)
	v_dual_mul_f32 v8, v9, v12 :: v_dual_mov_b32 v13, v3
                                        ; implicit-def: $vgpr57
	s_mov_b32 s14, exec_lo
	v_and_b32_e32 v12, 0x7f800000, v8
	v_and_b32_e32 v2, 0x7fffff, v8
	v_lshrrev_b32_e32 v9, 24, v8
	s_delay_alu instid0(VALU_DEP_3)
	v_cmpx_ne_u64_e32 0x7f800000, v[12:13]
	s_xor_b32 s73, exec_lo, s14
	s_cbranch_execz .LBB2_1414
; %bb.1401:                             ;   in Loop: Header=BB2_934 Depth=4
	v_and_b32_e32 v12, 0x7fffffff, v8
	v_mov_b32_e32 v13, v3
	v_and_b32_e32 v90, 0x80, v9
                                        ; implicit-def: $vgpr57
	s_mov_b32 s14, exec_lo
	s_delay_alu instid0(VALU_DEP_2)
	v_cmpx_gt_u64_e32 0x47600001, v[12:13]
	s_xor_b32 s74, exec_lo, s14
	s_cbranch_execz .LBB2_1411
; %bb.1402:                             ;   in Loop: Header=BB2_934 Depth=4
	v_mov_b32_e32 v57, 0
	s_mov_b32 s75, exec_lo
	v_cmpx_ne_u32_e32 0, v8
	s_cbranch_execz .LBB2_1410
; %bb.1403:                             ;   in Loop: Header=BB2_934 Depth=4
	v_bfe_u32 v57, v8, 23, 8
	v_or_b32_e32 v12, 0x800000, v2
	s_delay_alu instid0(VALU_DEP_2) | instskip(SKIP_1) | instid1(VALU_DEP_1)
	v_sub_nc_u32_e32 v8, 0x71, v57
	v_cmp_gt_u32_e64 s13, 0x72, v57
	v_cndmask_b32_e64 v8, 0, v8, s13
	v_cmp_eq_u32_e64 s13, 0, v57
	s_delay_alu instid0(VALU_DEP_1) | instskip(NEXT) | instid1(VALU_DEP_1)
	v_cndmask_b32_e64 v91, v8, 0x70, s13
	v_dual_cndmask_b32 v2, v12, v2, s13 :: v_dual_add_nc_u32 v8, 21, v91
	v_add_nc_u32_e32 v13, 20, v91
	s_delay_alu instid0(VALU_DEP_2) | instskip(NEXT) | instid1(VALU_DEP_2)
	v_lshlrev_b64_e64 v[8:9], v8, -1
	v_lshlrev_b64_e64 v[12:13], v13, 1
	s_delay_alu instid0(VALU_DEP_2) | instskip(NEXT) | instid1(VALU_DEP_3)
	v_bfi_b32 v21, v9, 0, 0
	v_bfi_b32 v20, v8, 0, v2
	v_lshrrev_b64 v[8:9], v91, v[2:3]
	s_delay_alu instid0(VALU_DEP_2) | instskip(NEXT) | instid1(VALU_DEP_2)
	v_cmp_eq_u64_e64 s14, v[20:21], v[12:13]
	v_mov_b64_e32 v[12:13], v[8:9]
	s_and_saveexec_b32 s76, s14
; %bb.1404:                             ;   in Loop: Header=BB2_934 Depth=4
	v_bfe_u32 v2, v8, 21, 1
	s_delay_alu instid0(VALU_DEP_1) | instskip(NEXT) | instid1(VALU_DEP_1)
	v_add_nc_u64_e32 v[12:13], v[8:9], v[2:3]
	v_add_nc_u64_e32 v[12:13], -1, v[12:13]
; %bb.1405:                             ;   in Loop: Header=BB2_934 Depth=4
	s_or_b32 exec_lo, exec_lo, s76
	v_add_nc_u32_e32 v2, 0xffffff81, v57
	v_lshrrev_b32_e32 v9, 23, v8
	s_mov_b32 s14, exec_lo
	s_delay_alu instid0(VALU_DEP_2) | instskip(NEXT) | instid1(VALU_DEP_1)
	v_cndmask_b32_e64 v2, v2, 0xffffff82, s13
	v_add3_u32 v13, v91, v2, v9
	v_and_b32_e32 v2, 0x1fffff, v12
                                        ; implicit-def: $vgpr12
	s_delay_alu instid0(VALU_DEP_1) | instskip(NEXT) | instid1(VALU_DEP_1)
	v_dual_add_nc_u32 v57, 14, v13 :: v_dual_add_nc_u32 v2, v2, v8
                                        ; implicit-def: $vgpr8_vgpr9
	v_cmpx_ne_u32_e32 0, v57
	s_xor_b32 s14, exec_lo, s14
; %bb.1406:                             ;   in Loop: Header=BB2_934 Depth=4
	s_delay_alu instid0(VALU_DEP_2) | instskip(SKIP_1) | instid1(VALU_DEP_1)
	v_cmp_lt_u64_e64 s13, 0xffffff, v[2:3]
	v_add_nc_u32_e32 v8, 15, v13
	v_cndmask_b32_e64 v12, v57, v8, s13
	v_cndmask_b32_e64 v8, 0, 1, s13
	s_delay_alu instid0(VALU_DEP_1)
	v_lshrrev_b64 v[8:9], v8, v[2:3]
; %bb.1407:                             ;   in Loop: Header=BB2_934 Depth=4
	s_and_not1_saveexec_b32 s13, s14
; %bb.1408:                             ;   in Loop: Header=BB2_934 Depth=4
	v_mov_b64_e32 v[8:9], v[2:3]
	v_bfe_u32 v12, v2, 23, 1
; %bb.1409:                             ;   in Loop: Header=BB2_934 Depth=4
	s_or_b32 exec_lo, exec_lo, s13
	s_delay_alu instid0(VALU_DEP_2) | instskip(NEXT) | instid1(VALU_DEP_2)
	v_lshrrev_b64 v[8:9], 21, v[8:9]
	v_cmp_gt_i32_e64 s13, 32, v12
	v_min_i32_e32 v2, 31, v12
	v_cmp_eq_u32_e64 s14, 0, v12
	s_delay_alu instid0(VALU_DEP_2) | instskip(SKIP_1) | instid1(VALU_DEP_2)
	v_dual_cndmask_b32 v9, 0, v9, s13 :: v_dual_lshlrev_b32 v2, 2, v2
	v_cndmask_b32_e64 v8, 3, v8, s13
	v_and_b32_e32 v2, 0xfc, v2
	s_delay_alu instid0(VALU_DEP_2) | instskip(NEXT) | instid1(VALU_DEP_2)
	v_cmp_eq_u64_e64 s13, 0, v[8:9]
	v_and_or_b32 v2, v8, 3, v2
	s_and_b32 s13, s14, s13
	s_delay_alu instid0(VALU_DEP_1) | instid1(SALU_CYCLE_1)
	v_cndmask_b32_e64 v2, v2, 0, s13
	s_delay_alu instid0(VALU_DEP_1)
	v_or_b32_e32 v57, v2, v90
.LBB2_1410:                             ;   in Loop: Header=BB2_934 Depth=4
	s_or_b32 exec_lo, exec_lo, s75
                                        ; implicit-def: $vgpr90
.LBB2_1411:                             ;   in Loop: Header=BB2_934 Depth=4
	s_and_not1_saveexec_b32 s13, s74
; %bb.1412:                             ;   in Loop: Header=BB2_934 Depth=4
	v_or_b32_e32 v57, 0x7b, v90
; %bb.1413:                             ;   in Loop: Header=BB2_934 Depth=4
	s_or_b32 exec_lo, exec_lo, s13
                                        ; implicit-def: $vgpr8
                                        ; implicit-def: $vgpr9
.LBB2_1414:                             ;   in Loop: Header=BB2_934 Depth=4
	s_and_not1_saveexec_b32 s14, s73
	s_cbranch_execz .LBB2_1420
; %bb.1415:                             ;   in Loop: Header=BB2_934 Depth=4
	v_cmp_ne_u64_e64 s13, 0, v[2:3]
                                        ; implicit-def: $vgpr57
	s_and_saveexec_b32 s73, s13
	s_delay_alu instid0(SALU_CYCLE_1)
	s_xor_b32 s13, exec_lo, s73
; %bb.1416:                             ;   in Loop: Header=BB2_934 Depth=4
	v_or_b32_e32 v57, 0x7f, v9
                                        ; implicit-def: $vgpr8
; %bb.1417:                             ;   in Loop: Header=BB2_934 Depth=4
	s_and_not1_saveexec_b32 s73, s13
; %bb.1418:                             ;   in Loop: Header=BB2_934 Depth=4
	v_cmp_lt_i32_e64 s13, -1, v8
	s_delay_alu instid0(VALU_DEP_1)
	v_cndmask_b32_e64 v57, 0xfc, v110, s13
; %bb.1419:                             ;   in Loop: Header=BB2_934 Depth=4
	s_or_b32 exec_lo, exec_lo, s73
.LBB2_1420:                             ;   in Loop: Header=BB2_934 Depth=4
	s_delay_alu instid0(SALU_CYCLE_1) | instskip(SKIP_2) | instid1(VALU_DEP_1)
	s_or_b32 exec_lo, exec_lo, s14
	v_dual_lshrrev_b32 v2, 16, v15 :: v_dual_mov_b32 v8, 0
	s_mov_b32 s14, exec_lo
	v_and_b32_e32 v9, 0xff, v2
	s_delay_alu instid0(VALU_DEP_1)
	v_cmpx_ne_u16_e32 0, v9
	s_cbranch_execz .LBB2_1430
; %bb.1421:                             ;   in Loop: Header=BB2_934 Depth=4
	v_bfrev_b32_e32 v8, 1
	s_mov_b32 s73, exec_lo
	v_cmpx_ne_u16_e32 0x80, v9
	s_cbranch_execz .LBB2_1429
; %bb.1422:                             ;   in Loop: Header=BB2_934 Depth=4
	v_and_b32_e32 v8, 0x7c0000, v15
	v_bfe_u32 v9, v15, 16, 2
	s_delay_alu instid0(VALU_DEP_2) | instskip(SKIP_1) | instid1(SALU_CYCLE_1)
	v_cmp_ne_u32_e64 s13, 0x7c0000, v8
                                        ; implicit-def: $vgpr8
	s_and_saveexec_b32 s74, s13
	s_xor_b32 s74, exec_lo, s74
	s_cbranch_execz .LBB2_1426
; %bb.1423:                             ;   in Loop: Header=BB2_934 Depth=4
	v_bfe_u32 v8, v15, 18, 5
	s_mov_b32 s75, exec_lo
	s_delay_alu instid0(VALU_DEP_1)
	v_cmpx_eq_u32_e32 0, v8
; %bb.1424:                             ;   in Loop: Header=BB2_934 Depth=4
	v_clz_i32_u32_e32 v8, v9
	s_delay_alu instid0(VALU_DEP_1) | instskip(NEXT) | instid1(VALU_DEP_1)
	v_min_u32_e32 v8, 32, v8
	v_subrev_nc_u32_e32 v9, 29, v8
	v_sub_nc_u32_e32 v8, 30, v8
	s_delay_alu instid0(VALU_DEP_2) | instskip(NEXT) | instid1(VALU_DEP_1)
	v_lshlrev_b64_e32 v[12:13], v9, v[2:3]
	v_and_b32_e32 v9, 3, v12
; %bb.1425:                             ;   in Loop: Header=BB2_934 Depth=4
	s_or_b32 exec_lo, exec_lo, s75
	v_lshlrev_b32_e32 v2, 24, v2
	s_delay_alu instid0(VALU_DEP_1) | instskip(NEXT) | instid1(VALU_DEP_1)
	v_and_b32_e32 v2, 0x80000000, v2
	v_lshl_add_u32 v2, v8, 23, v2
	s_delay_alu instid0(VALU_DEP_1) | instskip(NEXT) | instid1(VALU_DEP_1)
	v_lshl_or_b32 v2, v9, 21, v2
                                        ; implicit-def: $vgpr9
	v_add_nc_u32_e32 v8, 0x38000000, v2
                                        ; implicit-def: $vgpr2
.LBB2_1426:                             ;   in Loop: Header=BB2_934 Depth=4
	s_and_not1_saveexec_b32 s74, s74
; %bb.1427:                             ;   in Loop: Header=BB2_934 Depth=4
	v_bfe_i32 v2, v2, 0, 8
	s_delay_alu instid0(VALU_DEP_1) | instskip(NEXT) | instid1(VALU_DEP_1)
	v_cmp_lt_i16_e64 s13, -1, v2
	v_cndmask_b32_e64 v2, 0xff800000, v109, s13
	v_cmp_eq_u32_e64 s13, 0, v9
	s_delay_alu instid0(VALU_DEP_1)
	v_cndmask_b32_e64 v8, 0x7f800001, v2, s13
; %bb.1428:                             ;   in Loop: Header=BB2_934 Depth=4
	s_or_b32 exec_lo, exec_lo, s74
.LBB2_1429:                             ;   in Loop: Header=BB2_934 Depth=4
	s_delay_alu instid0(SALU_CYCLE_1)
	s_or_b32 exec_lo, exec_lo, s73
.LBB2_1430:                             ;   in Loop: Header=BB2_934 Depth=4
	s_delay_alu instid0(SALU_CYCLE_1) | instskip(SKIP_3) | instid1(VALU_DEP_1)
	s_or_b32 exec_lo, exec_lo, s14
	v_lshrrev_b32_e32 v2, 16, v11
	s_mov_b32 s73, 0
	s_mov_b32 s14, exec_lo
	v_and_b32_e32 v12, 0xff, v2
	s_delay_alu instid0(VALU_DEP_1)
	v_cmpx_lt_i16_e32 0x7f, v12
	s_xor_b32 s14, exec_lo, s14
	s_cbranch_execz .LBB2_1507
; %bb.1431:                             ;   in Loop: Header=BB2_934 Depth=4
	s_mov_b32 s73, -1
	s_mov_b32 s74, exec_lo
	v_cmpx_eq_u16_e32 0x80, v12
; %bb.1432:                             ;   in Loop: Header=BB2_934 Depth=4
	s_xor_b32 s73, exec_lo, -1
; %bb.1433:                             ;   in Loop: Header=BB2_934 Depth=4
	s_or_b32 exec_lo, exec_lo, s74
	s_delay_alu instid0(SALU_CYCLE_1)
	s_and_b32 s73, s73, exec_lo
                                        ; implicit-def: $vgpr12
	s_or_saveexec_b32 s14, s14
	v_bfrev_b32_e32 v9, 1
	s_xor_b32 exec_lo, exec_lo, s14
	s_cbranch_execnz .LBB2_1508
.LBB2_1434:                             ;   in Loop: Header=BB2_934 Depth=4
	s_or_b32 exec_lo, exec_lo, s14
	s_and_saveexec_b32 s14, s73
	s_cbranch_execz .LBB2_1436
.LBB2_1435:                             ;   in Loop: Header=BB2_934 Depth=4
	v_and_b32_e32 v9, 3, v2
	v_bfe_u32 v21, v11, 18, 5
	s_delay_alu instid0(VALU_DEP_2) | instskip(NEXT) | instid1(VALU_DEP_2)
	v_clz_i32_u32_e32 v12, v9
	v_cmp_eq_u32_e64 s13, 0, v21
	s_delay_alu instid0(VALU_DEP_2) | instskip(NEXT) | instid1(VALU_DEP_1)
	v_min_u32_e32 v20, 32, v12
	v_subrev_nc_u32_e32 v12, 29, v20
	v_sub_nc_u32_e32 v20, 30, v20
	s_delay_alu instid0(VALU_DEP_2) | instskip(NEXT) | instid1(VALU_DEP_2)
	v_lshlrev_b64_e32 v[12:13], v12, v[2:3]
	v_dual_lshlrev_b32 v13, 24, v2 :: v_dual_cndmask_b32 v20, v21, v20, s13
	v_bfe_i32 v2, v2, 0, 8
	s_delay_alu instid0(VALU_DEP_2) | instskip(NEXT) | instid1(VALU_DEP_4)
	v_and_b32_e32 v13, 0x80000000, v13
	v_and_b32_e32 v12, 3, v12
	s_delay_alu instid0(VALU_DEP_2) | instskip(NEXT) | instid1(VALU_DEP_2)
	v_lshl_add_u32 v13, v20, 23, v13
	v_cndmask_b32_e64 v12, v9, v12, s13
	v_cmp_lt_i16_e64 s13, -1, v2
	s_delay_alu instid0(VALU_DEP_2) | instskip(NEXT) | instid1(VALU_DEP_2)
	v_lshl_or_b32 v12, v12, 21, v13
	v_cndmask_b32_e64 v2, 0xff800000, v109, s13
	v_and_b32_e32 v13, 0x7c0000, v11
	v_cmp_eq_u32_e64 s13, 0, v9
	s_delay_alu instid0(VALU_DEP_4) | instskip(NEXT) | instid1(VALU_DEP_2)
	v_add_nc_u32_e32 v9, 0x38000000, v12
	v_cndmask_b32_e64 v2, 0x7f800001, v2, s13
	s_delay_alu instid0(VALU_DEP_4) | instskip(NEXT) | instid1(VALU_DEP_1)
	v_cmp_eq_u32_e64 s13, 0x7c0000, v13
	v_cndmask_b32_e64 v9, v9, v2, s13
.LBB2_1436:                             ;   in Loop: Header=BB2_934 Depth=4
	s_or_b32 exec_lo, exec_lo, s14
	s_delay_alu instid0(VALU_DEP_1) | instskip(NEXT) | instid1(VALU_DEP_1)
	v_dual_mul_f32 v8, v8, v9 :: v_dual_mov_b32 v13, v3
	v_and_b32_e32 v12, 0x7f800000, v8
	v_and_b32_e32 v2, 0x7fffff, v8
	v_lshrrev_b32_e32 v9, 24, v8
	s_delay_alu instid0(VALU_DEP_3) | instskip(SKIP_1) | instid1(SALU_CYCLE_1)
	v_cmp_ne_u64_e64 s13, 0x7f800000, v[12:13]
                                        ; implicit-def: $vgpr12
	s_and_saveexec_b32 s14, s13
	s_xor_b32 s73, exec_lo, s14
	s_cbranch_execz .LBB2_1450
; %bb.1437:                             ;   in Loop: Header=BB2_934 Depth=4
	v_and_b32_e32 v12, 0x7fffffff, v8
	v_mov_b32_e32 v13, v3
	v_and_b32_e32 v90, 0x80, v9
	s_delay_alu instid0(VALU_DEP_2) | instskip(SKIP_1) | instid1(SALU_CYCLE_1)
	v_cmp_gt_u64_e64 s13, 0x47600001, v[12:13]
                                        ; implicit-def: $vgpr12
	s_and_saveexec_b32 s14, s13
	s_xor_b32 s74, exec_lo, s14
	s_cbranch_execz .LBB2_1447
; %bb.1438:                             ;   in Loop: Header=BB2_934 Depth=4
	v_mov_b32_e32 v12, 0
	s_mov_b32 s75, exec_lo
	v_cmpx_ne_u32_e32 0, v8
	s_cbranch_execz .LBB2_1446
; %bb.1439:                             ;   in Loop: Header=BB2_934 Depth=4
	v_bfe_u32 v91, v8, 23, 8
	v_or_b32_e32 v12, 0x800000, v2
	s_delay_alu instid0(VALU_DEP_2) | instskip(SKIP_1) | instid1(VALU_DEP_1)
	v_sub_nc_u32_e32 v8, 0x71, v91
	v_cmp_gt_u32_e64 s13, 0x72, v91
	v_cndmask_b32_e64 v8, 0, v8, s13
	v_cmp_eq_u32_e64 s13, 0, v91
	s_delay_alu instid0(VALU_DEP_1) | instskip(NEXT) | instid1(VALU_DEP_1)
	v_cndmask_b32_e64 v93, v8, 0x70, s13
	v_dual_cndmask_b32 v2, v12, v2, s13 :: v_dual_add_nc_u32 v8, 21, v93
	v_add_nc_u32_e32 v13, 20, v93
	s_delay_alu instid0(VALU_DEP_2) | instskip(NEXT) | instid1(VALU_DEP_2)
	v_lshlrev_b64_e64 v[8:9], v8, -1
	v_lshlrev_b64_e64 v[12:13], v13, 1
	s_delay_alu instid0(VALU_DEP_2) | instskip(NEXT) | instid1(VALU_DEP_3)
	v_bfi_b32 v21, v9, 0, 0
	v_bfi_b32 v20, v8, 0, v2
	v_lshrrev_b64 v[8:9], v93, v[2:3]
	s_delay_alu instid0(VALU_DEP_2) | instskip(NEXT) | instid1(VALU_DEP_2)
	v_cmp_eq_u64_e64 s14, v[20:21], v[12:13]
	v_mov_b64_e32 v[12:13], v[8:9]
	s_and_saveexec_b32 s76, s14
; %bb.1440:                             ;   in Loop: Header=BB2_934 Depth=4
	v_bfe_u32 v2, v8, 21, 1
	s_delay_alu instid0(VALU_DEP_1) | instskip(NEXT) | instid1(VALU_DEP_1)
	v_add_nc_u64_e32 v[12:13], v[8:9], v[2:3]
	v_add_nc_u64_e32 v[12:13], -1, v[12:13]
; %bb.1441:                             ;   in Loop: Header=BB2_934 Depth=4
	s_or_b32 exec_lo, exec_lo, s76
	v_add_nc_u32_e32 v2, 0xffffff81, v91
	v_lshrrev_b32_e32 v9, 23, v8
	s_mov_b32 s14, exec_lo
	s_delay_alu instid0(VALU_DEP_2) | instskip(NEXT) | instid1(VALU_DEP_1)
	v_cndmask_b32_e64 v2, v2, 0xffffff82, s13
	v_add3_u32 v13, v93, v2, v9
	v_and_b32_e32 v2, 0x1fffff, v12
                                        ; implicit-def: $vgpr12
	s_delay_alu instid0(VALU_DEP_1) | instskip(NEXT) | instid1(VALU_DEP_1)
	v_dual_add_nc_u32 v91, 14, v13 :: v_dual_add_nc_u32 v2, v2, v8
                                        ; implicit-def: $vgpr8_vgpr9
	v_cmpx_ne_u32_e32 0, v91
	s_xor_b32 s14, exec_lo, s14
; %bb.1442:                             ;   in Loop: Header=BB2_934 Depth=4
	s_delay_alu instid0(VALU_DEP_2) | instskip(SKIP_1) | instid1(VALU_DEP_1)
	v_cmp_lt_u64_e64 s13, 0xffffff, v[2:3]
	v_add_nc_u32_e32 v8, 15, v13
	v_cndmask_b32_e64 v12, v91, v8, s13
	v_cndmask_b32_e64 v8, 0, 1, s13
	s_delay_alu instid0(VALU_DEP_1)
	v_lshrrev_b64 v[8:9], v8, v[2:3]
; %bb.1443:                             ;   in Loop: Header=BB2_934 Depth=4
	s_and_not1_saveexec_b32 s13, s14
; %bb.1444:                             ;   in Loop: Header=BB2_934 Depth=4
	v_mov_b64_e32 v[8:9], v[2:3]
	v_bfe_u32 v12, v2, 23, 1
; %bb.1445:                             ;   in Loop: Header=BB2_934 Depth=4
	s_or_b32 exec_lo, exec_lo, s13
	s_delay_alu instid0(VALU_DEP_2) | instskip(NEXT) | instid1(VALU_DEP_2)
	v_lshrrev_b64 v[8:9], 21, v[8:9]
	v_cmp_gt_i32_e64 s13, 32, v12
	v_min_i32_e32 v2, 31, v12
	v_cmp_eq_u32_e64 s14, 0, v12
	s_delay_alu instid0(VALU_DEP_2) | instskip(SKIP_1) | instid1(VALU_DEP_2)
	v_dual_cndmask_b32 v9, 0, v9, s13 :: v_dual_lshlrev_b32 v2, 2, v2
	v_cndmask_b32_e64 v8, 3, v8, s13
	v_and_b32_e32 v2, 0xfc, v2
	s_delay_alu instid0(VALU_DEP_2) | instskip(NEXT) | instid1(VALU_DEP_2)
	v_cmp_eq_u64_e64 s13, 0, v[8:9]
	v_and_or_b32 v2, v8, 3, v2
	s_and_b32 s13, s14, s13
	s_delay_alu instid0(VALU_DEP_1) | instid1(SALU_CYCLE_1)
	v_cndmask_b32_e64 v2, v2, 0, s13
	s_delay_alu instid0(VALU_DEP_1)
	v_or_b32_e32 v12, v2, v90
.LBB2_1446:                             ;   in Loop: Header=BB2_934 Depth=4
	s_or_b32 exec_lo, exec_lo, s75
                                        ; implicit-def: $vgpr90
.LBB2_1447:                             ;   in Loop: Header=BB2_934 Depth=4
	s_and_not1_saveexec_b32 s13, s74
; %bb.1448:                             ;   in Loop: Header=BB2_934 Depth=4
	v_or_b32_e32 v12, 0x7b, v90
; %bb.1449:                             ;   in Loop: Header=BB2_934 Depth=4
	s_or_b32 exec_lo, exec_lo, s13
                                        ; implicit-def: $vgpr8
                                        ; implicit-def: $vgpr9
.LBB2_1450:                             ;   in Loop: Header=BB2_934 Depth=4
	s_and_not1_saveexec_b32 s14, s73
	s_cbranch_execz .LBB2_1456
; %bb.1451:                             ;   in Loop: Header=BB2_934 Depth=4
	v_cmp_ne_u64_e64 s13, 0, v[2:3]
                                        ; implicit-def: $vgpr12
	s_and_saveexec_b32 s73, s13
	s_delay_alu instid0(SALU_CYCLE_1)
	s_xor_b32 s13, exec_lo, s73
; %bb.1452:                             ;   in Loop: Header=BB2_934 Depth=4
	v_or_b32_e32 v12, 0x7f, v9
                                        ; implicit-def: $vgpr8
; %bb.1453:                             ;   in Loop: Header=BB2_934 Depth=4
	s_and_not1_saveexec_b32 s73, s13
; %bb.1454:                             ;   in Loop: Header=BB2_934 Depth=4
	v_cmp_lt_i32_e64 s13, -1, v8
	s_delay_alu instid0(VALU_DEP_1)
	v_cndmask_b32_e64 v12, 0xfc, v110, s13
; %bb.1455:                             ;   in Loop: Header=BB2_934 Depth=4
	s_or_b32 exec_lo, exec_lo, s73
.LBB2_1456:                             ;   in Loop: Header=BB2_934 Depth=4
	s_delay_alu instid0(SALU_CYCLE_1)
	s_or_b32 exec_lo, exec_lo, s14
	v_mov_b32_e32 v8, 0
	s_mov_b32 s14, exec_lo
	v_cmpx_lt_u64_e64 s[22:23], v[14:15]
	s_cbranch_execz .LBB2_1466
; %bb.1457:                             ;   in Loop: Header=BB2_934 Depth=4
	v_lshrrev_b32_e32 v2, 24, v15
	v_bfrev_b32_e32 v8, 1
	s_mov_b32 s73, exec_lo
	s_delay_alu instid0(VALU_DEP_2)
	v_cmpx_ne_u32_e32 0x80, v2
	s_cbranch_execz .LBB2_1465
; %bb.1458:                             ;   in Loop: Header=BB2_934 Depth=4
	v_and_b32_e32 v8, 0x7c000000, v15
	v_bfe_u32 v9, v15, 24, 2
	s_delay_alu instid0(VALU_DEP_2) | instskip(SKIP_1) | instid1(SALU_CYCLE_1)
	v_cmp_ne_u32_e64 s13, 0x7c000000, v8
                                        ; implicit-def: $vgpr8
	s_and_saveexec_b32 s74, s13
	s_xor_b32 s74, exec_lo, s74
	s_cbranch_execz .LBB2_1462
; %bb.1459:                             ;   in Loop: Header=BB2_934 Depth=4
	v_bfe_u32 v8, v15, 26, 5
	s_mov_b32 s75, exec_lo
	s_delay_alu instid0(VALU_DEP_1)
	v_cmpx_eq_u32_e32 0, v8
; %bb.1460:                             ;   in Loop: Header=BB2_934 Depth=4
	v_clz_i32_u32_e32 v8, v9
	s_delay_alu instid0(VALU_DEP_1) | instskip(NEXT) | instid1(VALU_DEP_1)
	v_min_u32_e32 v8, 32, v8
	v_subrev_nc_u32_e32 v9, 29, v8
	v_sub_nc_u32_e32 v8, 30, v8
	s_delay_alu instid0(VALU_DEP_2) | instskip(NEXT) | instid1(VALU_DEP_1)
	v_lshlrev_b64_e32 v[20:21], v9, v[2:3]
	v_and_b32_e32 v9, 3, v20
; %bb.1461:                             ;   in Loop: Header=BB2_934 Depth=4
	s_or_b32 exec_lo, exec_lo, s75
	v_and_b32_e32 v2, 0x80000000, v15
                                        ; implicit-def: $vgpr14_vgpr15
	s_delay_alu instid0(VALU_DEP_1) | instskip(NEXT) | instid1(VALU_DEP_1)
	v_lshl_add_u32 v2, v8, 23, v2
	v_lshl_or_b32 v2, v9, 21, v2
                                        ; implicit-def: $vgpr9
	s_delay_alu instid0(VALU_DEP_1)
	v_add_nc_u32_e32 v8, 0x38000000, v2
.LBB2_1462:                             ;   in Loop: Header=BB2_934 Depth=4
	s_and_not1_saveexec_b32 s74, s74
; %bb.1463:                             ;   in Loop: Header=BB2_934 Depth=4
	v_cmp_lt_i64_e64 s13, -1, v[14:15]
	s_delay_alu instid0(VALU_DEP_1) | instskip(SKIP_1) | instid1(VALU_DEP_1)
	v_cndmask_b32_e64 v2, 0xff800000, v109, s13
	v_cmp_eq_u32_e64 s13, 0, v9
	v_cndmask_b32_e64 v8, 0x7f800001, v2, s13
; %bb.1464:                             ;   in Loop: Header=BB2_934 Depth=4
	s_or_b32 exec_lo, exec_lo, s74
.LBB2_1465:                             ;   in Loop: Header=BB2_934 Depth=4
	s_delay_alu instid0(SALU_CYCLE_1)
	s_or_b32 exec_lo, exec_lo, s73
.LBB2_1466:                             ;   in Loop: Header=BB2_934 Depth=4
	s_delay_alu instid0(SALU_CYCLE_1) | instskip(SKIP_2) | instid1(VALU_DEP_2)
	s_or_b32 exec_lo, exec_lo, s14
	v_bfe_u32 v9, v11, 24, 2
	v_bfe_u32 v20, v11, 26, 5
	v_clz_i32_u32_e32 v2, v9
	s_delay_alu instid0(VALU_DEP_2) | instskip(NEXT) | instid1(VALU_DEP_2)
	v_cmp_eq_u32_e64 s13, 0, v20
	v_min_u32_e32 v13, 32, v2
	v_lshrrev_b32_e32 v2, 24, v11
	s_delay_alu instid0(VALU_DEP_2) | instskip(SKIP_1) | instid1(VALU_DEP_2)
	v_subrev_nc_u32_e32 v14, 29, v13
	v_sub_nc_u32_e32 v13, 30, v13
	v_lshlrev_b64_e32 v[14:15], v14, v[2:3]
	s_delay_alu instid0(VALU_DEP_2) | instskip(SKIP_1) | instid1(VALU_DEP_3)
	v_cndmask_b32_e64 v13, v20, v13, s13
	v_and_b32_e32 v15, 0x80000000, v11
	v_and_b32_e32 v14, 3, v14
	s_delay_alu instid0(VALU_DEP_2) | instskip(NEXT) | instid1(VALU_DEP_2)
	v_lshl_add_u32 v13, v13, 23, v15
	v_cndmask_b32_e64 v14, v9, v14, s13
	v_cmp_lt_i64_e64 s13, -1, v[10:11]
	s_delay_alu instid0(VALU_DEP_2) | instskip(SKIP_1) | instid1(VALU_DEP_3)
	v_lshl_or_b32 v13, v14, 21, v13
	v_and_b32_e32 v14, 0x7c000000, v11
	v_cndmask_b32_e64 v15, 0xff800000, v109, s13
	v_cmp_eq_u32_e64 s13, 0, v9
	s_delay_alu instid0(VALU_DEP_4) | instskip(NEXT) | instid1(VALU_DEP_2)
	v_add_nc_u32_e32 v13, 0x38000000, v13
	v_cndmask_b32_e64 v9, 0x7f800001, v15, s13
	v_cmp_eq_u32_e64 s13, 0x7c000000, v14
	s_delay_alu instid0(VALU_DEP_1) | instskip(SKIP_1) | instid1(VALU_DEP_1)
	v_cndmask_b32_e64 v9, v13, v9, s13
	v_cmp_ne_u32_e64 s13, 0x80, v2
	v_cndmask_b32_e64 v2, 0x80000000, v9, s13
	v_cmp_lt_u64_e64 s13, s[22:23], v[10:11]
	s_delay_alu instid0(VALU_DEP_1) | instskip(NEXT) | instid1(VALU_DEP_1)
	v_cndmask_b32_e64 v2, 0, v2, s13
	v_dual_mul_f32 v9, v2, v8 :: v_dual_mov_b32 v11, v3
                                        ; implicit-def: $vgpr8
	s_delay_alu instid0(VALU_DEP_1) | instskip(SKIP_1) | instid1(VALU_DEP_2)
	v_and_b32_e32 v10, 0x7f800000, v9
	v_and_b32_e32 v2, 0x7fffff, v9
	v_cmp_ne_u64_e64 s13, 0x7f800000, v[10:11]
	v_lshrrev_b32_e32 v10, 24, v9
	s_and_saveexec_b32 s14, s13
	s_delay_alu instid0(SALU_CYCLE_1)
	s_xor_b32 s73, exec_lo, s14
	s_cbranch_execz .LBB2_1480
; %bb.1467:                             ;   in Loop: Header=BB2_934 Depth=4
	v_and_b32_e32 v14, 0x7fffffff, v9
	v_mov_b32_e32 v15, v3
	v_and_b32_e32 v13, 0x80, v10
                                        ; implicit-def: $vgpr8
	s_mov_b32 s14, exec_lo
	s_delay_alu instid0(VALU_DEP_2)
	v_cmpx_gt_u64_e32 0x47600001, v[14:15]
	s_xor_b32 s74, exec_lo, s14
	s_cbranch_execz .LBB2_1477
; %bb.1468:                             ;   in Loop: Header=BB2_934 Depth=4
	v_mov_b32_e32 v8, 0
	s_mov_b32 s75, exec_lo
	v_cmpx_ne_u32_e32 0, v9
	s_cbranch_execz .LBB2_1476
; %bb.1469:                             ;   in Loop: Header=BB2_934 Depth=4
	v_bfe_u32 v14, v9, 23, 8
	v_or_b32_e32 v10, 0x800000, v2
	s_delay_alu instid0(VALU_DEP_2) | instskip(SKIP_1) | instid1(VALU_DEP_1)
	v_sub_nc_u32_e32 v8, 0x71, v14
	v_cmp_gt_u32_e64 s13, 0x72, v14
	v_cndmask_b32_e64 v8, 0, v8, s13
	v_cmp_eq_u32_e64 s13, 0, v14
	s_delay_alu instid0(VALU_DEP_1) | instskip(NEXT) | instid1(VALU_DEP_1)
	v_cndmask_b32_e64 v15, v8, 0x70, s13
	v_dual_cndmask_b32 v2, v10, v2, s13 :: v_dual_add_nc_u32 v8, 21, v15
	v_add_nc_u32_e32 v11, 20, v15
	s_delay_alu instid0(VALU_DEP_2) | instskip(NEXT) | instid1(VALU_DEP_2)
	v_lshlrev_b64_e64 v[8:9], v8, -1
	v_lshlrev_b64_e64 v[10:11], v11, 1
	s_delay_alu instid0(VALU_DEP_2) | instskip(NEXT) | instid1(VALU_DEP_3)
	v_bfi_b32 v21, v9, 0, 0
	v_bfi_b32 v20, v8, 0, v2
	v_lshrrev_b64 v[8:9], v15, v[2:3]
	s_delay_alu instid0(VALU_DEP_2) | instskip(NEXT) | instid1(VALU_DEP_2)
	v_cmp_eq_u64_e64 s14, v[20:21], v[10:11]
	v_mov_b64_e32 v[10:11], v[8:9]
	s_and_saveexec_b32 s76, s14
; %bb.1470:                             ;   in Loop: Header=BB2_934 Depth=4
	v_bfe_u32 v2, v8, 21, 1
	s_delay_alu instid0(VALU_DEP_1) | instskip(NEXT) | instid1(VALU_DEP_1)
	v_add_nc_u64_e32 v[10:11], v[8:9], v[2:3]
	v_add_nc_u64_e32 v[10:11], -1, v[10:11]
; %bb.1471:                             ;   in Loop: Header=BB2_934 Depth=4
	s_or_b32 exec_lo, exec_lo, s76
	v_add_nc_u32_e32 v2, 0xffffff81, v14
	v_lshrrev_b32_e32 v9, 23, v8
	s_mov_b32 s14, exec_lo
	s_delay_alu instid0(VALU_DEP_2) | instskip(NEXT) | instid1(VALU_DEP_1)
	v_cndmask_b32_e64 v2, v2, 0xffffff82, s13
	v_add3_u32 v11, v15, v2, v9
	v_and_b32_e32 v2, 0x1fffff, v10
                                        ; implicit-def: $vgpr10
	s_delay_alu instid0(VALU_DEP_1) | instskip(NEXT) | instid1(VALU_DEP_1)
	v_dual_add_nc_u32 v14, 14, v11 :: v_dual_add_nc_u32 v2, v2, v8
                                        ; implicit-def: $vgpr8_vgpr9
	v_cmpx_ne_u32_e32 0, v14
	s_xor_b32 s14, exec_lo, s14
; %bb.1472:                             ;   in Loop: Header=BB2_934 Depth=4
	s_delay_alu instid0(VALU_DEP_2) | instskip(SKIP_1) | instid1(VALU_DEP_1)
	v_cmp_lt_u64_e64 s13, 0xffffff, v[2:3]
	v_add_nc_u32_e32 v8, 15, v11
	v_cndmask_b32_e64 v10, v14, v8, s13
	v_cndmask_b32_e64 v8, 0, 1, s13
	s_delay_alu instid0(VALU_DEP_1)
	v_lshrrev_b64 v[8:9], v8, v[2:3]
; %bb.1473:                             ;   in Loop: Header=BB2_934 Depth=4
	s_and_not1_saveexec_b32 s13, s14
; %bb.1474:                             ;   in Loop: Header=BB2_934 Depth=4
	v_mov_b64_e32 v[8:9], v[2:3]
	v_bfe_u32 v10, v2, 23, 1
; %bb.1475:                             ;   in Loop: Header=BB2_934 Depth=4
	s_or_b32 exec_lo, exec_lo, s13
	s_delay_alu instid0(VALU_DEP_2) | instskip(NEXT) | instid1(VALU_DEP_2)
	v_lshrrev_b64 v[8:9], 21, v[8:9]
	v_cmp_gt_i32_e64 s13, 32, v10
	v_min_i32_e32 v2, 31, v10
	v_cmp_eq_u32_e64 s14, 0, v10
	s_delay_alu instid0(VALU_DEP_2) | instskip(SKIP_1) | instid1(VALU_DEP_2)
	v_dual_cndmask_b32 v9, 0, v9, s13 :: v_dual_lshlrev_b32 v2, 2, v2
	v_cndmask_b32_e64 v8, 3, v8, s13
	v_and_b32_e32 v2, 0xfc, v2
	s_delay_alu instid0(VALU_DEP_2) | instskip(NEXT) | instid1(VALU_DEP_2)
	v_cmp_eq_u64_e64 s13, 0, v[8:9]
	v_and_or_b32 v2, v8, 3, v2
	s_and_b32 s13, s14, s13
	s_delay_alu instid0(VALU_DEP_1) | instid1(SALU_CYCLE_1)
	v_cndmask_b32_e64 v2, v2, 0, s13
	s_delay_alu instid0(VALU_DEP_1)
	v_or_b32_e32 v8, v2, v13
.LBB2_1476:                             ;   in Loop: Header=BB2_934 Depth=4
	s_or_b32 exec_lo, exec_lo, s75
                                        ; implicit-def: $vgpr13
.LBB2_1477:                             ;   in Loop: Header=BB2_934 Depth=4
	s_and_not1_saveexec_b32 s13, s74
; %bb.1478:                             ;   in Loop: Header=BB2_934 Depth=4
	v_or_b32_e32 v8, 0x7b, v13
; %bb.1479:                             ;   in Loop: Header=BB2_934 Depth=4
	s_or_b32 exec_lo, exec_lo, s13
                                        ; implicit-def: $vgpr9
                                        ; implicit-def: $vgpr10
.LBB2_1480:                             ;   in Loop: Header=BB2_934 Depth=4
	s_and_not1_saveexec_b32 s14, s73
	s_cbranch_execz .LBB2_933
; %bb.1481:                             ;   in Loop: Header=BB2_934 Depth=4
	v_cmp_ne_u64_e64 s13, 0, v[2:3]
                                        ; implicit-def: $vgpr8
	s_and_saveexec_b32 s73, s13
	s_delay_alu instid0(SALU_CYCLE_1)
	s_xor_b32 s13, exec_lo, s73
; %bb.1482:                             ;   in Loop: Header=BB2_934 Depth=4
	v_or_b32_e32 v8, 0x7f, v10
                                        ; implicit-def: $vgpr9
; %bb.1483:                             ;   in Loop: Header=BB2_934 Depth=4
	s_and_not1_saveexec_b32 s73, s13
	s_cbranch_execz .LBB2_932
; %bb.1484:                             ;   in Loop: Header=BB2_934 Depth=4
	v_cmp_lt_i32_e64 s13, -1, v9
	s_delay_alu instid0(VALU_DEP_1)
	v_cndmask_b32_e64 v8, 0xfc, v110, s13
	s_branch .LBB2_932
.LBB2_1485:                             ;   in Loop: Header=BB2_934 Depth=4
	s_or_saveexec_b32 s14, s14
	v_bfrev_b32_e32 v18, 1
	s_xor_b32 exec_lo, exec_lo, s14
	s_cbranch_execz .LBB2_948
.LBB2_1486:                             ;   in Loop: Header=BB2_934 Depth=4
	v_cmp_ne_u16_e64 s13, 0, v19
	v_mov_b32_e32 v18, 0
	s_and_not1_b32 s73, s73, exec_lo
	s_and_b32 s13, s13, exec_lo
	s_delay_alu instid0(SALU_CYCLE_1)
	s_or_b32 s73, s73, s13
	s_or_b32 exec_lo, exec_lo, s14
	s_and_saveexec_b32 s14, s73
	s_cbranch_execnz .LBB2_949
	s_branch .LBB2_950
.LBB2_1487:                             ;   in Loop: Header=BB2_934 Depth=4
	s_or_saveexec_b32 s14, s14
	v_bfrev_b32_e32 v19, 1
	s_xor_b32 exec_lo, exec_lo, s14
	s_cbranch_execz .LBB2_984
.LBB2_1488:                             ;   in Loop: Header=BB2_934 Depth=4
	v_cmp_ne_u16_e64 s13, 0, v2
	v_mov_b32_e32 v19, 0
	s_and_not1_b32 s73, s73, exec_lo
	s_and_b32 s13, s13, exec_lo
	s_delay_alu instid0(SALU_CYCLE_1)
	s_or_b32 s73, s73, s13
	s_or_b32 exec_lo, exec_lo, s14
	s_and_saveexec_b32 s14, s73
	s_cbranch_execnz .LBB2_985
	s_branch .LBB2_986
.LBB2_1489:                             ;   in Loop: Header=BB2_934 Depth=4
	s_or_saveexec_b32 s14, s14
	v_bfrev_b32_e32 v19, 1
	s_xor_b32 exec_lo, exec_lo, s14
	s_cbranch_execz .LBB2_1020
.LBB2_1490:                             ;   in Loop: Header=BB2_934 Depth=4
	v_cmp_ne_u16_e64 s13, 0, v56
	v_mov_b32_e32 v19, 0
	s_and_not1_b32 s73, s73, exec_lo
	s_and_b32 s13, s13, exec_lo
	s_delay_alu instid0(SALU_CYCLE_1)
	s_or_b32 s73, s73, s13
	s_or_b32 exec_lo, exec_lo, s14
	s_and_saveexec_b32 s14, s73
	s_cbranch_execnz .LBB2_1021
	s_branch .LBB2_1022
.LBB2_1491:                             ;   in Loop: Header=BB2_934 Depth=4
	s_or_saveexec_b32 s14, s14
	v_bfrev_b32_e32 v19, 1
	s_xor_b32 exec_lo, exec_lo, s14
	s_cbranch_execz .LBB2_1086
.LBB2_1492:                             ;   in Loop: Header=BB2_934 Depth=4
	v_cmp_ne_u16_e64 s13, 0, v57
	v_mov_b32_e32 v19, 0
	s_and_not1_b32 s73, s73, exec_lo
	s_and_b32 s13, s13, exec_lo
	s_delay_alu instid0(SALU_CYCLE_1)
	s_or_b32 s73, s73, s13
	s_or_b32 exec_lo, exec_lo, s14
	v_mov_b32_e32 v57, v3
	s_and_saveexec_b32 s14, s73
	s_cbranch_execnz .LBB2_1087
	s_branch .LBB2_1088
.LBB2_1493:                             ;   in Loop: Header=BB2_934 Depth=4
	s_or_saveexec_b32 s14, s14
	v_bfrev_b32_e32 v19, 1
	s_xor_b32 exec_lo, exec_lo, s14
	s_cbranch_execz .LBB2_1122
.LBB2_1494:                             ;   in Loop: Header=BB2_934 Depth=4
	v_cmp_ne_u16_e64 s13, 0, v2
	v_mov_b32_e32 v19, 0
	s_and_not1_b32 s73, s73, exec_lo
	s_and_b32 s13, s13, exec_lo
	s_delay_alu instid0(SALU_CYCLE_1)
	s_or_b32 s73, s73, s13
	s_or_b32 exec_lo, exec_lo, s14
	s_and_saveexec_b32 s14, s73
	s_cbranch_execnz .LBB2_1123
	s_branch .LBB2_1124
.LBB2_1495:                             ;   in Loop: Header=BB2_934 Depth=4
	s_or_saveexec_b32 s14, s14
	v_bfrev_b32_e32 v19, 1
	s_xor_b32 exec_lo, exec_lo, s14
	s_cbranch_execz .LBB2_1158
.LBB2_1496:                             ;   in Loop: Header=BB2_934 Depth=4
	v_cmp_ne_u16_e64 s13, 0, v56
	v_mov_b32_e32 v19, 0
	s_and_not1_b32 s73, s73, exec_lo
	s_and_b32 s13, s13, exec_lo
	s_delay_alu instid0(SALU_CYCLE_1)
	s_or_b32 s73, s73, s13
	s_or_b32 exec_lo, exec_lo, s14
	s_and_saveexec_b32 s14, s73
	s_cbranch_execnz .LBB2_1159
	s_branch .LBB2_1160
.LBB2_1497:                             ;   in Loop: Header=BB2_934 Depth=4
	s_or_saveexec_b32 s14, s14
	v_bfrev_b32_e32 v8, 1
	s_xor_b32 exec_lo, exec_lo, s14
	s_cbranch_execz .LBB2_1224
.LBB2_1498:                             ;   in Loop: Header=BB2_934 Depth=4
	v_cmp_ne_u16_e64 s13, 0, v9
	v_mov_b32_e32 v8, 0
	s_and_not1_b32 s73, s73, exec_lo
	s_and_b32 s13, s13, exec_lo
	s_delay_alu instid0(SALU_CYCLE_1)
	s_or_b32 s73, s73, s13
	s_or_b32 exec_lo, exec_lo, s14
	s_and_saveexec_b32 s14, s73
	s_cbranch_execnz .LBB2_1225
	s_branch .LBB2_1226
.LBB2_1499:                             ;   in Loop: Header=BB2_934 Depth=4
	s_or_saveexec_b32 s14, s14
	v_bfrev_b32_e32 v9, 1
	s_xor_b32 exec_lo, exec_lo, s14
	s_cbranch_execz .LBB2_1260
.LBB2_1500:                             ;   in Loop: Header=BB2_934 Depth=4
	v_cmp_ne_u16_e64 s13, 0, v2
	v_mov_b32_e32 v9, 0
	s_and_not1_b32 s73, s73, exec_lo
	s_and_b32 s13, s13, exec_lo
	s_delay_alu instid0(SALU_CYCLE_1)
	s_or_b32 s73, s73, s13
	s_or_b32 exec_lo, exec_lo, s14
	s_and_saveexec_b32 s14, s73
	s_cbranch_execnz .LBB2_1261
	s_branch .LBB2_1262
.LBB2_1501:                             ;   in Loop: Header=BB2_934 Depth=4
	s_or_saveexec_b32 s14, s14
	v_bfrev_b32_e32 v9, 1
	s_xor_b32 exec_lo, exec_lo, s14
	s_cbranch_execz .LBB2_1296
.LBB2_1502:                             ;   in Loop: Header=BB2_934 Depth=4
	v_cmp_ne_u16_e64 s13, 0, v12
	v_mov_b32_e32 v9, 0
	s_and_not1_b32 s73, s73, exec_lo
	s_and_b32 s13, s13, exec_lo
	s_delay_alu instid0(SALU_CYCLE_1)
	s_or_b32 s73, s73, s13
	s_or_b32 exec_lo, exec_lo, s14
	s_and_saveexec_b32 s14, s73
	s_cbranch_execnz .LBB2_1297
	s_branch .LBB2_1298
.LBB2_1503:                             ;   in Loop: Header=BB2_934 Depth=4
	s_or_saveexec_b32 s14, s14
	v_bfrev_b32_e32 v13, 1
	s_xor_b32 exec_lo, exec_lo, s14
	s_cbranch_execz .LBB2_1362
.LBB2_1504:                             ;   in Loop: Header=BB2_934 Depth=4
	v_cmp_ne_u16_e64 s13, 0, v9
	v_mov_b32_e32 v13, 0
	s_and_not1_b32 s73, s73, exec_lo
	s_and_b32 s13, s13, exec_lo
	s_delay_alu instid0(SALU_CYCLE_1)
	s_or_b32 s73, s73, s13
	s_or_b32 exec_lo, exec_lo, s14
	v_mov_b32_e32 v9, v3
	s_and_saveexec_b32 s14, s73
	s_cbranch_execnz .LBB2_1363
	s_branch .LBB2_1364
.LBB2_1505:                             ;   in Loop: Header=BB2_934 Depth=4
	s_or_saveexec_b32 s14, s14
	v_bfrev_b32_e32 v12, 1
	s_xor_b32 exec_lo, exec_lo, s14
	s_cbranch_execz .LBB2_1398
.LBB2_1506:                             ;   in Loop: Header=BB2_934 Depth=4
	v_cmp_ne_u16_e64 s13, 0, v2
	v_mov_b32_e32 v12, 0
	s_and_not1_b32 s73, s73, exec_lo
	s_and_b32 s13, s13, exec_lo
	s_delay_alu instid0(SALU_CYCLE_1)
	s_or_b32 s73, s73, s13
	s_or_b32 exec_lo, exec_lo, s14
	s_and_saveexec_b32 s14, s73
	s_cbranch_execnz .LBB2_1399
	s_branch .LBB2_1400
.LBB2_1507:                             ;   in Loop: Header=BB2_934 Depth=4
	s_or_saveexec_b32 s14, s14
	v_bfrev_b32_e32 v9, 1
	s_xor_b32 exec_lo, exec_lo, s14
	s_cbranch_execz .LBB2_1434
.LBB2_1508:                             ;   in Loop: Header=BB2_934 Depth=4
	v_cmp_ne_u16_e64 s13, 0, v12
	v_mov_b32_e32 v9, 0
	s_and_not1_b32 s73, s73, exec_lo
	s_and_b32 s13, s13, exec_lo
	s_delay_alu instid0(SALU_CYCLE_1)
	s_or_b32 s73, s73, s13
	s_or_b32 exec_lo, exec_lo, s14
	s_and_saveexec_b32 s14, s73
	s_cbranch_execnz .LBB2_1435
	s_branch .LBB2_1436
.LBB2_1509:                             ;   in Loop: Header=BB2_274 Depth=3
	s_or_b32 exec_lo, exec_lo, s72
.LBB2_1510:                             ;   in Loop: Header=BB2_274 Depth=3
	s_delay_alu instid0(SALU_CYCLE_1) | instskip(SKIP_3) | instid1(VALU_DEP_1)
	s_or_b32 exec_lo, exec_lo, s63
	v_dual_mov_b32 v93, 0 :: v_dual_bitop2_b32 v8, 15, v115 bitop3:0x40
	s_mov_b32 s14, 0
	s_mov_b32 s63, exec_lo
                                        ; implicit-def: $vgpr95
                                        ; implicit-def: $vgpr2
	v_cndmask_b32_e32 v94, v63, v8, vcc_lo
	s_delay_alu instid0(VALU_DEP_1)
	v_cmpx_ne_u32_e32 0, v94
	s_cbranch_execz .LBB2_1512
; %bb.1511:                             ;   in Loop: Header=BB2_274 Depth=3
	v_cmp_lt_i32_e64 s13, 0, v74
	s_mov_b32 s14, exec_lo
	v_sub_nc_u32_e32 v8, v63, v8
	v_cndmask_b32_e64 v2, 0, v36, s13
	s_delay_alu instid0(VALU_DEP_1) | instskip(NEXT) | instid1(VALU_DEP_1)
	v_dual_cndmask_b32 v8, 0, v8, vcc_lo :: v_dual_sub_nc_u32 v2, v2, v74
	v_add3_u32 v93, v72, v62, v8
	s_delay_alu instid0(VALU_DEP_2) | instskip(NEXT) | instid1(VALU_DEP_1)
	v_lshl_add_u32 v95, v2, 5, v73
	v_ashrrev_i32_e32 v2, 31, v95
	s_delay_alu instid0(VALU_DEP_1) | instskip(NEXT) | instid1(VALU_DEP_1)
	v_lshrrev_b32_e32 v2, 27, v2
	v_add_nc_u32_e32 v2, v95, v2
	s_delay_alu instid0(VALU_DEP_1)
	v_ashrrev_i32_e32 v2, 5, v2
.LBB2_1512:                             ;   in Loop: Header=BB2_274 Depth=3
	s_or_b32 exec_lo, exec_lo, s63
	s_delay_alu instid0(SALU_CYCLE_1)
	s_and_b32 s63, s14, exec_lo
.LBB2_1513:                             ;   in Loop: Header=BB2_274 Depth=3
	s_or_b32 exec_lo, exec_lo, s62
	s_and_saveexec_b32 s14, s63
	s_cbranch_execz .LBB2_1918
.LBB2_1514:                             ;   in Loop: Header=BB2_274 Depth=3
	v_ashrrev_i32_e32 v8, 31, v94
	s_mov_b32 s62, exec_lo
	s_delay_alu instid0(VALU_DEP_1) | instskip(NEXT) | instid1(VALU_DEP_1)
	v_lshrrev_b32_e32 v8, 24, v8
	v_add_nc_u32_e32 v8, v94, v8
	s_delay_alu instid0(VALU_DEP_1) | instskip(NEXT) | instid1(VALU_DEP_1)
	v_dual_ashrrev_i32 v115, 8, v8 :: v_dual_ashrrev_i32 v8, 31, v95
	v_dual_sub_nc_u32 v18, v115, v2 :: v_dual_lshrrev_b32 v19, 27, v8
	s_delay_alu instid0(VALU_DEP_1)
	v_cmpx_lt_i32_e32 0, v18
	s_cbranch_execz .LBB2_1870
; %bb.1515:                             ;   in Loop: Header=BB2_274 Depth=3
	s_delay_alu instid0(VALU_DEP_2)
	v_dual_add_nc_u32 v8, v95, v19 :: v_dual_lshlrev_b32 v2, 8, v2
	s_trap 2
	ds_load_b64 v[10:11], v0
	v_add_nc_u64_e32 v[14:15], 0xe0, v[40:41]
	v_and_b32_e32 v8, 0xffffffe0, v8
	s_mov_b32 s63, 0
	s_delay_alu instid0(VALU_DEP_1) | instskip(NEXT) | instid1(VALU_DEP_1)
	v_sub_nc_u32_e32 v8, v95, v8
	v_add3_u32 v12, v93, v8, v2
	s_delay_alu instid0(VALU_DEP_1) | instskip(NEXT) | instid1(VALU_DEP_1)
	v_ashrrev_i32_e32 v13, 31, v12
	v_add_nc_u64_e32 v[8:9], v[12:13], v[118:119]
	s_wait_dscnt 0x0
	v_add_nc_u64_e32 v[10:11], v[10:11], v[12:13]
	v_add_nc_u64_e32 v[12:13], v[14:15], v[12:13]
	s_branch .LBB2_1518
.LBB2_1516:                             ;   in Loop: Header=BB2_1518 Depth=4
	s_or_b32 exec_lo, exec_lo, s72
.LBB2_1517:                             ;   in Loop: Header=BB2_1518 Depth=4
	s_delay_alu instid0(SALU_CYCLE_1)
	s_or_b32 exec_lo, exec_lo, s13
	v_sub_nc_u32_e32 v18, v18, v36
	s_clause 0x7
	flat_store_b8 v[12:13], v89 offset:-224 th:TH_STORE_NT
	flat_store_b8 v[12:13], v77 offset:-192 th:TH_STORE_NT
	;; [unrolled: 1-line block ×7, first 2 shown]
	flat_store_b8 v[12:13], v15 th:TH_STORE_NT
	v_add_nc_u64_e32 v[8:9], v[8:9], v[68:69]
	v_add_nc_u64_e32 v[10:11], v[10:11], v[68:69]
	s_wait_xcnt 0x0
	v_add_nc_u64_e32 v[12:13], v[12:13], v[68:69]
	v_cmp_gt_i32_e32 vcc_lo, 1, v18
	s_or_b32 s63, vcc_lo, s63
	s_delay_alu instid0(SALU_CYCLE_1)
	s_and_not1_b32 exec_lo, exec_lo, s63
	s_cbranch_execz .LBB2_1869
.LBB2_1518:                             ;   Parent Loop BB2_47 Depth=1
                                        ;     Parent Loop BB2_271 Depth=2
                                        ;       Parent Loop BB2_274 Depth=3
                                        ; =>      This Inner Loop Header: Depth=4
	s_clause 0x7
	flat_load_i8 v2, v[8:9] th:TH_LOAD_NT
	flat_load_i8 v78, v[8:9] offset:32 th:TH_LOAD_NT
	flat_load_i8 v74, v[8:9] offset:64 th:TH_LOAD_NT
	;; [unrolled: 1-line block ×7, first 2 shown]
	s_clause 0x7
	flat_load_i8 v88, v[10:11] th:TH_LOAD_NT
	flat_load_i8 v76, v[10:11] offset:32 th:TH_LOAD_NT
	flat_load_i8 v72, v[10:11] offset:64 th:TH_LOAD_NT
	;; [unrolled: 1-line block ×7, first 2 shown]
	v_dual_mov_b32 v15, 0 :: v_dual_mov_b32 v119, 0
	s_mov_b32 s13, exec_lo
	s_wait_loadcnt_dscnt 0xf0f
	s_wait_xcnt 0x0
	v_cmpx_ne_u16_e32 0, v2
	s_cbranch_execz .LBB2_1528
; %bb.1519:                             ;   in Loop: Header=BB2_1518 Depth=4
	v_bfrev_b32_e32 v119, 1
	s_mov_b32 s72, exec_lo
	v_cmpx_ne_u16_e32 0xff80, v2
	s_cbranch_execz .LBB2_1527
; %bb.1520:                             ;   in Loop: Header=BB2_1518 Depth=4
	v_and_b32_e32 v20, 0x7c, v2
	v_and_b32_e32 v41, 3, v2
	s_mov_b32 s73, exec_lo
                                        ; implicit-def: $vgpr119
	s_delay_alu instid0(VALU_DEP_2)
	v_cmpx_ne_u32_e32 0x7c, v20
	s_xor_b32 s73, exec_lo, s73
	s_cbranch_execz .LBB2_1524
; %bb.1521:                             ;   in Loop: Header=BB2_1518 Depth=4
	v_and_b32_e32 v20, 0xff, v2
	s_mov_b32 s74, exec_lo
	s_delay_alu instid0(VALU_DEP_1) | instskip(NEXT) | instid1(VALU_DEP_1)
	v_bfe_u32 v119, v20, 2, 5
	v_cmpx_eq_u32_e32 0, v119
; %bb.1522:                             ;   in Loop: Header=BB2_1518 Depth=4
	v_clz_i32_u32_e32 v20, v41
	s_delay_alu instid0(VALU_DEP_1) | instskip(NEXT) | instid1(VALU_DEP_1)
	v_min_u32_e32 v119, 32, v20
	v_subrev_nc_u32_e32 v20, 29, v119
	s_delay_alu instid0(VALU_DEP_1) | instskip(NEXT) | instid1(VALU_DEP_1)
	v_lshlrev_b64_e32 v[20:21], v20, v[2:3]
	v_dual_sub_nc_u32 v119, 30, v119 :: v_dual_bitop2_b32 v41, 3, v20 bitop3:0x40
; %bb.1523:                             ;   in Loop: Header=BB2_1518 Depth=4
	s_or_b32 exec_lo, exec_lo, s74
	v_bfe_i32 v2, v2, 0, 16
	s_delay_alu instid0(VALU_DEP_1) | instskip(NEXT) | instid1(VALU_DEP_1)
	v_and_b32_e32 v2, 0x80000000, v2
	v_lshl_add_u32 v2, v119, 23, v2
	s_delay_alu instid0(VALU_DEP_1) | instskip(NEXT) | instid1(VALU_DEP_1)
	v_lshl_or_b32 v2, v41, 21, v2
                                        ; implicit-def: $vgpr41
	v_add_nc_u32_e32 v119, 0x38000000, v2
.LBB2_1524:                             ;   in Loop: Header=BB2_1518 Depth=4
	s_and_not1_saveexec_b32 s73, s73
; %bb.1525:                             ;   in Loop: Header=BB2_1518 Depth=4
	v_cmp_lt_i16_e32 vcc_lo, -1, v2
	v_cndmask_b32_e32 v2, 0xff800000, v109, vcc_lo
	v_cmp_eq_u32_e32 vcc_lo, 0, v41
	s_delay_alu instid0(VALU_DEP_2)
	v_cndmask_b32_e32 v119, 0x7f800001, v2, vcc_lo
; %bb.1526:                             ;   in Loop: Header=BB2_1518 Depth=4
	s_or_b32 exec_lo, exec_lo, s73
.LBB2_1527:                             ;   in Loop: Header=BB2_1518 Depth=4
	s_delay_alu instid0(SALU_CYCLE_1)
	s_or_b32 exec_lo, exec_lo, s72
.LBB2_1528:                             ;   in Loop: Header=BB2_1518 Depth=4
	s_delay_alu instid0(SALU_CYCLE_1) | instskip(NEXT) | instid1(SALU_CYCLE_1)
	s_or_b32 exec_lo, exec_lo, s13
	s_mov_b32 s13, exec_lo
	s_wait_loadcnt_dscnt 0x707
	v_cmpx_ne_u16_e32 0, v88
	s_cbranch_execz .LBB2_1538
; %bb.1529:                             ;   in Loop: Header=BB2_1518 Depth=4
	v_bfrev_b32_e32 v15, 1
	s_mov_b32 s72, exec_lo
	v_cmpx_ne_u16_e32 0xff80, v88
	s_cbranch_execz .LBB2_1537
; %bb.1530:                             ;   in Loop: Header=BB2_1518 Depth=4
	v_and_b32_e32 v15, 0x7c, v88
	v_and_b32_e32 v2, 3, v88
	s_delay_alu instid0(VALU_DEP_2) | instskip(SKIP_1) | instid1(SALU_CYCLE_1)
	v_cmp_ne_u32_e32 vcc_lo, 0x7c, v15
                                        ; implicit-def: $vgpr15
	s_and_saveexec_b32 s73, vcc_lo
	s_xor_b32 s73, exec_lo, s73
	s_cbranch_execz .LBB2_1534
; %bb.1531:                             ;   in Loop: Header=BB2_1518 Depth=4
	v_and_b32_e32 v15, 0xff, v88
	s_mov_b32 s74, exec_lo
	s_delay_alu instid0(VALU_DEP_1) | instskip(NEXT) | instid1(VALU_DEP_1)
	v_bfe_u32 v15, v15, 2, 5
	v_cmpx_eq_u32_e32 0, v15
; %bb.1532:                             ;   in Loop: Header=BB2_1518 Depth=4
	v_clz_i32_u32_e32 v2, v2
	s_delay_alu instid0(VALU_DEP_1) | instskip(SKIP_1) | instid1(VALU_DEP_2)
	v_min_u32_e32 v2, 32, v2
	v_mov_b32_e32 v89, v3
	v_subrev_nc_u32_e32 v15, 29, v2
	s_delay_alu instid0(VALU_DEP_1) | instskip(NEXT) | instid1(VALU_DEP_1)
	v_lshlrev_b64_e32 v[20:21], v15, v[88:89]
	v_dual_sub_nc_u32 v15, 30, v2 :: v_dual_bitop2_b32 v2, 3, v20 bitop3:0x40
; %bb.1533:                             ;   in Loop: Header=BB2_1518 Depth=4
	s_or_b32 exec_lo, exec_lo, s74
	v_bfe_i32 v20, v88, 0, 16
                                        ; implicit-def: $vgpr88
	s_delay_alu instid0(VALU_DEP_1) | instskip(NEXT) | instid1(VALU_DEP_1)
	v_and_b32_e32 v20, 0x80000000, v20
	v_lshl_add_u32 v15, v15, 23, v20
	s_delay_alu instid0(VALU_DEP_1) | instskip(NEXT) | instid1(VALU_DEP_1)
	v_lshl_or_b32 v2, v2, 21, v15
	v_add_nc_u32_e32 v15, 0x38000000, v2
                                        ; implicit-def: $vgpr2
.LBB2_1534:                             ;   in Loop: Header=BB2_1518 Depth=4
	s_and_not1_saveexec_b32 s73, s73
; %bb.1535:                             ;   in Loop: Header=BB2_1518 Depth=4
	v_cmp_lt_i16_e32 vcc_lo, -1, v88
	v_cndmask_b32_e32 v15, 0xff800000, v109, vcc_lo
	v_cmp_eq_u32_e32 vcc_lo, 0, v2
	s_delay_alu instid0(VALU_DEP_2)
	v_cndmask_b32_e32 v15, 0x7f800001, v15, vcc_lo
; %bb.1536:                             ;   in Loop: Header=BB2_1518 Depth=4
	s_or_b32 exec_lo, exec_lo, s73
.LBB2_1537:                             ;   in Loop: Header=BB2_1518 Depth=4
	s_delay_alu instid0(SALU_CYCLE_1)
	s_or_b32 exec_lo, exec_lo, s72
.LBB2_1538:                             ;   in Loop: Header=BB2_1518 Depth=4
	s_delay_alu instid0(SALU_CYCLE_1) | instskip(NEXT) | instid1(VALU_DEP_1)
	s_or_b32 exec_lo, exec_lo, s13
	v_mul_f32_e32 v119, v119, v15
	v_mov_b32_e32 v21, v3
                                        ; implicit-def: $vgpr89
	s_mov_b32 s13, exec_lo
	s_delay_alu instid0(VALU_DEP_2) | instskip(SKIP_1) | instid1(VALU_DEP_2)
	v_and_b32_e32 v20, 0x7f800000, v119
	v_and_b32_e32 v2, 0x7fffff, v119
	v_cmpx_ne_u64_e32 0x7f800000, v[20:21]
	s_xor_b32 s72, exec_lo, s13
	s_cbranch_execz .LBB2_1556
; %bb.1539:                             ;   in Loop: Header=BB2_1518 Depth=4
	v_dual_mov_b32 v21, v3 :: v_dual_lshrrev_b32 v15, 24, v119
	v_and_b32_e32 v20, 0x7fffffff, v119
                                        ; implicit-def: $vgpr89
	s_mov_b32 s13, exec_lo
	s_delay_alu instid0(VALU_DEP_2) | instskip(NEXT) | instid1(VALU_DEP_2)
	v_and_b32_e32 v15, 0x80, v15
	v_cmpx_gt_u64_e32 0x47600001, v[20:21]
	s_xor_b32 s73, exec_lo, s13
	s_cbranch_execz .LBB2_1553
; %bb.1540:                             ;   in Loop: Header=BB2_1518 Depth=4
	v_mov_b32_e32 v89, 0
	s_mov_b32 s74, exec_lo
	v_cmpx_ne_u32_e32 0, v119
	s_cbranch_execz .LBB2_1552
; %bb.1541:                             ;   in Loop: Header=BB2_1518 Depth=4
	v_bfe_u32 v119, v119, 23, 8
	v_or_b32_e32 v43, 0x800000, v2
	s_delay_alu instid0(VALU_DEP_2) | instskip(SKIP_1) | instid1(VALU_DEP_2)
	v_sub_nc_u32_e32 v20, 0x71, v119
	v_cmp_gt_u32_e32 vcc_lo, 0x72, v119
	v_cndmask_b32_e32 v20, 0, v20, vcc_lo
	v_cmp_eq_u32_e32 vcc_lo, 0, v119
	s_delay_alu instid0(VALU_DEP_2) | instskip(NEXT) | instid1(VALU_DEP_1)
	v_cndmask_b32_e64 v41, v20, 0x70, vcc_lo
	v_dual_cndmask_b32 v2, v43, v2, vcc_lo :: v_dual_add_nc_u32 v20, 21, v41
	v_add_nc_u32_e32 v45, 20, v41
	s_delay_alu instid0(VALU_DEP_2) | instskip(NEXT) | instid1(VALU_DEP_3)
	v_lshrrev_b64 v[88:89], v41, v[2:3]
	v_lshlrev_b64_e64 v[20:21], v20, -1
	s_delay_alu instid0(VALU_DEP_3) | instskip(NEXT) | instid1(VALU_DEP_2)
	v_lshlrev_b64_e64 v[90:91], v45, 1
	v_bfi_b32 v21, v21, 0, 0
	s_delay_alu instid0(VALU_DEP_3) | instskip(NEXT) | instid1(VALU_DEP_1)
	v_bfi_b32 v20, v20, 0, v2
	v_cmp_eq_u64_e64 s13, v[20:21], v[90:91]
	v_mov_b64_e32 v[90:91], v[88:89]
	s_and_saveexec_b32 s75, s13
; %bb.1542:                             ;   in Loop: Header=BB2_1518 Depth=4
	v_bfe_u32 v2, v88, 21, 1
	s_delay_alu instid0(VALU_DEP_1) | instskip(NEXT) | instid1(VALU_DEP_1)
	v_add_nc_u64_e32 v[20:21], v[88:89], v[2:3]
	v_add_nc_u64_e32 v[90:91], -1, v[20:21]
; %bb.1543:                             ;   in Loop: Header=BB2_1518 Depth=4
	s_or_b32 exec_lo, exec_lo, s75
	v_add_nc_u32_e32 v2, 0xffffff81, v119
	v_lshrrev_b32_e32 v20, 23, v88
	s_mov_b32 s13, exec_lo
                                        ; implicit-def: $vgpr119
	s_delay_alu instid0(VALU_DEP_2) | instskip(NEXT) | instid1(VALU_DEP_1)
	v_cndmask_b32_e64 v2, v2, 0xffffff82, vcc_lo
	v_add3_u32 v41, v41, v2, v20
	v_and_b32_e32 v2, 0x1fffff, v90
	s_delay_alu instid0(VALU_DEP_1) | instskip(NEXT) | instid1(VALU_DEP_1)
	v_dual_add_nc_u32 v43, 14, v41 :: v_dual_add_nc_u32 v2, v2, v88
                                        ; implicit-def: $vgpr88_vgpr89
	v_cmpx_ne_u32_e32 0, v43
	s_xor_b32 s13, exec_lo, s13
; %bb.1544:                             ;   in Loop: Header=BB2_1518 Depth=4
	s_delay_alu instid0(VALU_DEP_2) | instskip(SKIP_1) | instid1(VALU_DEP_1)
	v_cmp_lt_u64_e32 vcc_lo, 0xffffff, v[2:3]
	v_add_nc_u32_e32 v20, 15, v41
	v_cndmask_b32_e32 v119, v43, v20, vcc_lo
	v_cndmask_b32_e64 v20, 0, 1, vcc_lo
	s_delay_alu instid0(VALU_DEP_1)
	v_lshrrev_b64 v[88:89], v20, v[2:3]
; %bb.1545:                             ;   in Loop: Header=BB2_1518 Depth=4
	s_and_not1_saveexec_b32 s13, s13
; %bb.1546:                             ;   in Loop: Header=BB2_1518 Depth=4
	v_mov_b64_e32 v[88:89], v[2:3]
	v_bfe_u32 v119, v2, 23, 1
; %bb.1547:                             ;   in Loop: Header=BB2_1518 Depth=4
	s_or_b32 exec_lo, exec_lo, s13
	s_delay_alu instid0(VALU_DEP_2) | instskip(NEXT) | instid1(VALU_DEP_2)
	v_lshrrev_b64 v[20:21], 21, v[88:89]
	v_cmp_gt_i32_e32 vcc_lo, 32, v119
	v_cmp_ne_u32_e64 s13, 0, v119
	s_delay_alu instid0(VALU_DEP_3) | instskip(NEXT) | instid1(VALU_DEP_1)
	v_dual_cndmask_b32 v89, 0, v21 :: v_dual_cndmask_b32 v88, 3, v20
	v_cmp_ne_u64_e32 vcc_lo, 0, v[88:89]
                                        ; implicit-def: $vgpr89
	s_or_b32 s13, s13, vcc_lo
	s_delay_alu instid0(SALU_CYCLE_1) | instskip(NEXT) | instid1(SALU_CYCLE_1)
	s_and_saveexec_b32 s75, s13
	s_xor_b32 s13, exec_lo, s75
; %bb.1548:                             ;   in Loop: Header=BB2_1518 Depth=4
	v_min_i32_e32 v2, 31, v119
	s_delay_alu instid0(VALU_DEP_1) | instskip(NEXT) | instid1(VALU_DEP_1)
	v_lshl_or_b32 v2, v2, 2, v15
                                        ; implicit-def: $vgpr15
	v_and_or_b32 v89, v88, 3, v2
; %bb.1549:                             ;   in Loop: Header=BB2_1518 Depth=4
	s_and_not1_saveexec_b32 s13, s13
; %bb.1550:                             ;   in Loop: Header=BB2_1518 Depth=4
	v_mov_b32_e32 v89, v15
; %bb.1551:                             ;   in Loop: Header=BB2_1518 Depth=4
	s_or_b32 exec_lo, exec_lo, s13
.LBB2_1552:                             ;   in Loop: Header=BB2_1518 Depth=4
	s_delay_alu instid0(SALU_CYCLE_1)
	s_or_b32 exec_lo, exec_lo, s74
                                        ; implicit-def: $vgpr15
.LBB2_1553:                             ;   in Loop: Header=BB2_1518 Depth=4
	s_and_not1_saveexec_b32 s13, s73
; %bb.1554:                             ;   in Loop: Header=BB2_1518 Depth=4
	v_or_b32_e32 v89, 0x7b, v15
; %bb.1555:                             ;   in Loop: Header=BB2_1518 Depth=4
	s_or_b32 exec_lo, exec_lo, s13
                                        ; implicit-def: $vgpr119
.LBB2_1556:                             ;   in Loop: Header=BB2_1518 Depth=4
	s_and_not1_saveexec_b32 s13, s72
	s_cbranch_execz .LBB2_1562
; %bb.1557:                             ;   in Loop: Header=BB2_1518 Depth=4
	s_mov_b32 s72, exec_lo
                                        ; implicit-def: $vgpr89
	v_cmpx_ne_u64_e32 0, v[2:3]
	s_xor_b32 s72, exec_lo, s72
; %bb.1558:                             ;   in Loop: Header=BB2_1518 Depth=4
	v_lshrrev_b32_e32 v2, 24, v119
                                        ; implicit-def: $vgpr119
	s_delay_alu instid0(VALU_DEP_1)
	v_or_b32_e32 v89, 0x7f, v2
; %bb.1559:                             ;   in Loop: Header=BB2_1518 Depth=4
	s_and_not1_saveexec_b32 s72, s72
; %bb.1560:                             ;   in Loop: Header=BB2_1518 Depth=4
	v_cmp_lt_i32_e32 vcc_lo, -1, v119
	v_cndmask_b32_e64 v89, -4, 0x7c, vcc_lo
; %bb.1561:                             ;   in Loop: Header=BB2_1518 Depth=4
	s_or_b32 exec_lo, exec_lo, s72
.LBB2_1562:                             ;   in Loop: Header=BB2_1518 Depth=4
	s_delay_alu instid0(SALU_CYCLE_1)
	s_or_b32 exec_lo, exec_lo, s13
	v_dual_mov_b32 v2, 0 :: v_dual_mov_b32 v15, 0
	s_mov_b32 s13, exec_lo
	v_cmpx_ne_u16_e32 0, v78
	s_cbranch_execz .LBB2_1572
; %bb.1563:                             ;   in Loop: Header=BB2_1518 Depth=4
	v_bfrev_b32_e32 v15, 1
	s_mov_b32 s72, exec_lo
	v_cmpx_ne_u16_e32 0xff80, v78
	s_cbranch_execz .LBB2_1571
; %bb.1564:                             ;   in Loop: Header=BB2_1518 Depth=4
	v_and_b32_e32 v15, 0x7c, v78
	v_and_b32_e32 v119, 3, v78
	s_delay_alu instid0(VALU_DEP_2) | instskip(SKIP_1) | instid1(SALU_CYCLE_1)
	v_cmp_ne_u32_e32 vcc_lo, 0x7c, v15
                                        ; implicit-def: $vgpr15
	s_and_saveexec_b32 s73, vcc_lo
	s_xor_b32 s73, exec_lo, s73
	s_cbranch_execz .LBB2_1568
; %bb.1565:                             ;   in Loop: Header=BB2_1518 Depth=4
	v_and_b32_e32 v15, 0xff, v78
	s_mov_b32 s74, exec_lo
	s_delay_alu instid0(VALU_DEP_1) | instskip(NEXT) | instid1(VALU_DEP_1)
	v_bfe_u32 v15, v15, 2, 5
	v_cmpx_eq_u32_e32 0, v15
	s_cbranch_execz .LBB2_1567
; %bb.1566:                             ;   in Loop: Header=BB2_1518 Depth=4
	v_clz_i32_u32_e32 v15, v119
	s_delay_alu instid0(VALU_DEP_1) | instskip(SKIP_1) | instid1(VALU_DEP_2)
	v_min_u32_e32 v15, 32, v15
	v_mov_b32_e32 v79, v3
	v_subrev_nc_u32_e32 v20, 29, v15
	v_sub_nc_u32_e32 v15, 30, v15
	s_delay_alu instid0(VALU_DEP_2) | instskip(NEXT) | instid1(VALU_DEP_1)
	v_lshlrev_b64_e32 v[20:21], v20, v[78:79]
	v_and_b32_e32 v119, 3, v20
.LBB2_1567:                             ;   in Loop: Header=BB2_1518 Depth=4
	s_or_b32 exec_lo, exec_lo, s74
	v_bfe_i32 v20, v78, 0, 16
                                        ; implicit-def: $vgpr78
	s_delay_alu instid0(VALU_DEP_1) | instskip(NEXT) | instid1(VALU_DEP_1)
	v_and_b32_e32 v20, 0x80000000, v20
	v_lshl_add_u32 v15, v15, 23, v20
	s_delay_alu instid0(VALU_DEP_1) | instskip(NEXT) | instid1(VALU_DEP_1)
	v_lshl_or_b32 v15, v119, 21, v15
                                        ; implicit-def: $vgpr119
	v_add_nc_u32_e32 v15, 0x38000000, v15
.LBB2_1568:                             ;   in Loop: Header=BB2_1518 Depth=4
	s_and_not1_saveexec_b32 s73, s73
; %bb.1569:                             ;   in Loop: Header=BB2_1518 Depth=4
	v_cmp_lt_i16_e32 vcc_lo, -1, v78
	v_cndmask_b32_e32 v15, 0xff800000, v109, vcc_lo
	v_cmp_eq_u32_e32 vcc_lo, 0, v119
	s_delay_alu instid0(VALU_DEP_2)
	v_cndmask_b32_e32 v15, 0x7f800001, v15, vcc_lo
; %bb.1570:                             ;   in Loop: Header=BB2_1518 Depth=4
	s_or_b32 exec_lo, exec_lo, s73
.LBB2_1571:                             ;   in Loop: Header=BB2_1518 Depth=4
	s_delay_alu instid0(SALU_CYCLE_1)
	s_or_b32 exec_lo, exec_lo, s72
.LBB2_1572:                             ;   in Loop: Header=BB2_1518 Depth=4
	s_delay_alu instid0(SALU_CYCLE_1) | instskip(NEXT) | instid1(SALU_CYCLE_1)
	s_or_b32 exec_lo, exec_lo, s13
	s_mov_b32 s13, exec_lo
	s_wait_loadcnt_dscnt 0x606
	v_cmpx_ne_u16_e32 0, v76
	s_cbranch_execz .LBB2_1582
; %bb.1573:                             ;   in Loop: Header=BB2_1518 Depth=4
	v_bfrev_b32_e32 v2, 1
	s_mov_b32 s72, exec_lo
	v_cmpx_ne_u16_e32 0xff80, v76
	s_cbranch_execz .LBB2_1581
; %bb.1574:                             ;   in Loop: Header=BB2_1518 Depth=4
	v_and_b32_e32 v2, 0x7c, v76
	v_and_b32_e32 v119, 3, v76
	s_delay_alu instid0(VALU_DEP_2) | instskip(SKIP_1) | instid1(SALU_CYCLE_1)
	v_cmp_ne_u32_e32 vcc_lo, 0x7c, v2
                                        ; implicit-def: $vgpr2
	s_and_saveexec_b32 s73, vcc_lo
	s_xor_b32 s73, exec_lo, s73
	s_cbranch_execz .LBB2_1578
; %bb.1575:                             ;   in Loop: Header=BB2_1518 Depth=4
	v_and_b32_e32 v2, 0xff, v76
	s_mov_b32 s74, exec_lo
	s_delay_alu instid0(VALU_DEP_1) | instskip(NEXT) | instid1(VALU_DEP_1)
	v_bfe_u32 v2, v2, 2, 5
	v_cmpx_eq_u32_e32 0, v2
	s_cbranch_execz .LBB2_1577
; %bb.1576:                             ;   in Loop: Header=BB2_1518 Depth=4
	v_clz_i32_u32_e32 v2, v119
	s_delay_alu instid0(VALU_DEP_1) | instskip(SKIP_1) | instid1(VALU_DEP_2)
	v_min_u32_e32 v2, 32, v2
	v_mov_b32_e32 v77, v3
	v_subrev_nc_u32_e32 v20, 29, v2
	v_sub_nc_u32_e32 v2, 30, v2
	s_delay_alu instid0(VALU_DEP_2) | instskip(NEXT) | instid1(VALU_DEP_1)
	v_lshlrev_b64_e32 v[20:21], v20, v[76:77]
	v_and_b32_e32 v119, 3, v20
.LBB2_1577:                             ;   in Loop: Header=BB2_1518 Depth=4
	s_or_b32 exec_lo, exec_lo, s74
	v_bfe_i32 v20, v76, 0, 16
                                        ; implicit-def: $vgpr76
	s_delay_alu instid0(VALU_DEP_1) | instskip(NEXT) | instid1(VALU_DEP_1)
	v_and_b32_e32 v20, 0x80000000, v20
	v_lshl_add_u32 v2, v2, 23, v20
	s_delay_alu instid0(VALU_DEP_1) | instskip(NEXT) | instid1(VALU_DEP_1)
	v_lshl_or_b32 v2, v119, 21, v2
                                        ; implicit-def: $vgpr119
	v_add_nc_u32_e32 v2, 0x38000000, v2
.LBB2_1578:                             ;   in Loop: Header=BB2_1518 Depth=4
	s_and_not1_saveexec_b32 s73, s73
; %bb.1579:                             ;   in Loop: Header=BB2_1518 Depth=4
	v_cmp_lt_i16_e32 vcc_lo, -1, v76
	v_cndmask_b32_e32 v2, 0xff800000, v109, vcc_lo
	v_cmp_eq_u32_e32 vcc_lo, 0, v119
	s_delay_alu instid0(VALU_DEP_2)
	v_cndmask_b32_e32 v2, 0x7f800001, v2, vcc_lo
; %bb.1580:                             ;   in Loop: Header=BB2_1518 Depth=4
	s_or_b32 exec_lo, exec_lo, s73
.LBB2_1581:                             ;   in Loop: Header=BB2_1518 Depth=4
	s_delay_alu instid0(SALU_CYCLE_1)
	s_or_b32 exec_lo, exec_lo, s72
.LBB2_1582:                             ;   in Loop: Header=BB2_1518 Depth=4
	s_delay_alu instid0(SALU_CYCLE_1) | instskip(NEXT) | instid1(VALU_DEP_1)
	s_or_b32 exec_lo, exec_lo, s13
	v_mul_f32_e32 v119, v15, v2
	v_mov_b32_e32 v21, v3
                                        ; implicit-def: $vgpr77
	s_mov_b32 s13, exec_lo
	s_delay_alu instid0(VALU_DEP_2) | instskip(SKIP_1) | instid1(VALU_DEP_2)
	v_and_b32_e32 v20, 0x7f800000, v119
	v_and_b32_e32 v2, 0x7fffff, v119
	v_cmpx_ne_u64_e32 0x7f800000, v[20:21]
	s_xor_b32 s72, exec_lo, s13
	s_cbranch_execz .LBB2_1600
; %bb.1583:                             ;   in Loop: Header=BB2_1518 Depth=4
	v_dual_mov_b32 v21, v3 :: v_dual_lshrrev_b32 v15, 24, v119
	v_and_b32_e32 v20, 0x7fffffff, v119
                                        ; implicit-def: $vgpr77
	s_mov_b32 s13, exec_lo
	s_delay_alu instid0(VALU_DEP_2) | instskip(NEXT) | instid1(VALU_DEP_2)
	v_and_b32_e32 v15, 0x80, v15
	v_cmpx_gt_u64_e32 0x47600001, v[20:21]
	s_xor_b32 s73, exec_lo, s13
	s_cbranch_execz .LBB2_1597
; %bb.1584:                             ;   in Loop: Header=BB2_1518 Depth=4
	v_mov_b32_e32 v77, 0
	s_mov_b32 s74, exec_lo
	v_cmpx_ne_u32_e32 0, v119
	s_cbranch_execz .LBB2_1596
; %bb.1585:                             ;   in Loop: Header=BB2_1518 Depth=4
	v_bfe_u32 v119, v119, 23, 8
	v_or_b32_e32 v43, 0x800000, v2
	s_delay_alu instid0(VALU_DEP_2) | instskip(SKIP_1) | instid1(VALU_DEP_2)
	v_sub_nc_u32_e32 v20, 0x71, v119
	v_cmp_gt_u32_e32 vcc_lo, 0x72, v119
	v_cndmask_b32_e32 v20, 0, v20, vcc_lo
	v_cmp_eq_u32_e32 vcc_lo, 0, v119
	s_delay_alu instid0(VALU_DEP_2) | instskip(NEXT) | instid1(VALU_DEP_1)
	v_cndmask_b32_e64 v41, v20, 0x70, vcc_lo
	v_dual_cndmask_b32 v2, v43, v2, vcc_lo :: v_dual_add_nc_u32 v20, 21, v41
	v_add_nc_u32_e32 v45, 20, v41
	s_delay_alu instid0(VALU_DEP_2) | instskip(NEXT) | instid1(VALU_DEP_3)
	v_lshrrev_b64 v[76:77], v41, v[2:3]
	v_lshlrev_b64_e64 v[20:21], v20, -1
	s_delay_alu instid0(VALU_DEP_3) | instskip(NEXT) | instid1(VALU_DEP_2)
	v_lshlrev_b64_e64 v[78:79], v45, 1
	v_bfi_b32 v21, v21, 0, 0
	s_delay_alu instid0(VALU_DEP_3) | instskip(NEXT) | instid1(VALU_DEP_1)
	v_bfi_b32 v20, v20, 0, v2
	v_cmp_eq_u64_e64 s13, v[20:21], v[78:79]
	v_mov_b64_e32 v[78:79], v[76:77]
	s_and_saveexec_b32 s75, s13
; %bb.1586:                             ;   in Loop: Header=BB2_1518 Depth=4
	v_bfe_u32 v2, v76, 21, 1
	s_delay_alu instid0(VALU_DEP_1) | instskip(NEXT) | instid1(VALU_DEP_1)
	v_add_nc_u64_e32 v[20:21], v[76:77], v[2:3]
	v_add_nc_u64_e32 v[78:79], -1, v[20:21]
; %bb.1587:                             ;   in Loop: Header=BB2_1518 Depth=4
	s_or_b32 exec_lo, exec_lo, s75
	v_add_nc_u32_e32 v2, 0xffffff81, v119
	v_lshrrev_b32_e32 v20, 23, v76
	s_mov_b32 s13, exec_lo
                                        ; implicit-def: $vgpr119
	s_delay_alu instid0(VALU_DEP_2) | instskip(NEXT) | instid1(VALU_DEP_1)
	v_cndmask_b32_e64 v2, v2, 0xffffff82, vcc_lo
	v_add3_u32 v41, v41, v2, v20
	v_and_b32_e32 v2, 0x1fffff, v78
	s_delay_alu instid0(VALU_DEP_1) | instskip(NEXT) | instid1(VALU_DEP_1)
	v_dual_add_nc_u32 v43, 14, v41 :: v_dual_add_nc_u32 v2, v2, v76
                                        ; implicit-def: $vgpr76_vgpr77
	v_cmpx_ne_u32_e32 0, v43
	s_xor_b32 s13, exec_lo, s13
; %bb.1588:                             ;   in Loop: Header=BB2_1518 Depth=4
	s_delay_alu instid0(VALU_DEP_2) | instskip(SKIP_1) | instid1(VALU_DEP_1)
	v_cmp_lt_u64_e32 vcc_lo, 0xffffff, v[2:3]
	v_add_nc_u32_e32 v20, 15, v41
	v_cndmask_b32_e32 v119, v43, v20, vcc_lo
	v_cndmask_b32_e64 v20, 0, 1, vcc_lo
	s_delay_alu instid0(VALU_DEP_1)
	v_lshrrev_b64 v[76:77], v20, v[2:3]
; %bb.1589:                             ;   in Loop: Header=BB2_1518 Depth=4
	s_and_not1_saveexec_b32 s13, s13
; %bb.1590:                             ;   in Loop: Header=BB2_1518 Depth=4
	v_mov_b64_e32 v[76:77], v[2:3]
	v_bfe_u32 v119, v2, 23, 1
; %bb.1591:                             ;   in Loop: Header=BB2_1518 Depth=4
	s_or_b32 exec_lo, exec_lo, s13
	s_delay_alu instid0(VALU_DEP_2) | instskip(NEXT) | instid1(VALU_DEP_2)
	v_lshrrev_b64 v[20:21], 21, v[76:77]
	v_cmp_gt_i32_e32 vcc_lo, 32, v119
	v_cmp_ne_u32_e64 s13, 0, v119
	s_delay_alu instid0(VALU_DEP_3) | instskip(NEXT) | instid1(VALU_DEP_1)
	v_dual_cndmask_b32 v77, 0, v21 :: v_dual_cndmask_b32 v76, 3, v20
	v_cmp_ne_u64_e32 vcc_lo, 0, v[76:77]
                                        ; implicit-def: $vgpr77
	s_or_b32 s13, s13, vcc_lo
	s_delay_alu instid0(SALU_CYCLE_1) | instskip(NEXT) | instid1(SALU_CYCLE_1)
	s_and_saveexec_b32 s75, s13
	s_xor_b32 s13, exec_lo, s75
; %bb.1592:                             ;   in Loop: Header=BB2_1518 Depth=4
	v_min_i32_e32 v2, 31, v119
	s_delay_alu instid0(VALU_DEP_1) | instskip(NEXT) | instid1(VALU_DEP_1)
	v_lshl_or_b32 v2, v2, 2, v15
                                        ; implicit-def: $vgpr15
	v_and_or_b32 v77, v76, 3, v2
; %bb.1593:                             ;   in Loop: Header=BB2_1518 Depth=4
	s_and_not1_saveexec_b32 s13, s13
; %bb.1594:                             ;   in Loop: Header=BB2_1518 Depth=4
	v_mov_b32_e32 v77, v15
; %bb.1595:                             ;   in Loop: Header=BB2_1518 Depth=4
	s_or_b32 exec_lo, exec_lo, s13
.LBB2_1596:                             ;   in Loop: Header=BB2_1518 Depth=4
	s_delay_alu instid0(SALU_CYCLE_1)
	s_or_b32 exec_lo, exec_lo, s74
                                        ; implicit-def: $vgpr15
.LBB2_1597:                             ;   in Loop: Header=BB2_1518 Depth=4
	s_and_not1_saveexec_b32 s13, s73
; %bb.1598:                             ;   in Loop: Header=BB2_1518 Depth=4
	v_or_b32_e32 v77, 0x7b, v15
; %bb.1599:                             ;   in Loop: Header=BB2_1518 Depth=4
	s_or_b32 exec_lo, exec_lo, s13
                                        ; implicit-def: $vgpr119
.LBB2_1600:                             ;   in Loop: Header=BB2_1518 Depth=4
	s_and_not1_saveexec_b32 s13, s72
	s_cbranch_execz .LBB2_1606
; %bb.1601:                             ;   in Loop: Header=BB2_1518 Depth=4
	s_mov_b32 s72, exec_lo
                                        ; implicit-def: $vgpr77
	v_cmpx_ne_u64_e32 0, v[2:3]
	s_xor_b32 s72, exec_lo, s72
; %bb.1602:                             ;   in Loop: Header=BB2_1518 Depth=4
	v_lshrrev_b32_e32 v2, 24, v119
                                        ; implicit-def: $vgpr119
	s_delay_alu instid0(VALU_DEP_1)
	v_or_b32_e32 v77, 0x7f, v2
; %bb.1603:                             ;   in Loop: Header=BB2_1518 Depth=4
	s_and_not1_saveexec_b32 s72, s72
; %bb.1604:                             ;   in Loop: Header=BB2_1518 Depth=4
	v_cmp_lt_i32_e32 vcc_lo, -1, v119
	v_cndmask_b32_e64 v77, -4, 0x7c, vcc_lo
; %bb.1605:                             ;   in Loop: Header=BB2_1518 Depth=4
	s_or_b32 exec_lo, exec_lo, s72
.LBB2_1606:                             ;   in Loop: Header=BB2_1518 Depth=4
	s_delay_alu instid0(SALU_CYCLE_1)
	s_or_b32 exec_lo, exec_lo, s13
	v_dual_mov_b32 v2, 0 :: v_dual_mov_b32 v15, 0
	s_mov_b32 s13, exec_lo
	v_cmpx_ne_u16_e32 0, v74
	s_cbranch_execz .LBB2_1616
; %bb.1607:                             ;   in Loop: Header=BB2_1518 Depth=4
	v_bfrev_b32_e32 v15, 1
	s_mov_b32 s72, exec_lo
	v_cmpx_ne_u16_e32 0xff80, v74
	s_cbranch_execz .LBB2_1615
; %bb.1608:                             ;   in Loop: Header=BB2_1518 Depth=4
	v_and_b32_e32 v15, 0x7c, v74
	v_and_b32_e32 v119, 3, v74
	s_delay_alu instid0(VALU_DEP_2) | instskip(SKIP_1) | instid1(SALU_CYCLE_1)
	v_cmp_ne_u32_e32 vcc_lo, 0x7c, v15
                                        ; implicit-def: $vgpr15
	s_and_saveexec_b32 s73, vcc_lo
	s_xor_b32 s73, exec_lo, s73
	s_cbranch_execz .LBB2_1612
; %bb.1609:                             ;   in Loop: Header=BB2_1518 Depth=4
	v_and_b32_e32 v15, 0xff, v74
	s_mov_b32 s74, exec_lo
	s_delay_alu instid0(VALU_DEP_1) | instskip(NEXT) | instid1(VALU_DEP_1)
	v_bfe_u32 v15, v15, 2, 5
	v_cmpx_eq_u32_e32 0, v15
	s_cbranch_execz .LBB2_1611
; %bb.1610:                             ;   in Loop: Header=BB2_1518 Depth=4
	v_clz_i32_u32_e32 v15, v119
	s_delay_alu instid0(VALU_DEP_1) | instskip(SKIP_1) | instid1(VALU_DEP_2)
	v_min_u32_e32 v15, 32, v15
	v_mov_b32_e32 v75, v3
	v_subrev_nc_u32_e32 v20, 29, v15
	v_sub_nc_u32_e32 v15, 30, v15
	s_delay_alu instid0(VALU_DEP_2) | instskip(NEXT) | instid1(VALU_DEP_1)
	v_lshlrev_b64_e32 v[20:21], v20, v[74:75]
	v_and_b32_e32 v119, 3, v20
.LBB2_1611:                             ;   in Loop: Header=BB2_1518 Depth=4
	s_or_b32 exec_lo, exec_lo, s74
	v_bfe_i32 v20, v74, 0, 16
                                        ; implicit-def: $vgpr74
	s_delay_alu instid0(VALU_DEP_1) | instskip(NEXT) | instid1(VALU_DEP_1)
	v_and_b32_e32 v20, 0x80000000, v20
	v_lshl_add_u32 v15, v15, 23, v20
	s_delay_alu instid0(VALU_DEP_1) | instskip(NEXT) | instid1(VALU_DEP_1)
	v_lshl_or_b32 v15, v119, 21, v15
                                        ; implicit-def: $vgpr119
	v_add_nc_u32_e32 v15, 0x38000000, v15
.LBB2_1612:                             ;   in Loop: Header=BB2_1518 Depth=4
	s_and_not1_saveexec_b32 s73, s73
; %bb.1613:                             ;   in Loop: Header=BB2_1518 Depth=4
	v_cmp_lt_i16_e32 vcc_lo, -1, v74
	v_cndmask_b32_e32 v15, 0xff800000, v109, vcc_lo
	v_cmp_eq_u32_e32 vcc_lo, 0, v119
	s_delay_alu instid0(VALU_DEP_2)
	v_cndmask_b32_e32 v15, 0x7f800001, v15, vcc_lo
; %bb.1614:                             ;   in Loop: Header=BB2_1518 Depth=4
	s_or_b32 exec_lo, exec_lo, s73
.LBB2_1615:                             ;   in Loop: Header=BB2_1518 Depth=4
	s_delay_alu instid0(SALU_CYCLE_1)
	s_or_b32 exec_lo, exec_lo, s72
.LBB2_1616:                             ;   in Loop: Header=BB2_1518 Depth=4
	s_delay_alu instid0(SALU_CYCLE_1) | instskip(NEXT) | instid1(SALU_CYCLE_1)
	s_or_b32 exec_lo, exec_lo, s13
	s_mov_b32 s13, exec_lo
	s_wait_loadcnt_dscnt 0x505
	v_cmpx_ne_u16_e32 0, v72
	s_cbranch_execz .LBB2_1626
; %bb.1617:                             ;   in Loop: Header=BB2_1518 Depth=4
	v_bfrev_b32_e32 v2, 1
	s_mov_b32 s72, exec_lo
	v_cmpx_ne_u16_e32 0xff80, v72
	s_cbranch_execz .LBB2_1625
; %bb.1618:                             ;   in Loop: Header=BB2_1518 Depth=4
	v_and_b32_e32 v2, 0x7c, v72
	v_and_b32_e32 v119, 3, v72
	s_delay_alu instid0(VALU_DEP_2) | instskip(SKIP_1) | instid1(SALU_CYCLE_1)
	v_cmp_ne_u32_e32 vcc_lo, 0x7c, v2
                                        ; implicit-def: $vgpr2
	s_and_saveexec_b32 s73, vcc_lo
	s_xor_b32 s73, exec_lo, s73
	s_cbranch_execz .LBB2_1622
; %bb.1619:                             ;   in Loop: Header=BB2_1518 Depth=4
	v_and_b32_e32 v2, 0xff, v72
	s_mov_b32 s74, exec_lo
	s_delay_alu instid0(VALU_DEP_1) | instskip(NEXT) | instid1(VALU_DEP_1)
	v_bfe_u32 v2, v2, 2, 5
	v_cmpx_eq_u32_e32 0, v2
	s_cbranch_execz .LBB2_1621
; %bb.1620:                             ;   in Loop: Header=BB2_1518 Depth=4
	v_clz_i32_u32_e32 v2, v119
	s_delay_alu instid0(VALU_DEP_1) | instskip(SKIP_1) | instid1(VALU_DEP_2)
	v_min_u32_e32 v2, 32, v2
	v_mov_b32_e32 v73, v3
	v_subrev_nc_u32_e32 v20, 29, v2
	v_sub_nc_u32_e32 v2, 30, v2
	s_delay_alu instid0(VALU_DEP_2) | instskip(NEXT) | instid1(VALU_DEP_1)
	v_lshlrev_b64_e32 v[20:21], v20, v[72:73]
	v_and_b32_e32 v119, 3, v20
.LBB2_1621:                             ;   in Loop: Header=BB2_1518 Depth=4
	s_or_b32 exec_lo, exec_lo, s74
	v_bfe_i32 v20, v72, 0, 16
                                        ; implicit-def: $vgpr72
	s_delay_alu instid0(VALU_DEP_1) | instskip(NEXT) | instid1(VALU_DEP_1)
	v_and_b32_e32 v20, 0x80000000, v20
	v_lshl_add_u32 v2, v2, 23, v20
	s_delay_alu instid0(VALU_DEP_1) | instskip(NEXT) | instid1(VALU_DEP_1)
	v_lshl_or_b32 v2, v119, 21, v2
                                        ; implicit-def: $vgpr119
	v_add_nc_u32_e32 v2, 0x38000000, v2
.LBB2_1622:                             ;   in Loop: Header=BB2_1518 Depth=4
	s_and_not1_saveexec_b32 s73, s73
; %bb.1623:                             ;   in Loop: Header=BB2_1518 Depth=4
	v_cmp_lt_i16_e32 vcc_lo, -1, v72
	v_cndmask_b32_e32 v2, 0xff800000, v109, vcc_lo
	v_cmp_eq_u32_e32 vcc_lo, 0, v119
	s_delay_alu instid0(VALU_DEP_2)
	v_cndmask_b32_e32 v2, 0x7f800001, v2, vcc_lo
; %bb.1624:                             ;   in Loop: Header=BB2_1518 Depth=4
	s_or_b32 exec_lo, exec_lo, s73
.LBB2_1625:                             ;   in Loop: Header=BB2_1518 Depth=4
	s_delay_alu instid0(SALU_CYCLE_1)
	s_or_b32 exec_lo, exec_lo, s72
.LBB2_1626:                             ;   in Loop: Header=BB2_1518 Depth=4
	s_delay_alu instid0(SALU_CYCLE_1) | instskip(NEXT) | instid1(VALU_DEP_1)
	s_or_b32 exec_lo, exec_lo, s13
	v_mul_f32_e32 v119, v15, v2
	v_mov_b32_e32 v21, v3
                                        ; implicit-def: $vgpr73
	s_mov_b32 s13, exec_lo
	s_delay_alu instid0(VALU_DEP_2) | instskip(SKIP_1) | instid1(VALU_DEP_2)
	v_and_b32_e32 v20, 0x7f800000, v119
	v_and_b32_e32 v2, 0x7fffff, v119
	v_cmpx_ne_u64_e32 0x7f800000, v[20:21]
	s_xor_b32 s72, exec_lo, s13
	s_cbranch_execz .LBB2_1644
; %bb.1627:                             ;   in Loop: Header=BB2_1518 Depth=4
	v_dual_mov_b32 v21, v3 :: v_dual_lshrrev_b32 v15, 24, v119
	v_and_b32_e32 v20, 0x7fffffff, v119
                                        ; implicit-def: $vgpr73
	s_mov_b32 s13, exec_lo
	s_delay_alu instid0(VALU_DEP_2) | instskip(NEXT) | instid1(VALU_DEP_2)
	v_and_b32_e32 v15, 0x80, v15
	v_cmpx_gt_u64_e32 0x47600001, v[20:21]
	s_xor_b32 s73, exec_lo, s13
	s_cbranch_execz .LBB2_1641
; %bb.1628:                             ;   in Loop: Header=BB2_1518 Depth=4
	v_mov_b32_e32 v73, 0
	s_mov_b32 s74, exec_lo
	v_cmpx_ne_u32_e32 0, v119
	s_cbranch_execz .LBB2_1640
; %bb.1629:                             ;   in Loop: Header=BB2_1518 Depth=4
	v_bfe_u32 v119, v119, 23, 8
	v_or_b32_e32 v43, 0x800000, v2
	s_delay_alu instid0(VALU_DEP_2) | instskip(SKIP_1) | instid1(VALU_DEP_2)
	v_sub_nc_u32_e32 v20, 0x71, v119
	v_cmp_gt_u32_e32 vcc_lo, 0x72, v119
	v_cndmask_b32_e32 v20, 0, v20, vcc_lo
	v_cmp_eq_u32_e32 vcc_lo, 0, v119
	s_delay_alu instid0(VALU_DEP_2) | instskip(NEXT) | instid1(VALU_DEP_1)
	v_cndmask_b32_e64 v41, v20, 0x70, vcc_lo
	v_dual_cndmask_b32 v2, v43, v2, vcc_lo :: v_dual_add_nc_u32 v20, 21, v41
	v_add_nc_u32_e32 v45, 20, v41
	s_delay_alu instid0(VALU_DEP_2) | instskip(NEXT) | instid1(VALU_DEP_3)
	v_lshrrev_b64 v[72:73], v41, v[2:3]
	v_lshlrev_b64_e64 v[20:21], v20, -1
	s_delay_alu instid0(VALU_DEP_3) | instskip(NEXT) | instid1(VALU_DEP_2)
	v_lshlrev_b64_e64 v[74:75], v45, 1
	v_bfi_b32 v21, v21, 0, 0
	s_delay_alu instid0(VALU_DEP_3) | instskip(NEXT) | instid1(VALU_DEP_1)
	v_bfi_b32 v20, v20, 0, v2
	v_cmp_eq_u64_e64 s13, v[20:21], v[74:75]
	v_mov_b64_e32 v[74:75], v[72:73]
	s_and_saveexec_b32 s75, s13
; %bb.1630:                             ;   in Loop: Header=BB2_1518 Depth=4
	v_bfe_u32 v2, v72, 21, 1
	s_delay_alu instid0(VALU_DEP_1) | instskip(NEXT) | instid1(VALU_DEP_1)
	v_add_nc_u64_e32 v[20:21], v[72:73], v[2:3]
	v_add_nc_u64_e32 v[74:75], -1, v[20:21]
; %bb.1631:                             ;   in Loop: Header=BB2_1518 Depth=4
	s_or_b32 exec_lo, exec_lo, s75
	v_add_nc_u32_e32 v2, 0xffffff81, v119
	v_lshrrev_b32_e32 v20, 23, v72
	s_mov_b32 s13, exec_lo
                                        ; implicit-def: $vgpr119
	s_delay_alu instid0(VALU_DEP_2) | instskip(NEXT) | instid1(VALU_DEP_1)
	v_cndmask_b32_e64 v2, v2, 0xffffff82, vcc_lo
	v_add3_u32 v41, v41, v2, v20
	v_and_b32_e32 v2, 0x1fffff, v74
	s_delay_alu instid0(VALU_DEP_1) | instskip(NEXT) | instid1(VALU_DEP_1)
	v_dual_add_nc_u32 v43, 14, v41 :: v_dual_add_nc_u32 v2, v2, v72
                                        ; implicit-def: $vgpr72_vgpr73
	v_cmpx_ne_u32_e32 0, v43
	s_xor_b32 s13, exec_lo, s13
; %bb.1632:                             ;   in Loop: Header=BB2_1518 Depth=4
	s_delay_alu instid0(VALU_DEP_2) | instskip(SKIP_1) | instid1(VALU_DEP_1)
	v_cmp_lt_u64_e32 vcc_lo, 0xffffff, v[2:3]
	v_add_nc_u32_e32 v20, 15, v41
	v_cndmask_b32_e32 v119, v43, v20, vcc_lo
	v_cndmask_b32_e64 v20, 0, 1, vcc_lo
	s_delay_alu instid0(VALU_DEP_1)
	v_lshrrev_b64 v[72:73], v20, v[2:3]
; %bb.1633:                             ;   in Loop: Header=BB2_1518 Depth=4
	s_and_not1_saveexec_b32 s13, s13
; %bb.1634:                             ;   in Loop: Header=BB2_1518 Depth=4
	v_mov_b64_e32 v[72:73], v[2:3]
	v_bfe_u32 v119, v2, 23, 1
; %bb.1635:                             ;   in Loop: Header=BB2_1518 Depth=4
	s_or_b32 exec_lo, exec_lo, s13
	s_delay_alu instid0(VALU_DEP_2) | instskip(NEXT) | instid1(VALU_DEP_2)
	v_lshrrev_b64 v[20:21], 21, v[72:73]
	v_cmp_gt_i32_e32 vcc_lo, 32, v119
	v_cmp_ne_u32_e64 s13, 0, v119
	s_delay_alu instid0(VALU_DEP_3) | instskip(NEXT) | instid1(VALU_DEP_1)
	v_dual_cndmask_b32 v73, 0, v21 :: v_dual_cndmask_b32 v72, 3, v20
	v_cmp_ne_u64_e32 vcc_lo, 0, v[72:73]
                                        ; implicit-def: $vgpr73
	s_or_b32 s13, s13, vcc_lo
	s_delay_alu instid0(SALU_CYCLE_1) | instskip(NEXT) | instid1(SALU_CYCLE_1)
	s_and_saveexec_b32 s75, s13
	s_xor_b32 s13, exec_lo, s75
; %bb.1636:                             ;   in Loop: Header=BB2_1518 Depth=4
	v_min_i32_e32 v2, 31, v119
	s_delay_alu instid0(VALU_DEP_1) | instskip(NEXT) | instid1(VALU_DEP_1)
	v_lshl_or_b32 v2, v2, 2, v15
                                        ; implicit-def: $vgpr15
	v_and_or_b32 v73, v72, 3, v2
; %bb.1637:                             ;   in Loop: Header=BB2_1518 Depth=4
	s_and_not1_saveexec_b32 s13, s13
; %bb.1638:                             ;   in Loop: Header=BB2_1518 Depth=4
	v_mov_b32_e32 v73, v15
; %bb.1639:                             ;   in Loop: Header=BB2_1518 Depth=4
	s_or_b32 exec_lo, exec_lo, s13
.LBB2_1640:                             ;   in Loop: Header=BB2_1518 Depth=4
	s_delay_alu instid0(SALU_CYCLE_1)
	s_or_b32 exec_lo, exec_lo, s74
                                        ; implicit-def: $vgpr15
.LBB2_1641:                             ;   in Loop: Header=BB2_1518 Depth=4
	s_and_not1_saveexec_b32 s13, s73
; %bb.1642:                             ;   in Loop: Header=BB2_1518 Depth=4
	v_or_b32_e32 v73, 0x7b, v15
; %bb.1643:                             ;   in Loop: Header=BB2_1518 Depth=4
	s_or_b32 exec_lo, exec_lo, s13
                                        ; implicit-def: $vgpr119
.LBB2_1644:                             ;   in Loop: Header=BB2_1518 Depth=4
	s_and_not1_saveexec_b32 s13, s72
	s_cbranch_execz .LBB2_1650
; %bb.1645:                             ;   in Loop: Header=BB2_1518 Depth=4
	s_mov_b32 s72, exec_lo
                                        ; implicit-def: $vgpr73
	v_cmpx_ne_u64_e32 0, v[2:3]
	s_xor_b32 s72, exec_lo, s72
; %bb.1646:                             ;   in Loop: Header=BB2_1518 Depth=4
	v_lshrrev_b32_e32 v2, 24, v119
                                        ; implicit-def: $vgpr119
	s_delay_alu instid0(VALU_DEP_1)
	v_or_b32_e32 v73, 0x7f, v2
; %bb.1647:                             ;   in Loop: Header=BB2_1518 Depth=4
	s_and_not1_saveexec_b32 s72, s72
; %bb.1648:                             ;   in Loop: Header=BB2_1518 Depth=4
	v_cmp_lt_i32_e32 vcc_lo, -1, v119
	v_cndmask_b32_e64 v73, -4, 0x7c, vcc_lo
; %bb.1649:                             ;   in Loop: Header=BB2_1518 Depth=4
	s_or_b32 exec_lo, exec_lo, s72
.LBB2_1650:                             ;   in Loop: Header=BB2_1518 Depth=4
	s_delay_alu instid0(SALU_CYCLE_1)
	s_or_b32 exec_lo, exec_lo, s13
	v_dual_mov_b32 v2, 0 :: v_dual_mov_b32 v15, 0
	s_mov_b32 s13, exec_lo
	v_cmpx_ne_u16_e32 0, v62
	s_cbranch_execz .LBB2_1660
; %bb.1651:                             ;   in Loop: Header=BB2_1518 Depth=4
	v_bfrev_b32_e32 v15, 1
	s_mov_b32 s72, exec_lo
	v_cmpx_ne_u16_e32 0xff80, v62
	s_cbranch_execz .LBB2_1659
; %bb.1652:                             ;   in Loop: Header=BB2_1518 Depth=4
	v_and_b32_e32 v15, 0x7c, v62
	v_and_b32_e32 v119, 3, v62
	s_delay_alu instid0(VALU_DEP_2) | instskip(SKIP_1) | instid1(SALU_CYCLE_1)
	v_cmp_ne_u32_e32 vcc_lo, 0x7c, v15
                                        ; implicit-def: $vgpr15
	s_and_saveexec_b32 s73, vcc_lo
	s_xor_b32 s73, exec_lo, s73
	s_cbranch_execz .LBB2_1656
; %bb.1653:                             ;   in Loop: Header=BB2_1518 Depth=4
	v_and_b32_e32 v15, 0xff, v62
	s_mov_b32 s74, exec_lo
	s_delay_alu instid0(VALU_DEP_1) | instskip(NEXT) | instid1(VALU_DEP_1)
	v_bfe_u32 v15, v15, 2, 5
	v_cmpx_eq_u32_e32 0, v15
	s_cbranch_execz .LBB2_1655
; %bb.1654:                             ;   in Loop: Header=BB2_1518 Depth=4
	v_clz_i32_u32_e32 v15, v119
	s_delay_alu instid0(VALU_DEP_1) | instskip(SKIP_1) | instid1(VALU_DEP_2)
	v_min_u32_e32 v15, 32, v15
	v_mov_b32_e32 v63, v3
	v_subrev_nc_u32_e32 v20, 29, v15
	v_sub_nc_u32_e32 v15, 30, v15
	s_delay_alu instid0(VALU_DEP_2) | instskip(NEXT) | instid1(VALU_DEP_1)
	v_lshlrev_b64_e32 v[20:21], v20, v[62:63]
	v_and_b32_e32 v119, 3, v20
.LBB2_1655:                             ;   in Loop: Header=BB2_1518 Depth=4
	s_or_b32 exec_lo, exec_lo, s74
	v_bfe_i32 v20, v62, 0, 16
                                        ; implicit-def: $vgpr62
	s_delay_alu instid0(VALU_DEP_1) | instskip(NEXT) | instid1(VALU_DEP_1)
	v_and_b32_e32 v20, 0x80000000, v20
	v_lshl_add_u32 v15, v15, 23, v20
	s_delay_alu instid0(VALU_DEP_1) | instskip(NEXT) | instid1(VALU_DEP_1)
	v_lshl_or_b32 v15, v119, 21, v15
                                        ; implicit-def: $vgpr119
	v_add_nc_u32_e32 v15, 0x38000000, v15
.LBB2_1656:                             ;   in Loop: Header=BB2_1518 Depth=4
	s_and_not1_saveexec_b32 s73, s73
; %bb.1657:                             ;   in Loop: Header=BB2_1518 Depth=4
	v_cmp_lt_i16_e32 vcc_lo, -1, v62
	v_cndmask_b32_e32 v15, 0xff800000, v109, vcc_lo
	v_cmp_eq_u32_e32 vcc_lo, 0, v119
	s_delay_alu instid0(VALU_DEP_2)
	v_cndmask_b32_e32 v15, 0x7f800001, v15, vcc_lo
; %bb.1658:                             ;   in Loop: Header=BB2_1518 Depth=4
	s_or_b32 exec_lo, exec_lo, s73
.LBB2_1659:                             ;   in Loop: Header=BB2_1518 Depth=4
	s_delay_alu instid0(SALU_CYCLE_1)
	s_or_b32 exec_lo, exec_lo, s72
.LBB2_1660:                             ;   in Loop: Header=BB2_1518 Depth=4
	s_delay_alu instid0(SALU_CYCLE_1) | instskip(NEXT) | instid1(SALU_CYCLE_1)
	s_or_b32 exec_lo, exec_lo, s13
	s_mov_b32 s13, exec_lo
	s_wait_loadcnt_dscnt 0x404
	v_cmpx_ne_u16_e32 0, v60
	s_cbranch_execz .LBB2_1670
; %bb.1661:                             ;   in Loop: Header=BB2_1518 Depth=4
	v_bfrev_b32_e32 v2, 1
	s_mov_b32 s72, exec_lo
	v_cmpx_ne_u16_e32 0xff80, v60
	s_cbranch_execz .LBB2_1669
; %bb.1662:                             ;   in Loop: Header=BB2_1518 Depth=4
	v_and_b32_e32 v2, 0x7c, v60
	v_and_b32_e32 v119, 3, v60
	s_delay_alu instid0(VALU_DEP_2) | instskip(SKIP_1) | instid1(SALU_CYCLE_1)
	v_cmp_ne_u32_e32 vcc_lo, 0x7c, v2
                                        ; implicit-def: $vgpr2
	s_and_saveexec_b32 s73, vcc_lo
	s_xor_b32 s73, exec_lo, s73
	s_cbranch_execz .LBB2_1666
; %bb.1663:                             ;   in Loop: Header=BB2_1518 Depth=4
	v_and_b32_e32 v2, 0xff, v60
	s_mov_b32 s74, exec_lo
	s_delay_alu instid0(VALU_DEP_1) | instskip(NEXT) | instid1(VALU_DEP_1)
	v_bfe_u32 v2, v2, 2, 5
	v_cmpx_eq_u32_e32 0, v2
	s_cbranch_execz .LBB2_1665
; %bb.1664:                             ;   in Loop: Header=BB2_1518 Depth=4
	v_clz_i32_u32_e32 v2, v119
	s_delay_alu instid0(VALU_DEP_1) | instskip(SKIP_1) | instid1(VALU_DEP_2)
	v_min_u32_e32 v2, 32, v2
	v_mov_b32_e32 v61, v3
	v_subrev_nc_u32_e32 v20, 29, v2
	v_sub_nc_u32_e32 v2, 30, v2
	s_delay_alu instid0(VALU_DEP_2) | instskip(NEXT) | instid1(VALU_DEP_1)
	v_lshlrev_b64_e32 v[20:21], v20, v[60:61]
	v_and_b32_e32 v119, 3, v20
.LBB2_1665:                             ;   in Loop: Header=BB2_1518 Depth=4
	s_or_b32 exec_lo, exec_lo, s74
	v_bfe_i32 v20, v60, 0, 16
                                        ; implicit-def: $vgpr60
	s_delay_alu instid0(VALU_DEP_1) | instskip(NEXT) | instid1(VALU_DEP_1)
	v_and_b32_e32 v20, 0x80000000, v20
	v_lshl_add_u32 v2, v2, 23, v20
	s_delay_alu instid0(VALU_DEP_1) | instskip(NEXT) | instid1(VALU_DEP_1)
	v_lshl_or_b32 v2, v119, 21, v2
                                        ; implicit-def: $vgpr119
	v_add_nc_u32_e32 v2, 0x38000000, v2
.LBB2_1666:                             ;   in Loop: Header=BB2_1518 Depth=4
	s_and_not1_saveexec_b32 s73, s73
; %bb.1667:                             ;   in Loop: Header=BB2_1518 Depth=4
	v_cmp_lt_i16_e32 vcc_lo, -1, v60
	v_cndmask_b32_e32 v2, 0xff800000, v109, vcc_lo
	v_cmp_eq_u32_e32 vcc_lo, 0, v119
	s_delay_alu instid0(VALU_DEP_2)
	v_cndmask_b32_e32 v2, 0x7f800001, v2, vcc_lo
; %bb.1668:                             ;   in Loop: Header=BB2_1518 Depth=4
	s_or_b32 exec_lo, exec_lo, s73
.LBB2_1669:                             ;   in Loop: Header=BB2_1518 Depth=4
	s_delay_alu instid0(SALU_CYCLE_1)
	s_or_b32 exec_lo, exec_lo, s72
.LBB2_1670:                             ;   in Loop: Header=BB2_1518 Depth=4
	s_delay_alu instid0(SALU_CYCLE_1) | instskip(NEXT) | instid1(VALU_DEP_1)
	s_or_b32 exec_lo, exec_lo, s13
	v_mul_f32_e32 v119, v15, v2
	v_mov_b32_e32 v21, v3
                                        ; implicit-def: $vgpr61
	s_mov_b32 s13, exec_lo
	s_delay_alu instid0(VALU_DEP_2) | instskip(SKIP_1) | instid1(VALU_DEP_2)
	v_and_b32_e32 v20, 0x7f800000, v119
	v_and_b32_e32 v2, 0x7fffff, v119
	v_cmpx_ne_u64_e32 0x7f800000, v[20:21]
	s_xor_b32 s72, exec_lo, s13
	s_cbranch_execz .LBB2_1688
; %bb.1671:                             ;   in Loop: Header=BB2_1518 Depth=4
	v_dual_mov_b32 v21, v3 :: v_dual_lshrrev_b32 v15, 24, v119
	v_and_b32_e32 v20, 0x7fffffff, v119
                                        ; implicit-def: $vgpr61
	s_mov_b32 s13, exec_lo
	s_delay_alu instid0(VALU_DEP_2) | instskip(NEXT) | instid1(VALU_DEP_2)
	v_and_b32_e32 v15, 0x80, v15
	v_cmpx_gt_u64_e32 0x47600001, v[20:21]
	s_xor_b32 s73, exec_lo, s13
	s_cbranch_execz .LBB2_1685
; %bb.1672:                             ;   in Loop: Header=BB2_1518 Depth=4
	v_mov_b32_e32 v61, 0
	s_mov_b32 s74, exec_lo
	v_cmpx_ne_u32_e32 0, v119
	s_cbranch_execz .LBB2_1684
; %bb.1673:                             ;   in Loop: Header=BB2_1518 Depth=4
	v_bfe_u32 v119, v119, 23, 8
	v_or_b32_e32 v43, 0x800000, v2
	s_delay_alu instid0(VALU_DEP_2) | instskip(SKIP_1) | instid1(VALU_DEP_2)
	v_sub_nc_u32_e32 v20, 0x71, v119
	v_cmp_gt_u32_e32 vcc_lo, 0x72, v119
	v_cndmask_b32_e32 v20, 0, v20, vcc_lo
	v_cmp_eq_u32_e32 vcc_lo, 0, v119
	s_delay_alu instid0(VALU_DEP_2) | instskip(NEXT) | instid1(VALU_DEP_1)
	v_cndmask_b32_e64 v41, v20, 0x70, vcc_lo
	v_dual_cndmask_b32 v2, v43, v2, vcc_lo :: v_dual_add_nc_u32 v20, 21, v41
	v_add_nc_u32_e32 v45, 20, v41
	s_delay_alu instid0(VALU_DEP_2) | instskip(NEXT) | instid1(VALU_DEP_3)
	v_lshrrev_b64 v[60:61], v41, v[2:3]
	v_lshlrev_b64_e64 v[20:21], v20, -1
	s_delay_alu instid0(VALU_DEP_3) | instskip(NEXT) | instid1(VALU_DEP_2)
	v_lshlrev_b64_e64 v[62:63], v45, 1
	v_bfi_b32 v21, v21, 0, 0
	s_delay_alu instid0(VALU_DEP_3) | instskip(NEXT) | instid1(VALU_DEP_1)
	v_bfi_b32 v20, v20, 0, v2
	v_cmp_eq_u64_e64 s13, v[20:21], v[62:63]
	v_mov_b64_e32 v[62:63], v[60:61]
	s_and_saveexec_b32 s75, s13
; %bb.1674:                             ;   in Loop: Header=BB2_1518 Depth=4
	v_bfe_u32 v2, v60, 21, 1
	s_delay_alu instid0(VALU_DEP_1) | instskip(NEXT) | instid1(VALU_DEP_1)
	v_add_nc_u64_e32 v[20:21], v[60:61], v[2:3]
	v_add_nc_u64_e32 v[62:63], -1, v[20:21]
; %bb.1675:                             ;   in Loop: Header=BB2_1518 Depth=4
	s_or_b32 exec_lo, exec_lo, s75
	v_add_nc_u32_e32 v2, 0xffffff81, v119
	v_lshrrev_b32_e32 v20, 23, v60
	s_mov_b32 s13, exec_lo
                                        ; implicit-def: $vgpr119
	s_delay_alu instid0(VALU_DEP_2) | instskip(NEXT) | instid1(VALU_DEP_1)
	v_cndmask_b32_e64 v2, v2, 0xffffff82, vcc_lo
	v_add3_u32 v41, v41, v2, v20
	v_and_b32_e32 v2, 0x1fffff, v62
	s_delay_alu instid0(VALU_DEP_1) | instskip(NEXT) | instid1(VALU_DEP_1)
	v_dual_add_nc_u32 v43, 14, v41 :: v_dual_add_nc_u32 v2, v2, v60
                                        ; implicit-def: $vgpr60_vgpr61
	v_cmpx_ne_u32_e32 0, v43
	s_xor_b32 s13, exec_lo, s13
; %bb.1676:                             ;   in Loop: Header=BB2_1518 Depth=4
	s_delay_alu instid0(VALU_DEP_2) | instskip(SKIP_1) | instid1(VALU_DEP_1)
	v_cmp_lt_u64_e32 vcc_lo, 0xffffff, v[2:3]
	v_add_nc_u32_e32 v20, 15, v41
	v_cndmask_b32_e32 v119, v43, v20, vcc_lo
	v_cndmask_b32_e64 v20, 0, 1, vcc_lo
	s_delay_alu instid0(VALU_DEP_1)
	v_lshrrev_b64 v[60:61], v20, v[2:3]
; %bb.1677:                             ;   in Loop: Header=BB2_1518 Depth=4
	s_and_not1_saveexec_b32 s13, s13
; %bb.1678:                             ;   in Loop: Header=BB2_1518 Depth=4
	v_mov_b64_e32 v[60:61], v[2:3]
	v_bfe_u32 v119, v2, 23, 1
; %bb.1679:                             ;   in Loop: Header=BB2_1518 Depth=4
	s_or_b32 exec_lo, exec_lo, s13
	s_delay_alu instid0(VALU_DEP_2) | instskip(NEXT) | instid1(VALU_DEP_2)
	v_lshrrev_b64 v[20:21], 21, v[60:61]
	v_cmp_gt_i32_e32 vcc_lo, 32, v119
	v_cmp_ne_u32_e64 s13, 0, v119
	s_delay_alu instid0(VALU_DEP_3) | instskip(NEXT) | instid1(VALU_DEP_1)
	v_dual_cndmask_b32 v61, 0, v21 :: v_dual_cndmask_b32 v60, 3, v20
	v_cmp_ne_u64_e32 vcc_lo, 0, v[60:61]
                                        ; implicit-def: $vgpr61
	s_or_b32 s13, s13, vcc_lo
	s_delay_alu instid0(SALU_CYCLE_1) | instskip(NEXT) | instid1(SALU_CYCLE_1)
	s_and_saveexec_b32 s75, s13
	s_xor_b32 s13, exec_lo, s75
; %bb.1680:                             ;   in Loop: Header=BB2_1518 Depth=4
	v_min_i32_e32 v2, 31, v119
	s_delay_alu instid0(VALU_DEP_1) | instskip(NEXT) | instid1(VALU_DEP_1)
	v_lshl_or_b32 v2, v2, 2, v15
                                        ; implicit-def: $vgpr15
	v_and_or_b32 v61, v60, 3, v2
; %bb.1681:                             ;   in Loop: Header=BB2_1518 Depth=4
	s_and_not1_saveexec_b32 s13, s13
; %bb.1682:                             ;   in Loop: Header=BB2_1518 Depth=4
	v_mov_b32_e32 v61, v15
; %bb.1683:                             ;   in Loop: Header=BB2_1518 Depth=4
	s_or_b32 exec_lo, exec_lo, s13
.LBB2_1684:                             ;   in Loop: Header=BB2_1518 Depth=4
	s_delay_alu instid0(SALU_CYCLE_1)
	s_or_b32 exec_lo, exec_lo, s74
                                        ; implicit-def: $vgpr15
.LBB2_1685:                             ;   in Loop: Header=BB2_1518 Depth=4
	s_and_not1_saveexec_b32 s13, s73
; %bb.1686:                             ;   in Loop: Header=BB2_1518 Depth=4
	v_or_b32_e32 v61, 0x7b, v15
; %bb.1687:                             ;   in Loop: Header=BB2_1518 Depth=4
	s_or_b32 exec_lo, exec_lo, s13
                                        ; implicit-def: $vgpr119
.LBB2_1688:                             ;   in Loop: Header=BB2_1518 Depth=4
	s_and_not1_saveexec_b32 s13, s72
	s_cbranch_execz .LBB2_1694
; %bb.1689:                             ;   in Loop: Header=BB2_1518 Depth=4
	s_mov_b32 s72, exec_lo
                                        ; implicit-def: $vgpr61
	v_cmpx_ne_u64_e32 0, v[2:3]
	s_xor_b32 s72, exec_lo, s72
; %bb.1690:                             ;   in Loop: Header=BB2_1518 Depth=4
	v_lshrrev_b32_e32 v2, 24, v119
                                        ; implicit-def: $vgpr119
	s_delay_alu instid0(VALU_DEP_1)
	v_or_b32_e32 v61, 0x7f, v2
; %bb.1691:                             ;   in Loop: Header=BB2_1518 Depth=4
	s_and_not1_saveexec_b32 s72, s72
; %bb.1692:                             ;   in Loop: Header=BB2_1518 Depth=4
	v_cmp_lt_i32_e32 vcc_lo, -1, v119
	v_cndmask_b32_e64 v61, -4, 0x7c, vcc_lo
; %bb.1693:                             ;   in Loop: Header=BB2_1518 Depth=4
	s_or_b32 exec_lo, exec_lo, s72
.LBB2_1694:                             ;   in Loop: Header=BB2_1518 Depth=4
	s_delay_alu instid0(SALU_CYCLE_1)
	s_or_b32 exec_lo, exec_lo, s13
	v_dual_mov_b32 v2, 0 :: v_dual_mov_b32 v15, 0
	s_mov_b32 s13, exec_lo
	v_cmpx_ne_u16_e32 0, v58
	s_cbranch_execz .LBB2_1704
; %bb.1695:                             ;   in Loop: Header=BB2_1518 Depth=4
	v_bfrev_b32_e32 v15, 1
	s_mov_b32 s72, exec_lo
	v_cmpx_ne_u16_e32 0xff80, v58
	s_cbranch_execz .LBB2_1703
; %bb.1696:                             ;   in Loop: Header=BB2_1518 Depth=4
	v_and_b32_e32 v15, 0x7c, v58
	v_and_b32_e32 v119, 3, v58
	s_delay_alu instid0(VALU_DEP_2) | instskip(SKIP_1) | instid1(SALU_CYCLE_1)
	v_cmp_ne_u32_e32 vcc_lo, 0x7c, v15
                                        ; implicit-def: $vgpr15
	s_and_saveexec_b32 s73, vcc_lo
	s_xor_b32 s73, exec_lo, s73
	s_cbranch_execz .LBB2_1700
; %bb.1697:                             ;   in Loop: Header=BB2_1518 Depth=4
	v_and_b32_e32 v15, 0xff, v58
	s_mov_b32 s74, exec_lo
	s_delay_alu instid0(VALU_DEP_1) | instskip(NEXT) | instid1(VALU_DEP_1)
	v_bfe_u32 v15, v15, 2, 5
	v_cmpx_eq_u32_e32 0, v15
	s_cbranch_execz .LBB2_1699
; %bb.1698:                             ;   in Loop: Header=BB2_1518 Depth=4
	v_clz_i32_u32_e32 v15, v119
	s_delay_alu instid0(VALU_DEP_1) | instskip(SKIP_1) | instid1(VALU_DEP_2)
	v_min_u32_e32 v15, 32, v15
	v_mov_b32_e32 v59, v3
	v_subrev_nc_u32_e32 v20, 29, v15
	v_sub_nc_u32_e32 v15, 30, v15
	s_delay_alu instid0(VALU_DEP_2) | instskip(NEXT) | instid1(VALU_DEP_1)
	v_lshlrev_b64_e32 v[20:21], v20, v[58:59]
	v_and_b32_e32 v119, 3, v20
.LBB2_1699:                             ;   in Loop: Header=BB2_1518 Depth=4
	s_or_b32 exec_lo, exec_lo, s74
	v_bfe_i32 v20, v58, 0, 16
                                        ; implicit-def: $vgpr58
	s_delay_alu instid0(VALU_DEP_1) | instskip(NEXT) | instid1(VALU_DEP_1)
	v_and_b32_e32 v20, 0x80000000, v20
	v_lshl_add_u32 v15, v15, 23, v20
	s_delay_alu instid0(VALU_DEP_1) | instskip(NEXT) | instid1(VALU_DEP_1)
	v_lshl_or_b32 v15, v119, 21, v15
                                        ; implicit-def: $vgpr119
	v_add_nc_u32_e32 v15, 0x38000000, v15
.LBB2_1700:                             ;   in Loop: Header=BB2_1518 Depth=4
	s_and_not1_saveexec_b32 s73, s73
; %bb.1701:                             ;   in Loop: Header=BB2_1518 Depth=4
	v_cmp_lt_i16_e32 vcc_lo, -1, v58
	v_cndmask_b32_e32 v15, 0xff800000, v109, vcc_lo
	v_cmp_eq_u32_e32 vcc_lo, 0, v119
	s_delay_alu instid0(VALU_DEP_2)
	v_cndmask_b32_e32 v15, 0x7f800001, v15, vcc_lo
; %bb.1702:                             ;   in Loop: Header=BB2_1518 Depth=4
	s_or_b32 exec_lo, exec_lo, s73
.LBB2_1703:                             ;   in Loop: Header=BB2_1518 Depth=4
	s_delay_alu instid0(SALU_CYCLE_1)
	s_or_b32 exec_lo, exec_lo, s72
.LBB2_1704:                             ;   in Loop: Header=BB2_1518 Depth=4
	s_delay_alu instid0(SALU_CYCLE_1) | instskip(NEXT) | instid1(SALU_CYCLE_1)
	s_or_b32 exec_lo, exec_lo, s13
	s_mov_b32 s13, exec_lo
	s_wait_loadcnt_dscnt 0x303
	v_cmpx_ne_u16_e32 0, v56
	s_cbranch_execz .LBB2_1714
; %bb.1705:                             ;   in Loop: Header=BB2_1518 Depth=4
	v_bfrev_b32_e32 v2, 1
	s_mov_b32 s72, exec_lo
	v_cmpx_ne_u16_e32 0xff80, v56
	s_cbranch_execz .LBB2_1713
; %bb.1706:                             ;   in Loop: Header=BB2_1518 Depth=4
	v_and_b32_e32 v2, 0x7c, v56
	v_and_b32_e32 v119, 3, v56
	s_delay_alu instid0(VALU_DEP_2) | instskip(SKIP_1) | instid1(SALU_CYCLE_1)
	v_cmp_ne_u32_e32 vcc_lo, 0x7c, v2
                                        ; implicit-def: $vgpr2
	s_and_saveexec_b32 s73, vcc_lo
	s_xor_b32 s73, exec_lo, s73
	s_cbranch_execz .LBB2_1710
; %bb.1707:                             ;   in Loop: Header=BB2_1518 Depth=4
	v_and_b32_e32 v2, 0xff, v56
	s_mov_b32 s74, exec_lo
	s_delay_alu instid0(VALU_DEP_1) | instskip(NEXT) | instid1(VALU_DEP_1)
	v_bfe_u32 v2, v2, 2, 5
	v_cmpx_eq_u32_e32 0, v2
	s_cbranch_execz .LBB2_1709
; %bb.1708:                             ;   in Loop: Header=BB2_1518 Depth=4
	v_clz_i32_u32_e32 v2, v119
	s_delay_alu instid0(VALU_DEP_1) | instskip(SKIP_1) | instid1(VALU_DEP_2)
	v_min_u32_e32 v2, 32, v2
	v_mov_b32_e32 v57, v3
	v_subrev_nc_u32_e32 v20, 29, v2
	v_sub_nc_u32_e32 v2, 30, v2
	s_delay_alu instid0(VALU_DEP_2) | instskip(NEXT) | instid1(VALU_DEP_1)
	v_lshlrev_b64_e32 v[20:21], v20, v[56:57]
	v_and_b32_e32 v119, 3, v20
.LBB2_1709:                             ;   in Loop: Header=BB2_1518 Depth=4
	s_or_b32 exec_lo, exec_lo, s74
	v_bfe_i32 v20, v56, 0, 16
                                        ; implicit-def: $vgpr56
	s_delay_alu instid0(VALU_DEP_1) | instskip(NEXT) | instid1(VALU_DEP_1)
	v_and_b32_e32 v20, 0x80000000, v20
	v_lshl_add_u32 v2, v2, 23, v20
	s_delay_alu instid0(VALU_DEP_1) | instskip(NEXT) | instid1(VALU_DEP_1)
	v_lshl_or_b32 v2, v119, 21, v2
                                        ; implicit-def: $vgpr119
	v_add_nc_u32_e32 v2, 0x38000000, v2
.LBB2_1710:                             ;   in Loop: Header=BB2_1518 Depth=4
	s_and_not1_saveexec_b32 s73, s73
; %bb.1711:                             ;   in Loop: Header=BB2_1518 Depth=4
	v_cmp_lt_i16_e32 vcc_lo, -1, v56
	v_cndmask_b32_e32 v2, 0xff800000, v109, vcc_lo
	v_cmp_eq_u32_e32 vcc_lo, 0, v119
	s_delay_alu instid0(VALU_DEP_2)
	v_cndmask_b32_e32 v2, 0x7f800001, v2, vcc_lo
; %bb.1712:                             ;   in Loop: Header=BB2_1518 Depth=4
	s_or_b32 exec_lo, exec_lo, s73
.LBB2_1713:                             ;   in Loop: Header=BB2_1518 Depth=4
	s_delay_alu instid0(SALU_CYCLE_1)
	s_or_b32 exec_lo, exec_lo, s72
.LBB2_1714:                             ;   in Loop: Header=BB2_1518 Depth=4
	s_delay_alu instid0(SALU_CYCLE_1) | instskip(NEXT) | instid1(VALU_DEP_1)
	s_or_b32 exec_lo, exec_lo, s13
	v_mul_f32_e32 v119, v15, v2
	v_mov_b32_e32 v21, v3
                                        ; implicit-def: $vgpr57
	s_mov_b32 s13, exec_lo
	s_delay_alu instid0(VALU_DEP_2) | instskip(SKIP_1) | instid1(VALU_DEP_2)
	v_and_b32_e32 v20, 0x7f800000, v119
	v_and_b32_e32 v2, 0x7fffff, v119
	v_cmpx_ne_u64_e32 0x7f800000, v[20:21]
	s_xor_b32 s72, exec_lo, s13
	s_cbranch_execz .LBB2_1732
; %bb.1715:                             ;   in Loop: Header=BB2_1518 Depth=4
	v_dual_mov_b32 v21, v3 :: v_dual_lshrrev_b32 v15, 24, v119
	v_and_b32_e32 v20, 0x7fffffff, v119
                                        ; implicit-def: $vgpr57
	s_mov_b32 s13, exec_lo
	s_delay_alu instid0(VALU_DEP_2) | instskip(NEXT) | instid1(VALU_DEP_2)
	v_and_b32_e32 v15, 0x80, v15
	v_cmpx_gt_u64_e32 0x47600001, v[20:21]
	s_xor_b32 s73, exec_lo, s13
	s_cbranch_execz .LBB2_1729
; %bb.1716:                             ;   in Loop: Header=BB2_1518 Depth=4
	v_mov_b32_e32 v57, 0
	s_mov_b32 s74, exec_lo
	v_cmpx_ne_u32_e32 0, v119
	s_cbranch_execz .LBB2_1728
; %bb.1717:                             ;   in Loop: Header=BB2_1518 Depth=4
	v_bfe_u32 v119, v119, 23, 8
	v_or_b32_e32 v43, 0x800000, v2
	s_delay_alu instid0(VALU_DEP_2) | instskip(SKIP_1) | instid1(VALU_DEP_2)
	v_sub_nc_u32_e32 v20, 0x71, v119
	v_cmp_gt_u32_e32 vcc_lo, 0x72, v119
	v_cndmask_b32_e32 v20, 0, v20, vcc_lo
	v_cmp_eq_u32_e32 vcc_lo, 0, v119
	s_delay_alu instid0(VALU_DEP_2) | instskip(NEXT) | instid1(VALU_DEP_1)
	v_cndmask_b32_e64 v41, v20, 0x70, vcc_lo
	v_dual_cndmask_b32 v2, v43, v2, vcc_lo :: v_dual_add_nc_u32 v20, 21, v41
	v_add_nc_u32_e32 v45, 20, v41
	s_delay_alu instid0(VALU_DEP_2) | instskip(NEXT) | instid1(VALU_DEP_3)
	v_lshrrev_b64 v[56:57], v41, v[2:3]
	v_lshlrev_b64_e64 v[20:21], v20, -1
	s_delay_alu instid0(VALU_DEP_3) | instskip(NEXT) | instid1(VALU_DEP_2)
	v_lshlrev_b64_e64 v[58:59], v45, 1
	v_bfi_b32 v21, v21, 0, 0
	s_delay_alu instid0(VALU_DEP_3) | instskip(NEXT) | instid1(VALU_DEP_1)
	v_bfi_b32 v20, v20, 0, v2
	v_cmp_eq_u64_e64 s13, v[20:21], v[58:59]
	v_mov_b64_e32 v[58:59], v[56:57]
	s_and_saveexec_b32 s75, s13
; %bb.1718:                             ;   in Loop: Header=BB2_1518 Depth=4
	v_bfe_u32 v2, v56, 21, 1
	s_delay_alu instid0(VALU_DEP_1) | instskip(NEXT) | instid1(VALU_DEP_1)
	v_add_nc_u64_e32 v[20:21], v[56:57], v[2:3]
	v_add_nc_u64_e32 v[58:59], -1, v[20:21]
; %bb.1719:                             ;   in Loop: Header=BB2_1518 Depth=4
	s_or_b32 exec_lo, exec_lo, s75
	v_add_nc_u32_e32 v2, 0xffffff81, v119
	v_lshrrev_b32_e32 v20, 23, v56
	s_mov_b32 s13, exec_lo
                                        ; implicit-def: $vgpr119
	s_delay_alu instid0(VALU_DEP_2) | instskip(NEXT) | instid1(VALU_DEP_1)
	v_cndmask_b32_e64 v2, v2, 0xffffff82, vcc_lo
	v_add3_u32 v41, v41, v2, v20
	v_and_b32_e32 v2, 0x1fffff, v58
	s_delay_alu instid0(VALU_DEP_1) | instskip(NEXT) | instid1(VALU_DEP_1)
	v_dual_add_nc_u32 v43, 14, v41 :: v_dual_add_nc_u32 v2, v2, v56
                                        ; implicit-def: $vgpr56_vgpr57
	v_cmpx_ne_u32_e32 0, v43
	s_xor_b32 s13, exec_lo, s13
; %bb.1720:                             ;   in Loop: Header=BB2_1518 Depth=4
	s_delay_alu instid0(VALU_DEP_2) | instskip(SKIP_1) | instid1(VALU_DEP_1)
	v_cmp_lt_u64_e32 vcc_lo, 0xffffff, v[2:3]
	v_add_nc_u32_e32 v20, 15, v41
	v_cndmask_b32_e32 v119, v43, v20, vcc_lo
	v_cndmask_b32_e64 v20, 0, 1, vcc_lo
	s_delay_alu instid0(VALU_DEP_1)
	v_lshrrev_b64 v[56:57], v20, v[2:3]
; %bb.1721:                             ;   in Loop: Header=BB2_1518 Depth=4
	s_and_not1_saveexec_b32 s13, s13
; %bb.1722:                             ;   in Loop: Header=BB2_1518 Depth=4
	v_mov_b64_e32 v[56:57], v[2:3]
	v_bfe_u32 v119, v2, 23, 1
; %bb.1723:                             ;   in Loop: Header=BB2_1518 Depth=4
	s_or_b32 exec_lo, exec_lo, s13
	s_delay_alu instid0(VALU_DEP_2) | instskip(NEXT) | instid1(VALU_DEP_2)
	v_lshrrev_b64 v[20:21], 21, v[56:57]
	v_cmp_gt_i32_e32 vcc_lo, 32, v119
	v_cmp_ne_u32_e64 s13, 0, v119
	s_delay_alu instid0(VALU_DEP_3) | instskip(NEXT) | instid1(VALU_DEP_1)
	v_dual_cndmask_b32 v57, 0, v21 :: v_dual_cndmask_b32 v56, 3, v20
	v_cmp_ne_u64_e32 vcc_lo, 0, v[56:57]
                                        ; implicit-def: $vgpr57
	s_or_b32 s13, s13, vcc_lo
	s_delay_alu instid0(SALU_CYCLE_1) | instskip(NEXT) | instid1(SALU_CYCLE_1)
	s_and_saveexec_b32 s75, s13
	s_xor_b32 s13, exec_lo, s75
; %bb.1724:                             ;   in Loop: Header=BB2_1518 Depth=4
	v_min_i32_e32 v2, 31, v119
	s_delay_alu instid0(VALU_DEP_1) | instskip(NEXT) | instid1(VALU_DEP_1)
	v_lshl_or_b32 v2, v2, 2, v15
                                        ; implicit-def: $vgpr15
	v_and_or_b32 v57, v56, 3, v2
; %bb.1725:                             ;   in Loop: Header=BB2_1518 Depth=4
	s_and_not1_saveexec_b32 s13, s13
; %bb.1726:                             ;   in Loop: Header=BB2_1518 Depth=4
	v_mov_b32_e32 v57, v15
; %bb.1727:                             ;   in Loop: Header=BB2_1518 Depth=4
	s_or_b32 exec_lo, exec_lo, s13
.LBB2_1728:                             ;   in Loop: Header=BB2_1518 Depth=4
	s_delay_alu instid0(SALU_CYCLE_1)
	s_or_b32 exec_lo, exec_lo, s74
                                        ; implicit-def: $vgpr15
.LBB2_1729:                             ;   in Loop: Header=BB2_1518 Depth=4
	s_and_not1_saveexec_b32 s13, s73
; %bb.1730:                             ;   in Loop: Header=BB2_1518 Depth=4
	v_or_b32_e32 v57, 0x7b, v15
; %bb.1731:                             ;   in Loop: Header=BB2_1518 Depth=4
	s_or_b32 exec_lo, exec_lo, s13
                                        ; implicit-def: $vgpr119
.LBB2_1732:                             ;   in Loop: Header=BB2_1518 Depth=4
	s_and_not1_saveexec_b32 s13, s72
	s_cbranch_execz .LBB2_1738
; %bb.1733:                             ;   in Loop: Header=BB2_1518 Depth=4
	s_mov_b32 s72, exec_lo
                                        ; implicit-def: $vgpr57
	v_cmpx_ne_u64_e32 0, v[2:3]
	s_xor_b32 s72, exec_lo, s72
; %bb.1734:                             ;   in Loop: Header=BB2_1518 Depth=4
	v_lshrrev_b32_e32 v2, 24, v119
                                        ; implicit-def: $vgpr119
	s_delay_alu instid0(VALU_DEP_1)
	v_or_b32_e32 v57, 0x7f, v2
; %bb.1735:                             ;   in Loop: Header=BB2_1518 Depth=4
	s_and_not1_saveexec_b32 s72, s72
; %bb.1736:                             ;   in Loop: Header=BB2_1518 Depth=4
	v_cmp_lt_i32_e32 vcc_lo, -1, v119
	v_cndmask_b32_e64 v57, -4, 0x7c, vcc_lo
; %bb.1737:                             ;   in Loop: Header=BB2_1518 Depth=4
	s_or_b32 exec_lo, exec_lo, s72
.LBB2_1738:                             ;   in Loop: Header=BB2_1518 Depth=4
	s_delay_alu instid0(SALU_CYCLE_1)
	s_or_b32 exec_lo, exec_lo, s13
	v_dual_mov_b32 v2, 0 :: v_dual_mov_b32 v15, 0
	s_mov_b32 s13, exec_lo
	v_cmpx_ne_u16_e32 0, v46
	s_cbranch_execz .LBB2_1748
; %bb.1739:                             ;   in Loop: Header=BB2_1518 Depth=4
	v_bfrev_b32_e32 v15, 1
	s_mov_b32 s72, exec_lo
	v_cmpx_ne_u16_e32 0xff80, v46
	s_cbranch_execz .LBB2_1747
; %bb.1740:                             ;   in Loop: Header=BB2_1518 Depth=4
	v_and_b32_e32 v15, 0x7c, v46
	v_and_b32_e32 v119, 3, v46
	s_delay_alu instid0(VALU_DEP_2) | instskip(SKIP_1) | instid1(SALU_CYCLE_1)
	v_cmp_ne_u32_e32 vcc_lo, 0x7c, v15
                                        ; implicit-def: $vgpr15
	s_and_saveexec_b32 s73, vcc_lo
	s_xor_b32 s73, exec_lo, s73
	s_cbranch_execz .LBB2_1744
; %bb.1741:                             ;   in Loop: Header=BB2_1518 Depth=4
	v_and_b32_e32 v15, 0xff, v46
	s_mov_b32 s74, exec_lo
	s_delay_alu instid0(VALU_DEP_1) | instskip(NEXT) | instid1(VALU_DEP_1)
	v_bfe_u32 v15, v15, 2, 5
	v_cmpx_eq_u32_e32 0, v15
	s_cbranch_execz .LBB2_1743
; %bb.1742:                             ;   in Loop: Header=BB2_1518 Depth=4
	v_clz_i32_u32_e32 v15, v119
	s_delay_alu instid0(VALU_DEP_1) | instskip(SKIP_1) | instid1(VALU_DEP_2)
	v_min_u32_e32 v15, 32, v15
	v_mov_b32_e32 v47, v3
	v_subrev_nc_u32_e32 v20, 29, v15
	v_sub_nc_u32_e32 v15, 30, v15
	s_delay_alu instid0(VALU_DEP_2) | instskip(NEXT) | instid1(VALU_DEP_1)
	v_lshlrev_b64_e32 v[20:21], v20, v[46:47]
	v_and_b32_e32 v119, 3, v20
.LBB2_1743:                             ;   in Loop: Header=BB2_1518 Depth=4
	s_or_b32 exec_lo, exec_lo, s74
	v_bfe_i32 v20, v46, 0, 16
                                        ; implicit-def: $vgpr46
	s_delay_alu instid0(VALU_DEP_1) | instskip(NEXT) | instid1(VALU_DEP_1)
	v_and_b32_e32 v20, 0x80000000, v20
	v_lshl_add_u32 v15, v15, 23, v20
	s_delay_alu instid0(VALU_DEP_1) | instskip(NEXT) | instid1(VALU_DEP_1)
	v_lshl_or_b32 v15, v119, 21, v15
                                        ; implicit-def: $vgpr119
	v_add_nc_u32_e32 v15, 0x38000000, v15
.LBB2_1744:                             ;   in Loop: Header=BB2_1518 Depth=4
	s_and_not1_saveexec_b32 s73, s73
; %bb.1745:                             ;   in Loop: Header=BB2_1518 Depth=4
	v_cmp_lt_i16_e32 vcc_lo, -1, v46
	v_cndmask_b32_e32 v15, 0xff800000, v109, vcc_lo
	v_cmp_eq_u32_e32 vcc_lo, 0, v119
	s_delay_alu instid0(VALU_DEP_2)
	v_cndmask_b32_e32 v15, 0x7f800001, v15, vcc_lo
; %bb.1746:                             ;   in Loop: Header=BB2_1518 Depth=4
	s_or_b32 exec_lo, exec_lo, s73
.LBB2_1747:                             ;   in Loop: Header=BB2_1518 Depth=4
	s_delay_alu instid0(SALU_CYCLE_1)
	s_or_b32 exec_lo, exec_lo, s72
.LBB2_1748:                             ;   in Loop: Header=BB2_1518 Depth=4
	s_delay_alu instid0(SALU_CYCLE_1) | instskip(NEXT) | instid1(SALU_CYCLE_1)
	s_or_b32 exec_lo, exec_lo, s13
	s_mov_b32 s13, exec_lo
	s_wait_loadcnt_dscnt 0x202
	v_cmpx_ne_u16_e32 0, v44
	s_cbranch_execz .LBB2_1758
; %bb.1749:                             ;   in Loop: Header=BB2_1518 Depth=4
	v_bfrev_b32_e32 v2, 1
	s_mov_b32 s72, exec_lo
	v_cmpx_ne_u16_e32 0xff80, v44
	s_cbranch_execz .LBB2_1757
; %bb.1750:                             ;   in Loop: Header=BB2_1518 Depth=4
	v_and_b32_e32 v2, 0x7c, v44
	v_and_b32_e32 v119, 3, v44
	s_delay_alu instid0(VALU_DEP_2) | instskip(SKIP_1) | instid1(SALU_CYCLE_1)
	v_cmp_ne_u32_e32 vcc_lo, 0x7c, v2
                                        ; implicit-def: $vgpr2
	s_and_saveexec_b32 s73, vcc_lo
	s_xor_b32 s73, exec_lo, s73
	s_cbranch_execz .LBB2_1754
; %bb.1751:                             ;   in Loop: Header=BB2_1518 Depth=4
	v_and_b32_e32 v2, 0xff, v44
	s_mov_b32 s74, exec_lo
	s_delay_alu instid0(VALU_DEP_1) | instskip(NEXT) | instid1(VALU_DEP_1)
	v_bfe_u32 v2, v2, 2, 5
	v_cmpx_eq_u32_e32 0, v2
	s_cbranch_execz .LBB2_1753
; %bb.1752:                             ;   in Loop: Header=BB2_1518 Depth=4
	v_clz_i32_u32_e32 v2, v119
	s_delay_alu instid0(VALU_DEP_1) | instskip(SKIP_1) | instid1(VALU_DEP_2)
	v_min_u32_e32 v2, 32, v2
	v_mov_b32_e32 v45, v3
	v_subrev_nc_u32_e32 v20, 29, v2
	v_sub_nc_u32_e32 v2, 30, v2
	s_delay_alu instid0(VALU_DEP_2) | instskip(NEXT) | instid1(VALU_DEP_1)
	v_lshlrev_b64_e32 v[20:21], v20, v[44:45]
	v_and_b32_e32 v119, 3, v20
.LBB2_1753:                             ;   in Loop: Header=BB2_1518 Depth=4
	s_or_b32 exec_lo, exec_lo, s74
	v_bfe_i32 v20, v44, 0, 16
                                        ; implicit-def: $vgpr44
	s_delay_alu instid0(VALU_DEP_1) | instskip(NEXT) | instid1(VALU_DEP_1)
	v_and_b32_e32 v20, 0x80000000, v20
	v_lshl_add_u32 v2, v2, 23, v20
	s_delay_alu instid0(VALU_DEP_1) | instskip(NEXT) | instid1(VALU_DEP_1)
	v_lshl_or_b32 v2, v119, 21, v2
                                        ; implicit-def: $vgpr119
	v_add_nc_u32_e32 v2, 0x38000000, v2
.LBB2_1754:                             ;   in Loop: Header=BB2_1518 Depth=4
	s_and_not1_saveexec_b32 s73, s73
; %bb.1755:                             ;   in Loop: Header=BB2_1518 Depth=4
	v_cmp_lt_i16_e32 vcc_lo, -1, v44
	v_cndmask_b32_e32 v2, 0xff800000, v109, vcc_lo
	v_cmp_eq_u32_e32 vcc_lo, 0, v119
	s_delay_alu instid0(VALU_DEP_2)
	v_cndmask_b32_e32 v2, 0x7f800001, v2, vcc_lo
; %bb.1756:                             ;   in Loop: Header=BB2_1518 Depth=4
	s_or_b32 exec_lo, exec_lo, s73
.LBB2_1757:                             ;   in Loop: Header=BB2_1518 Depth=4
	s_delay_alu instid0(SALU_CYCLE_1)
	s_or_b32 exec_lo, exec_lo, s72
.LBB2_1758:                             ;   in Loop: Header=BB2_1518 Depth=4
	s_delay_alu instid0(SALU_CYCLE_1) | instskip(NEXT) | instid1(VALU_DEP_1)
	s_or_b32 exec_lo, exec_lo, s13
	v_mul_f32_e32 v119, v15, v2
	v_mov_b32_e32 v21, v3
                                        ; implicit-def: $vgpr45
	s_mov_b32 s13, exec_lo
	s_delay_alu instid0(VALU_DEP_2) | instskip(SKIP_1) | instid1(VALU_DEP_2)
	v_and_b32_e32 v20, 0x7f800000, v119
	v_and_b32_e32 v2, 0x7fffff, v119
	v_cmpx_ne_u64_e32 0x7f800000, v[20:21]
	s_xor_b32 s72, exec_lo, s13
	s_cbranch_execz .LBB2_1776
; %bb.1759:                             ;   in Loop: Header=BB2_1518 Depth=4
	v_dual_mov_b32 v21, v3 :: v_dual_lshrrev_b32 v15, 24, v119
	v_and_b32_e32 v20, 0x7fffffff, v119
                                        ; implicit-def: $vgpr45
	s_mov_b32 s13, exec_lo
	s_delay_alu instid0(VALU_DEP_2) | instskip(NEXT) | instid1(VALU_DEP_2)
	v_and_b32_e32 v15, 0x80, v15
	v_cmpx_gt_u64_e32 0x47600001, v[20:21]
	s_xor_b32 s73, exec_lo, s13
	s_cbranch_execz .LBB2_1773
; %bb.1760:                             ;   in Loop: Header=BB2_1518 Depth=4
	v_mov_b32_e32 v45, 0
	s_mov_b32 s74, exec_lo
	v_cmpx_ne_u32_e32 0, v119
	s_cbranch_execz .LBB2_1772
; %bb.1761:                             ;   in Loop: Header=BB2_1518 Depth=4
	v_bfe_u32 v119, v119, 23, 8
	v_or_b32_e32 v43, 0x800000, v2
	s_delay_alu instid0(VALU_DEP_2) | instskip(SKIP_1) | instid1(VALU_DEP_2)
	v_sub_nc_u32_e32 v20, 0x71, v119
	v_cmp_gt_u32_e32 vcc_lo, 0x72, v119
	v_cndmask_b32_e32 v20, 0, v20, vcc_lo
	v_cmp_eq_u32_e32 vcc_lo, 0, v119
	s_delay_alu instid0(VALU_DEP_2) | instskip(NEXT) | instid1(VALU_DEP_1)
	v_cndmask_b32_e64 v41, v20, 0x70, vcc_lo
	v_dual_cndmask_b32 v2, v43, v2, vcc_lo :: v_dual_add_nc_u32 v20, 21, v41
	v_add_nc_u32_e32 v44, 20, v41
	s_delay_alu instid0(VALU_DEP_2) | instskip(NEXT) | instid1(VALU_DEP_2)
	v_lshlrev_b64_e64 v[20:21], v20, -1
	v_lshlrev_b64_e64 v[46:47], v44, 1
	s_delay_alu instid0(VALU_DEP_4) | instskip(NEXT) | instid1(VALU_DEP_3)
	v_lshrrev_b64 v[44:45], v41, v[2:3]
	v_bfi_b32 v21, v21, 0, 0
	s_delay_alu instid0(VALU_DEP_4) | instskip(NEXT) | instid1(VALU_DEP_1)
	v_bfi_b32 v20, v20, 0, v2
	v_cmp_eq_u64_e64 s13, v[20:21], v[46:47]
	s_delay_alu instid0(VALU_DEP_4)
	v_mov_b64_e32 v[46:47], v[44:45]
	s_and_saveexec_b32 s75, s13
; %bb.1762:                             ;   in Loop: Header=BB2_1518 Depth=4
	v_bfe_u32 v2, v44, 21, 1
	s_delay_alu instid0(VALU_DEP_1) | instskip(NEXT) | instid1(VALU_DEP_1)
	v_add_nc_u64_e32 v[20:21], v[44:45], v[2:3]
	v_add_nc_u64_e32 v[46:47], -1, v[20:21]
; %bb.1763:                             ;   in Loop: Header=BB2_1518 Depth=4
	s_or_b32 exec_lo, exec_lo, s75
	v_add_nc_u32_e32 v2, 0xffffff81, v119
	v_lshrrev_b32_e32 v20, 23, v44
	s_mov_b32 s13, exec_lo
                                        ; implicit-def: $vgpr119
	s_delay_alu instid0(VALU_DEP_2) | instskip(NEXT) | instid1(VALU_DEP_1)
	v_cndmask_b32_e64 v2, v2, 0xffffff82, vcc_lo
	v_add3_u32 v41, v41, v2, v20
	v_and_b32_e32 v2, 0x1fffff, v46
	s_delay_alu instid0(VALU_DEP_1) | instskip(NEXT) | instid1(VALU_DEP_1)
	v_dual_add_nc_u32 v43, 14, v41 :: v_dual_add_nc_u32 v2, v2, v44
                                        ; implicit-def: $vgpr44_vgpr45
	v_cmpx_ne_u32_e32 0, v43
	s_xor_b32 s13, exec_lo, s13
; %bb.1764:                             ;   in Loop: Header=BB2_1518 Depth=4
	s_delay_alu instid0(VALU_DEP_2) | instskip(SKIP_1) | instid1(VALU_DEP_1)
	v_cmp_lt_u64_e32 vcc_lo, 0xffffff, v[2:3]
	v_add_nc_u32_e32 v20, 15, v41
	v_cndmask_b32_e32 v119, v43, v20, vcc_lo
	v_cndmask_b32_e64 v20, 0, 1, vcc_lo
	s_delay_alu instid0(VALU_DEP_1)
	v_lshrrev_b64 v[44:45], v20, v[2:3]
; %bb.1765:                             ;   in Loop: Header=BB2_1518 Depth=4
	s_and_not1_saveexec_b32 s13, s13
; %bb.1766:                             ;   in Loop: Header=BB2_1518 Depth=4
	v_mov_b64_e32 v[44:45], v[2:3]
	v_bfe_u32 v119, v2, 23, 1
; %bb.1767:                             ;   in Loop: Header=BB2_1518 Depth=4
	s_or_b32 exec_lo, exec_lo, s13
	s_delay_alu instid0(VALU_DEP_2) | instskip(NEXT) | instid1(VALU_DEP_2)
	v_lshrrev_b64 v[20:21], 21, v[44:45]
	v_cmp_gt_i32_e32 vcc_lo, 32, v119
	v_cmp_ne_u32_e64 s13, 0, v119
	s_delay_alu instid0(VALU_DEP_3) | instskip(NEXT) | instid1(VALU_DEP_1)
	v_dual_cndmask_b32 v45, 0, v21 :: v_dual_cndmask_b32 v44, 3, v20
	v_cmp_ne_u64_e32 vcc_lo, 0, v[44:45]
                                        ; implicit-def: $vgpr45
	s_or_b32 s13, s13, vcc_lo
	s_delay_alu instid0(SALU_CYCLE_1) | instskip(NEXT) | instid1(SALU_CYCLE_1)
	s_and_saveexec_b32 s75, s13
	s_xor_b32 s13, exec_lo, s75
; %bb.1768:                             ;   in Loop: Header=BB2_1518 Depth=4
	v_min_i32_e32 v2, 31, v119
	s_delay_alu instid0(VALU_DEP_1) | instskip(NEXT) | instid1(VALU_DEP_1)
	v_lshl_or_b32 v2, v2, 2, v15
                                        ; implicit-def: $vgpr15
	v_and_or_b32 v45, v44, 3, v2
; %bb.1769:                             ;   in Loop: Header=BB2_1518 Depth=4
	s_and_not1_saveexec_b32 s13, s13
; %bb.1770:                             ;   in Loop: Header=BB2_1518 Depth=4
	v_mov_b32_e32 v45, v15
; %bb.1771:                             ;   in Loop: Header=BB2_1518 Depth=4
	s_or_b32 exec_lo, exec_lo, s13
.LBB2_1772:                             ;   in Loop: Header=BB2_1518 Depth=4
	s_delay_alu instid0(SALU_CYCLE_1)
	s_or_b32 exec_lo, exec_lo, s74
                                        ; implicit-def: $vgpr15
.LBB2_1773:                             ;   in Loop: Header=BB2_1518 Depth=4
	s_and_not1_saveexec_b32 s13, s73
; %bb.1774:                             ;   in Loop: Header=BB2_1518 Depth=4
	v_or_b32_e32 v45, 0x7b, v15
; %bb.1775:                             ;   in Loop: Header=BB2_1518 Depth=4
	s_or_b32 exec_lo, exec_lo, s13
                                        ; implicit-def: $vgpr119
.LBB2_1776:                             ;   in Loop: Header=BB2_1518 Depth=4
	s_and_not1_saveexec_b32 s13, s72
	s_cbranch_execz .LBB2_1782
; %bb.1777:                             ;   in Loop: Header=BB2_1518 Depth=4
	s_mov_b32 s72, exec_lo
                                        ; implicit-def: $vgpr45
	v_cmpx_ne_u64_e32 0, v[2:3]
	s_xor_b32 s72, exec_lo, s72
; %bb.1778:                             ;   in Loop: Header=BB2_1518 Depth=4
	v_lshrrev_b32_e32 v2, 24, v119
                                        ; implicit-def: $vgpr119
	s_delay_alu instid0(VALU_DEP_1)
	v_or_b32_e32 v45, 0x7f, v2
; %bb.1779:                             ;   in Loop: Header=BB2_1518 Depth=4
	s_and_not1_saveexec_b32 s72, s72
; %bb.1780:                             ;   in Loop: Header=BB2_1518 Depth=4
	v_cmp_lt_i32_e32 vcc_lo, -1, v119
	v_cndmask_b32_e64 v45, -4, 0x7c, vcc_lo
; %bb.1781:                             ;   in Loop: Header=BB2_1518 Depth=4
	s_or_b32 exec_lo, exec_lo, s72
.LBB2_1782:                             ;   in Loop: Header=BB2_1518 Depth=4
	s_delay_alu instid0(SALU_CYCLE_1)
	s_or_b32 exec_lo, exec_lo, s13
	v_dual_mov_b32 v2, 0 :: v_dual_mov_b32 v15, 0
	s_mov_b32 s13, exec_lo
	v_cmpx_ne_u16_e32 0, v42
	s_cbranch_execz .LBB2_1792
; %bb.1783:                             ;   in Loop: Header=BB2_1518 Depth=4
	v_bfrev_b32_e32 v15, 1
	s_mov_b32 s72, exec_lo
	v_cmpx_ne_u16_e32 0xff80, v42
	s_cbranch_execz .LBB2_1791
; %bb.1784:                             ;   in Loop: Header=BB2_1518 Depth=4
	v_and_b32_e32 v15, 0x7c, v42
	v_and_b32_e32 v119, 3, v42
	s_delay_alu instid0(VALU_DEP_2) | instskip(SKIP_1) | instid1(SALU_CYCLE_1)
	v_cmp_ne_u32_e32 vcc_lo, 0x7c, v15
                                        ; implicit-def: $vgpr15
	s_and_saveexec_b32 s73, vcc_lo
	s_xor_b32 s73, exec_lo, s73
	s_cbranch_execz .LBB2_1788
; %bb.1785:                             ;   in Loop: Header=BB2_1518 Depth=4
	v_and_b32_e32 v15, 0xff, v42
	s_mov_b32 s74, exec_lo
	s_delay_alu instid0(VALU_DEP_1) | instskip(NEXT) | instid1(VALU_DEP_1)
	v_bfe_u32 v15, v15, 2, 5
	v_cmpx_eq_u32_e32 0, v15
	s_cbranch_execz .LBB2_1787
; %bb.1786:                             ;   in Loop: Header=BB2_1518 Depth=4
	v_clz_i32_u32_e32 v15, v119
	s_delay_alu instid0(VALU_DEP_1) | instskip(SKIP_1) | instid1(VALU_DEP_2)
	v_min_u32_e32 v15, 32, v15
	v_mov_b32_e32 v43, v3
	v_subrev_nc_u32_e32 v20, 29, v15
	v_sub_nc_u32_e32 v15, 30, v15
	s_delay_alu instid0(VALU_DEP_2) | instskip(NEXT) | instid1(VALU_DEP_1)
	v_lshlrev_b64_e32 v[20:21], v20, v[42:43]
	v_and_b32_e32 v119, 3, v20
.LBB2_1787:                             ;   in Loop: Header=BB2_1518 Depth=4
	s_or_b32 exec_lo, exec_lo, s74
	v_bfe_i32 v20, v42, 0, 16
                                        ; implicit-def: $vgpr42
	s_delay_alu instid0(VALU_DEP_1) | instskip(NEXT) | instid1(VALU_DEP_1)
	v_and_b32_e32 v20, 0x80000000, v20
	v_lshl_add_u32 v15, v15, 23, v20
	s_delay_alu instid0(VALU_DEP_1) | instskip(NEXT) | instid1(VALU_DEP_1)
	v_lshl_or_b32 v15, v119, 21, v15
                                        ; implicit-def: $vgpr119
	v_add_nc_u32_e32 v15, 0x38000000, v15
.LBB2_1788:                             ;   in Loop: Header=BB2_1518 Depth=4
	s_and_not1_saveexec_b32 s73, s73
; %bb.1789:                             ;   in Loop: Header=BB2_1518 Depth=4
	v_cmp_lt_i16_e32 vcc_lo, -1, v42
	v_cndmask_b32_e32 v15, 0xff800000, v109, vcc_lo
	v_cmp_eq_u32_e32 vcc_lo, 0, v119
	s_delay_alu instid0(VALU_DEP_2)
	v_cndmask_b32_e32 v15, 0x7f800001, v15, vcc_lo
; %bb.1790:                             ;   in Loop: Header=BB2_1518 Depth=4
	s_or_b32 exec_lo, exec_lo, s73
.LBB2_1791:                             ;   in Loop: Header=BB2_1518 Depth=4
	s_delay_alu instid0(SALU_CYCLE_1)
	s_or_b32 exec_lo, exec_lo, s72
.LBB2_1792:                             ;   in Loop: Header=BB2_1518 Depth=4
	s_delay_alu instid0(SALU_CYCLE_1) | instskip(NEXT) | instid1(SALU_CYCLE_1)
	s_or_b32 exec_lo, exec_lo, s13
	s_mov_b32 s13, exec_lo
	s_wait_loadcnt_dscnt 0x101
	v_cmpx_ne_u16_e32 0, v40
	s_cbranch_execz .LBB2_1802
; %bb.1793:                             ;   in Loop: Header=BB2_1518 Depth=4
	v_bfrev_b32_e32 v2, 1
	s_mov_b32 s72, exec_lo
	v_cmpx_ne_u16_e32 0xff80, v40
	s_cbranch_execz .LBB2_1801
; %bb.1794:                             ;   in Loop: Header=BB2_1518 Depth=4
	v_and_b32_e32 v2, 0x7c, v40
	v_and_b32_e32 v119, 3, v40
	s_delay_alu instid0(VALU_DEP_2) | instskip(SKIP_1) | instid1(SALU_CYCLE_1)
	v_cmp_ne_u32_e32 vcc_lo, 0x7c, v2
                                        ; implicit-def: $vgpr2
	s_and_saveexec_b32 s73, vcc_lo
	s_xor_b32 s73, exec_lo, s73
	s_cbranch_execz .LBB2_1798
; %bb.1795:                             ;   in Loop: Header=BB2_1518 Depth=4
	v_and_b32_e32 v2, 0xff, v40
	s_mov_b32 s74, exec_lo
	s_delay_alu instid0(VALU_DEP_1) | instskip(NEXT) | instid1(VALU_DEP_1)
	v_bfe_u32 v2, v2, 2, 5
	v_cmpx_eq_u32_e32 0, v2
	s_cbranch_execz .LBB2_1797
; %bb.1796:                             ;   in Loop: Header=BB2_1518 Depth=4
	v_clz_i32_u32_e32 v2, v119
	s_delay_alu instid0(VALU_DEP_1) | instskip(SKIP_1) | instid1(VALU_DEP_2)
	v_min_u32_e32 v2, 32, v2
	v_mov_b32_e32 v41, v3
	v_subrev_nc_u32_e32 v20, 29, v2
	v_sub_nc_u32_e32 v2, 30, v2
	s_delay_alu instid0(VALU_DEP_2) | instskip(NEXT) | instid1(VALU_DEP_1)
	v_lshlrev_b64_e32 v[20:21], v20, v[40:41]
	v_and_b32_e32 v119, 3, v20
.LBB2_1797:                             ;   in Loop: Header=BB2_1518 Depth=4
	s_or_b32 exec_lo, exec_lo, s74
	v_bfe_i32 v20, v40, 0, 16
                                        ; implicit-def: $vgpr40
	s_delay_alu instid0(VALU_DEP_1) | instskip(NEXT) | instid1(VALU_DEP_1)
	v_and_b32_e32 v20, 0x80000000, v20
	v_lshl_add_u32 v2, v2, 23, v20
	s_delay_alu instid0(VALU_DEP_1) | instskip(NEXT) | instid1(VALU_DEP_1)
	v_lshl_or_b32 v2, v119, 21, v2
                                        ; implicit-def: $vgpr119
	v_add_nc_u32_e32 v2, 0x38000000, v2
.LBB2_1798:                             ;   in Loop: Header=BB2_1518 Depth=4
	s_and_not1_saveexec_b32 s73, s73
; %bb.1799:                             ;   in Loop: Header=BB2_1518 Depth=4
	v_cmp_lt_i16_e32 vcc_lo, -1, v40
	v_cndmask_b32_e32 v2, 0xff800000, v109, vcc_lo
	v_cmp_eq_u32_e32 vcc_lo, 0, v119
	s_delay_alu instid0(VALU_DEP_2)
	v_cndmask_b32_e32 v2, 0x7f800001, v2, vcc_lo
; %bb.1800:                             ;   in Loop: Header=BB2_1518 Depth=4
	s_or_b32 exec_lo, exec_lo, s73
.LBB2_1801:                             ;   in Loop: Header=BB2_1518 Depth=4
	s_delay_alu instid0(SALU_CYCLE_1)
	s_or_b32 exec_lo, exec_lo, s72
.LBB2_1802:                             ;   in Loop: Header=BB2_1518 Depth=4
	s_delay_alu instid0(SALU_CYCLE_1) | instskip(NEXT) | instid1(VALU_DEP_1)
	s_or_b32 exec_lo, exec_lo, s13
	v_mul_f32_e32 v119, v15, v2
	v_mov_b32_e32 v21, v3
                                        ; implicit-def: $vgpr41
	s_mov_b32 s13, exec_lo
	s_delay_alu instid0(VALU_DEP_2) | instskip(SKIP_1) | instid1(VALU_DEP_2)
	v_and_b32_e32 v20, 0x7f800000, v119
	v_and_b32_e32 v2, 0x7fffff, v119
	v_cmpx_ne_u64_e32 0x7f800000, v[20:21]
	s_xor_b32 s72, exec_lo, s13
	s_cbranch_execz .LBB2_1820
; %bb.1803:                             ;   in Loop: Header=BB2_1518 Depth=4
	v_dual_mov_b32 v21, v3 :: v_dual_lshrrev_b32 v15, 24, v119
	v_and_b32_e32 v20, 0x7fffffff, v119
                                        ; implicit-def: $vgpr41
	s_mov_b32 s13, exec_lo
	s_delay_alu instid0(VALU_DEP_2) | instskip(NEXT) | instid1(VALU_DEP_2)
	v_and_b32_e32 v15, 0x80, v15
	v_cmpx_gt_u64_e32 0x47600001, v[20:21]
	s_xor_b32 s73, exec_lo, s13
	s_cbranch_execz .LBB2_1817
; %bb.1804:                             ;   in Loop: Header=BB2_1518 Depth=4
	v_mov_b32_e32 v41, 0
	s_mov_b32 s74, exec_lo
	v_cmpx_ne_u32_e32 0, v119
	s_cbranch_execz .LBB2_1816
; %bb.1805:                             ;   in Loop: Header=BB2_1518 Depth=4
	v_bfe_u32 v119, v119, 23, 8
	v_or_b32_e32 v40, 0x800000, v2
	s_delay_alu instid0(VALU_DEP_2) | instskip(SKIP_1) | instid1(VALU_DEP_2)
	v_sub_nc_u32_e32 v20, 0x71, v119
	v_cmp_gt_u32_e32 vcc_lo, 0x72, v119
	v_cndmask_b32_e32 v20, 0, v20, vcc_lo
	v_cmp_eq_u32_e32 vcc_lo, 0, v119
	v_cndmask_b32_e32 v2, v40, v2, vcc_lo
	s_delay_alu instid0(VALU_DEP_3) | instskip(NEXT) | instid1(VALU_DEP_1)
	v_cndmask_b32_e64 v44, v20, 0x70, vcc_lo
	v_dual_add_nc_u32 v20, 21, v44 :: v_dual_add_nc_u32 v41, 20, v44
	s_delay_alu instid0(VALU_DEP_1) | instskip(NEXT) | instid1(VALU_DEP_2)
	v_lshlrev_b64_e64 v[20:21], v20, -1
	v_lshlrev_b64_e64 v[42:43], v41, 1
	v_lshrrev_b64 v[40:41], v44, v[2:3]
	s_delay_alu instid0(VALU_DEP_3) | instskip(NEXT) | instid1(VALU_DEP_4)
	v_bfi_b32 v21, v21, 0, 0
	v_bfi_b32 v20, v20, 0, v2
	s_delay_alu instid0(VALU_DEP_1) | instskip(NEXT) | instid1(VALU_DEP_4)
	v_cmp_eq_u64_e64 s13, v[20:21], v[42:43]
	v_mov_b64_e32 v[42:43], v[40:41]
	s_and_saveexec_b32 s75, s13
; %bb.1806:                             ;   in Loop: Header=BB2_1518 Depth=4
	v_bfe_u32 v2, v40, 21, 1
	s_delay_alu instid0(VALU_DEP_1) | instskip(NEXT) | instid1(VALU_DEP_1)
	v_add_nc_u64_e32 v[20:21], v[40:41], v[2:3]
	v_add_nc_u64_e32 v[42:43], -1, v[20:21]
; %bb.1807:                             ;   in Loop: Header=BB2_1518 Depth=4
	s_or_b32 exec_lo, exec_lo, s75
	v_add_nc_u32_e32 v2, 0xffffff81, v119
	v_lshrrev_b32_e32 v20, 23, v40
	s_mov_b32 s13, exec_lo
                                        ; implicit-def: $vgpr119
	s_delay_alu instid0(VALU_DEP_2) | instskip(NEXT) | instid1(VALU_DEP_1)
	v_cndmask_b32_e64 v2, v2, 0xffffff82, vcc_lo
	v_add3_u32 v43, v44, v2, v20
	v_and_b32_e32 v2, 0x1fffff, v42
	s_delay_alu instid0(VALU_DEP_1) | instskip(NEXT) | instid1(VALU_DEP_1)
	v_dual_add_nc_u32 v42, 14, v43 :: v_dual_add_nc_u32 v2, v2, v40
                                        ; implicit-def: $vgpr40_vgpr41
	v_cmpx_ne_u32_e32 0, v42
	s_xor_b32 s13, exec_lo, s13
; %bb.1808:                             ;   in Loop: Header=BB2_1518 Depth=4
	s_delay_alu instid0(VALU_DEP_2) | instskip(SKIP_1) | instid1(VALU_DEP_1)
	v_cmp_lt_u64_e32 vcc_lo, 0xffffff, v[2:3]
	v_add_nc_u32_e32 v20, 15, v43
	v_cndmask_b32_e32 v119, v42, v20, vcc_lo
	v_cndmask_b32_e64 v20, 0, 1, vcc_lo
	s_delay_alu instid0(VALU_DEP_1)
	v_lshrrev_b64 v[40:41], v20, v[2:3]
; %bb.1809:                             ;   in Loop: Header=BB2_1518 Depth=4
	s_and_not1_saveexec_b32 s13, s13
; %bb.1810:                             ;   in Loop: Header=BB2_1518 Depth=4
	v_mov_b64_e32 v[40:41], v[2:3]
	v_bfe_u32 v119, v2, 23, 1
; %bb.1811:                             ;   in Loop: Header=BB2_1518 Depth=4
	s_or_b32 exec_lo, exec_lo, s13
	s_delay_alu instid0(VALU_DEP_2) | instskip(NEXT) | instid1(VALU_DEP_2)
	v_lshrrev_b64 v[20:21], 21, v[40:41]
	v_cmp_gt_i32_e32 vcc_lo, 32, v119
	v_cmp_ne_u32_e64 s13, 0, v119
	s_delay_alu instid0(VALU_DEP_3) | instskip(NEXT) | instid1(VALU_DEP_1)
	v_dual_cndmask_b32 v41, 0, v21 :: v_dual_cndmask_b32 v40, 3, v20
	v_cmp_ne_u64_e32 vcc_lo, 0, v[40:41]
                                        ; implicit-def: $vgpr41
	s_or_b32 s13, s13, vcc_lo
	s_delay_alu instid0(SALU_CYCLE_1) | instskip(NEXT) | instid1(SALU_CYCLE_1)
	s_and_saveexec_b32 s75, s13
	s_xor_b32 s13, exec_lo, s75
; %bb.1812:                             ;   in Loop: Header=BB2_1518 Depth=4
	v_min_i32_e32 v2, 31, v119
	s_delay_alu instid0(VALU_DEP_1) | instskip(NEXT) | instid1(VALU_DEP_1)
	v_lshl_or_b32 v2, v2, 2, v15
                                        ; implicit-def: $vgpr15
	v_and_or_b32 v41, v40, 3, v2
; %bb.1813:                             ;   in Loop: Header=BB2_1518 Depth=4
	s_and_not1_saveexec_b32 s13, s13
; %bb.1814:                             ;   in Loop: Header=BB2_1518 Depth=4
	v_mov_b32_e32 v41, v15
; %bb.1815:                             ;   in Loop: Header=BB2_1518 Depth=4
	s_or_b32 exec_lo, exec_lo, s13
.LBB2_1816:                             ;   in Loop: Header=BB2_1518 Depth=4
	s_delay_alu instid0(SALU_CYCLE_1)
	s_or_b32 exec_lo, exec_lo, s74
                                        ; implicit-def: $vgpr15
.LBB2_1817:                             ;   in Loop: Header=BB2_1518 Depth=4
	s_and_not1_saveexec_b32 s13, s73
; %bb.1818:                             ;   in Loop: Header=BB2_1518 Depth=4
	v_or_b32_e32 v41, 0x7b, v15
; %bb.1819:                             ;   in Loop: Header=BB2_1518 Depth=4
	s_or_b32 exec_lo, exec_lo, s13
                                        ; implicit-def: $vgpr119
.LBB2_1820:                             ;   in Loop: Header=BB2_1518 Depth=4
	s_and_not1_saveexec_b32 s13, s72
	s_cbranch_execz .LBB2_1826
; %bb.1821:                             ;   in Loop: Header=BB2_1518 Depth=4
	s_mov_b32 s72, exec_lo
                                        ; implicit-def: $vgpr41
	v_cmpx_ne_u64_e32 0, v[2:3]
	s_xor_b32 s72, exec_lo, s72
; %bb.1822:                             ;   in Loop: Header=BB2_1518 Depth=4
	v_lshrrev_b32_e32 v2, 24, v119
                                        ; implicit-def: $vgpr119
	s_delay_alu instid0(VALU_DEP_1)
	v_or_b32_e32 v41, 0x7f, v2
; %bb.1823:                             ;   in Loop: Header=BB2_1518 Depth=4
	s_and_not1_saveexec_b32 s72, s72
; %bb.1824:                             ;   in Loop: Header=BB2_1518 Depth=4
	v_cmp_lt_i32_e32 vcc_lo, -1, v119
	v_cndmask_b32_e64 v41, -4, 0x7c, vcc_lo
; %bb.1825:                             ;   in Loop: Header=BB2_1518 Depth=4
	s_or_b32 exec_lo, exec_lo, s72
.LBB2_1826:                             ;   in Loop: Header=BB2_1518 Depth=4
	s_delay_alu instid0(SALU_CYCLE_1)
	s_or_b32 exec_lo, exec_lo, s13
	v_dual_mov_b32 v2, 0 :: v_dual_mov_b32 v119, 0
	s_mov_b32 s13, exec_lo
	v_cmpx_ne_u16_e32 0, v118
	s_cbranch_execz .LBB2_1836
; %bb.1827:                             ;   in Loop: Header=BB2_1518 Depth=4
	v_bfrev_b32_e32 v119, 1
	s_mov_b32 s72, exec_lo
	v_cmpx_ne_u16_e32 0xff80, v118
	s_cbranch_execz .LBB2_1835
; %bb.1828:                             ;   in Loop: Header=BB2_1518 Depth=4
	v_and_b32_e32 v20, 0x7c, v118
	v_and_b32_e32 v15, 3, v118
	s_mov_b32 s73, exec_lo
                                        ; implicit-def: $vgpr119
	s_delay_alu instid0(VALU_DEP_2)
	v_cmpx_ne_u32_e32 0x7c, v20
	s_xor_b32 s73, exec_lo, s73
	s_cbranch_execz .LBB2_1832
; %bb.1829:                             ;   in Loop: Header=BB2_1518 Depth=4
	v_and_b32_e32 v20, 0xff, v118
	s_mov_b32 s74, exec_lo
	s_delay_alu instid0(VALU_DEP_1) | instskip(NEXT) | instid1(VALU_DEP_1)
	v_bfe_u32 v119, v20, 2, 5
	v_cmpx_eq_u32_e32 0, v119
; %bb.1830:                             ;   in Loop: Header=BB2_1518 Depth=4
	v_clz_i32_u32_e32 v15, v15
	v_mov_b32_e32 v119, v3
	s_delay_alu instid0(VALU_DEP_2) | instskip(NEXT) | instid1(VALU_DEP_1)
	v_min_u32_e32 v15, 32, v15
	v_subrev_nc_u32_e32 v20, 29, v15
	s_delay_alu instid0(VALU_DEP_1) | instskip(NEXT) | instid1(VALU_DEP_1)
	v_lshlrev_b64_e32 v[20:21], v20, v[118:119]
	v_dual_sub_nc_u32 v119, 30, v15 :: v_dual_bitop2_b32 v15, 3, v20 bitop3:0x40
; %bb.1831:                             ;   in Loop: Header=BB2_1518 Depth=4
	s_or_b32 exec_lo, exec_lo, s74
	v_bfe_i32 v20, v118, 0, 16
                                        ; implicit-def: $vgpr118
	s_delay_alu instid0(VALU_DEP_1) | instskip(NEXT) | instid1(VALU_DEP_1)
	v_and_b32_e32 v20, 0x80000000, v20
	v_lshl_add_u32 v20, v119, 23, v20
	s_delay_alu instid0(VALU_DEP_1) | instskip(NEXT) | instid1(VALU_DEP_1)
	v_lshl_or_b32 v15, v15, 21, v20
	v_add_nc_u32_e32 v119, 0x38000000, v15
                                        ; implicit-def: $vgpr15
.LBB2_1832:                             ;   in Loop: Header=BB2_1518 Depth=4
	s_and_not1_saveexec_b32 s73, s73
; %bb.1833:                             ;   in Loop: Header=BB2_1518 Depth=4
	v_cmp_lt_i16_e32 vcc_lo, -1, v118
	v_cndmask_b32_e32 v20, 0xff800000, v109, vcc_lo
	v_cmp_eq_u32_e32 vcc_lo, 0, v15
	s_delay_alu instid0(VALU_DEP_2)
	v_cndmask_b32_e32 v119, 0x7f800001, v20, vcc_lo
; %bb.1834:                             ;   in Loop: Header=BB2_1518 Depth=4
	s_or_b32 exec_lo, exec_lo, s73
.LBB2_1835:                             ;   in Loop: Header=BB2_1518 Depth=4
	s_delay_alu instid0(SALU_CYCLE_1)
	s_or_b32 exec_lo, exec_lo, s72
.LBB2_1836:                             ;   in Loop: Header=BB2_1518 Depth=4
	s_delay_alu instid0(SALU_CYCLE_1) | instskip(NEXT) | instid1(SALU_CYCLE_1)
	s_or_b32 exec_lo, exec_lo, s13
	s_mov_b32 s13, exec_lo
	s_wait_loadcnt_dscnt 0x0
	v_cmpx_ne_u16_e32 0, v14
	s_cbranch_execz .LBB2_1846
; %bb.1837:                             ;   in Loop: Header=BB2_1518 Depth=4
	v_bfrev_b32_e32 v2, 1
	s_mov_b32 s72, exec_lo
	v_cmpx_ne_u16_e32 0xff80, v14
	s_cbranch_execz .LBB2_1845
; %bb.1838:                             ;   in Loop: Header=BB2_1518 Depth=4
	v_and_b32_e32 v2, 0x7c, v14
	v_and_b32_e32 v15, 3, v14
	s_delay_alu instid0(VALU_DEP_2) | instskip(SKIP_1) | instid1(SALU_CYCLE_1)
	v_cmp_ne_u32_e32 vcc_lo, 0x7c, v2
                                        ; implicit-def: $vgpr2
	s_and_saveexec_b32 s73, vcc_lo
	s_xor_b32 s73, exec_lo, s73
	s_cbranch_execz .LBB2_1842
; %bb.1839:                             ;   in Loop: Header=BB2_1518 Depth=4
	v_and_b32_e32 v2, 0xff, v14
	s_mov_b32 s74, exec_lo
	s_delay_alu instid0(VALU_DEP_1) | instskip(NEXT) | instid1(VALU_DEP_1)
	v_bfe_u32 v2, v2, 2, 5
	v_cmpx_eq_u32_e32 0, v2
	s_cbranch_execz .LBB2_1841
; %bb.1840:                             ;   in Loop: Header=BB2_1518 Depth=4
	v_clz_i32_u32_e32 v2, v15
	s_delay_alu instid0(VALU_DEP_1) | instskip(SKIP_1) | instid1(VALU_DEP_2)
	v_min_u32_e32 v2, 32, v2
	v_mov_b32_e32 v15, v3
	v_subrev_nc_u32_e32 v20, 29, v2
	v_sub_nc_u32_e32 v2, 30, v2
	s_delay_alu instid0(VALU_DEP_2) | instskip(NEXT) | instid1(VALU_DEP_1)
	v_lshlrev_b64_e32 v[20:21], v20, v[14:15]
	v_and_b32_e32 v15, 3, v20
.LBB2_1841:                             ;   in Loop: Header=BB2_1518 Depth=4
	s_or_b32 exec_lo, exec_lo, s74
	v_bfe_i32 v14, v14, 0, 16
	s_delay_alu instid0(VALU_DEP_1) | instskip(NEXT) | instid1(VALU_DEP_1)
	v_and_b32_e32 v14, 0x80000000, v14
	v_lshl_add_u32 v2, v2, 23, v14
                                        ; implicit-def: $vgpr14
	s_delay_alu instid0(VALU_DEP_1) | instskip(NEXT) | instid1(VALU_DEP_1)
	v_lshl_or_b32 v2, v15, 21, v2
                                        ; implicit-def: $vgpr15
	v_add_nc_u32_e32 v2, 0x38000000, v2
.LBB2_1842:                             ;   in Loop: Header=BB2_1518 Depth=4
	s_and_not1_saveexec_b32 s73, s73
; %bb.1843:                             ;   in Loop: Header=BB2_1518 Depth=4
	v_cmp_lt_i16_e32 vcc_lo, -1, v14
	v_cndmask_b32_e32 v2, 0xff800000, v109, vcc_lo
	v_cmp_eq_u32_e32 vcc_lo, 0, v15
	s_delay_alu instid0(VALU_DEP_2)
	v_cndmask_b32_e32 v2, 0x7f800001, v2, vcc_lo
; %bb.1844:                             ;   in Loop: Header=BB2_1518 Depth=4
	s_or_b32 exec_lo, exec_lo, s73
.LBB2_1845:                             ;   in Loop: Header=BB2_1518 Depth=4
	s_delay_alu instid0(SALU_CYCLE_1)
	s_or_b32 exec_lo, exec_lo, s72
.LBB2_1846:                             ;   in Loop: Header=BB2_1518 Depth=4
	s_delay_alu instid0(SALU_CYCLE_1) | instskip(NEXT) | instid1(VALU_DEP_1)
	s_or_b32 exec_lo, exec_lo, s13
	v_mul_f32_e32 v14, v119, v2
	v_mov_b32_e32 v21, v3
                                        ; implicit-def: $vgpr15
	s_mov_b32 s13, exec_lo
	s_delay_alu instid0(VALU_DEP_2) | instskip(SKIP_1) | instid1(VALU_DEP_2)
	v_and_b32_e32 v20, 0x7f800000, v14
	v_and_b32_e32 v2, 0x7fffff, v14
	v_cmpx_ne_u64_e32 0x7f800000, v[20:21]
	s_xor_b32 s72, exec_lo, s13
	s_cbranch_execz .LBB2_1864
; %bb.1847:                             ;   in Loop: Header=BB2_1518 Depth=4
	v_dual_mov_b32 v21, v3 :: v_dual_lshrrev_b32 v15, 24, v14
	v_and_b32_e32 v20, 0x7fffffff, v14
	s_mov_b32 s13, exec_lo
	s_delay_alu instid0(VALU_DEP_2) | instskip(NEXT) | instid1(VALU_DEP_2)
	v_and_b32_e32 v40, 0x80, v15
                                        ; implicit-def: $vgpr15
	v_cmpx_gt_u64_e32 0x47600001, v[20:21]
	s_xor_b32 s73, exec_lo, s13
	s_cbranch_execz .LBB2_1861
; %bb.1848:                             ;   in Loop: Header=BB2_1518 Depth=4
	v_mov_b32_e32 v15, 0
	s_mov_b32 s74, exec_lo
	v_cmpx_ne_u32_e32 0, v14
	s_cbranch_execz .LBB2_1860
; %bb.1849:                             ;   in Loop: Header=BB2_1518 Depth=4
	v_bfe_u32 v42, v14, 23, 8
	v_or_b32_e32 v20, 0x800000, v2
	s_delay_alu instid0(VALU_DEP_2) | instskip(SKIP_1) | instid1(VALU_DEP_2)
	v_sub_nc_u32_e32 v14, 0x71, v42
	v_cmp_gt_u32_e32 vcc_lo, 0x72, v42
	v_cndmask_b32_e32 v14, 0, v14, vcc_lo
	v_cmp_eq_u32_e32 vcc_lo, 0, v42
	s_delay_alu instid0(VALU_DEP_2) | instskip(NEXT) | instid1(VALU_DEP_1)
	v_cndmask_b32_e64 v43, v14, 0x70, vcc_lo
	v_dual_cndmask_b32 v2, v20, v2, vcc_lo :: v_dual_add_nc_u32 v14, 21, v43
	v_add_nc_u32_e32 v21, 20, v43
	s_delay_alu instid0(VALU_DEP_2) | instskip(NEXT) | instid1(VALU_DEP_2)
	v_lshlrev_b64_e64 v[14:15], v14, -1
	v_lshlrev_b64_e64 v[20:21], v21, 1
	s_delay_alu instid0(VALU_DEP_2) | instskip(NEXT) | instid1(VALU_DEP_3)
	v_bfi_b32 v119, v15, 0, 0
	v_bfi_b32 v118, v14, 0, v2
	v_lshrrev_b64 v[14:15], v43, v[2:3]
	s_delay_alu instid0(VALU_DEP_2) | instskip(NEXT) | instid1(VALU_DEP_2)
	v_cmp_eq_u64_e64 s13, v[118:119], v[20:21]
	v_mov_b64_e32 v[118:119], v[14:15]
	s_and_saveexec_b32 s75, s13
; %bb.1850:                             ;   in Loop: Header=BB2_1518 Depth=4
	v_bfe_u32 v2, v14, 21, 1
	s_delay_alu instid0(VALU_DEP_1) | instskip(NEXT) | instid1(VALU_DEP_1)
	v_add_nc_u64_e32 v[20:21], v[14:15], v[2:3]
	v_add_nc_u64_e32 v[118:119], -1, v[20:21]
; %bb.1851:                             ;   in Loop: Header=BB2_1518 Depth=4
	s_or_b32 exec_lo, exec_lo, s75
	v_add_nc_u32_e32 v2, 0xffffff81, v42
	v_lshrrev_b32_e32 v15, 23, v14
	s_mov_b32 s13, exec_lo
	s_delay_alu instid0(VALU_DEP_2) | instskip(NEXT) | instid1(VALU_DEP_1)
	v_cndmask_b32_e64 v2, v2, 0xffffff82, vcc_lo
	v_add3_u32 v119, v43, v2, v15
	v_and_b32_e32 v2, 0x1fffff, v118
                                        ; implicit-def: $vgpr118
	s_delay_alu instid0(VALU_DEP_1) | instskip(NEXT) | instid1(VALU_DEP_1)
	v_dual_add_nc_u32 v42, 14, v119 :: v_dual_add_nc_u32 v2, v2, v14
                                        ; implicit-def: $vgpr14_vgpr15
	v_cmpx_ne_u32_e32 0, v42
	s_xor_b32 s13, exec_lo, s13
; %bb.1852:                             ;   in Loop: Header=BB2_1518 Depth=4
	s_delay_alu instid0(VALU_DEP_2) | instskip(SKIP_1) | instid1(VALU_DEP_1)
	v_cmp_lt_u64_e32 vcc_lo, 0xffffff, v[2:3]
	v_add_nc_u32_e32 v14, 15, v119
	v_cndmask_b32_e32 v118, v42, v14, vcc_lo
	v_cndmask_b32_e64 v14, 0, 1, vcc_lo
	s_delay_alu instid0(VALU_DEP_1)
	v_lshrrev_b64 v[14:15], v14, v[2:3]
; %bb.1853:                             ;   in Loop: Header=BB2_1518 Depth=4
	s_and_not1_saveexec_b32 s13, s13
; %bb.1854:                             ;   in Loop: Header=BB2_1518 Depth=4
	v_mov_b64_e32 v[14:15], v[2:3]
	v_bfe_u32 v118, v2, 23, 1
; %bb.1855:                             ;   in Loop: Header=BB2_1518 Depth=4
	s_or_b32 exec_lo, exec_lo, s13
	s_delay_alu instid0(VALU_DEP_2) | instskip(NEXT) | instid1(VALU_DEP_2)
	v_lshrrev_b64 v[14:15], 21, v[14:15]
	v_cmp_gt_i32_e32 vcc_lo, 32, v118
	v_cmp_ne_u32_e64 s13, 0, v118
	s_delay_alu instid0(VALU_DEP_3) | instskip(NEXT) | instid1(VALU_DEP_1)
	v_dual_cndmask_b32 v15, 0, v15 :: v_dual_cndmask_b32 v14, 3, v14
	v_cmp_ne_u64_e32 vcc_lo, 0, v[14:15]
                                        ; implicit-def: $vgpr15
	s_or_b32 s13, s13, vcc_lo
	s_delay_alu instid0(SALU_CYCLE_1) | instskip(NEXT) | instid1(SALU_CYCLE_1)
	s_and_saveexec_b32 s75, s13
	s_xor_b32 s13, exec_lo, s75
; %bb.1856:                             ;   in Loop: Header=BB2_1518 Depth=4
	v_min_i32_e32 v2, 31, v118
	s_delay_alu instid0(VALU_DEP_1) | instskip(NEXT) | instid1(VALU_DEP_1)
	v_lshl_or_b32 v2, v2, 2, v40
                                        ; implicit-def: $vgpr40
	v_and_or_b32 v15, v14, 3, v2
; %bb.1857:                             ;   in Loop: Header=BB2_1518 Depth=4
	s_and_not1_saveexec_b32 s13, s13
; %bb.1858:                             ;   in Loop: Header=BB2_1518 Depth=4
	v_mov_b32_e32 v15, v40
; %bb.1859:                             ;   in Loop: Header=BB2_1518 Depth=4
	s_or_b32 exec_lo, exec_lo, s13
.LBB2_1860:                             ;   in Loop: Header=BB2_1518 Depth=4
	s_delay_alu instid0(SALU_CYCLE_1)
	s_or_b32 exec_lo, exec_lo, s74
                                        ; implicit-def: $vgpr40
.LBB2_1861:                             ;   in Loop: Header=BB2_1518 Depth=4
	s_and_not1_saveexec_b32 s13, s73
; %bb.1862:                             ;   in Loop: Header=BB2_1518 Depth=4
	v_or_b32_e32 v15, 0x7b, v40
; %bb.1863:                             ;   in Loop: Header=BB2_1518 Depth=4
	s_or_b32 exec_lo, exec_lo, s13
                                        ; implicit-def: $vgpr14
.LBB2_1864:                             ;   in Loop: Header=BB2_1518 Depth=4
	s_and_not1_saveexec_b32 s13, s72
	s_cbranch_execz .LBB2_1517
; %bb.1865:                             ;   in Loop: Header=BB2_1518 Depth=4
	s_mov_b32 s72, exec_lo
                                        ; implicit-def: $vgpr15
	v_cmpx_ne_u64_e32 0, v[2:3]
	s_xor_b32 s72, exec_lo, s72
; %bb.1866:                             ;   in Loop: Header=BB2_1518 Depth=4
	v_lshrrev_b32_e32 v2, 24, v14
                                        ; implicit-def: $vgpr14
	s_delay_alu instid0(VALU_DEP_1)
	v_or_b32_e32 v15, 0x7f, v2
; %bb.1867:                             ;   in Loop: Header=BB2_1518 Depth=4
	s_and_not1_saveexec_b32 s72, s72
	s_cbranch_execz .LBB2_1516
; %bb.1868:                             ;   in Loop: Header=BB2_1518 Depth=4
	v_cmp_lt_i32_e32 vcc_lo, -1, v14
	v_cndmask_b32_e64 v15, -4, 0x7c, vcc_lo
	s_branch .LBB2_1516
.LBB2_1869:                             ;   in Loop: Header=BB2_274 Depth=3
	s_or_b32 exec_lo, exec_lo, s63
.LBB2_1870:                             ;   in Loop: Header=BB2_274 Depth=3
	s_delay_alu instid0(SALU_CYCLE_1) | instskip(SKIP_1) | instid1(VALU_DEP_1)
	s_or_b32 exec_lo, exec_lo, s62
	v_lshlrev_b32_e32 v2, 8, v115
	v_cmp_ne_u32_e32 vcc_lo, v94, v2
	s_and_b32 exec_lo, exec_lo, vcc_lo
	s_cbranch_execz .LBB2_1918
; %bb.1871:                             ;   in Loop: Header=BB2_274 Depth=3
	v_dual_add_nc_u32 v8, v95, v19 :: v_dual_lshlrev_b32 v9, 5, v18
	s_delay_alu instid0(VALU_DEP_1) | instskip(NEXT) | instid1(VALU_DEP_1)
	v_and_b32_e32 v8, 0xffffffe0, v8
	v_sub_nc_u32_e32 v8, v95, v8
	s_delay_alu instid0(VALU_DEP_1) | instskip(NEXT) | instid1(VALU_DEP_1)
	v_sub_nc_u32_e32 v8, v8, v9
	v_add_nc_u32_e32 v2, v2, v8
	s_delay_alu instid0(VALU_DEP_1) | instskip(NEXT) | instid1(VALU_DEP_1)
	v_sub_nc_u32_e32 v18, v94, v2
	v_cmp_lt_i32_e32 vcc_lo, 0, v18
	s_and_b32 exec_lo, exec_lo, vcc_lo
	s_cbranch_execz .LBB2_1918
; %bb.1872:                             ;   in Loop: Header=BB2_274 Depth=3
	s_trap 2
	ds_load_b128 v[8:11], v0
	ds_load_b64 v[12:13], v0
	v_add_nc_u32_e32 v14, v2, v93
	s_mov_b32 s62, 0
	s_delay_alu instid0(VALU_DEP_1) | instskip(SKIP_1) | instid1(VALU_DEP_1)
	v_ashrrev_i32_e32 v15, 31, v14
	s_wait_dscnt 0x1
	v_add_nc_u64_e32 v[8:9], v[8:9], v[14:15]
	v_add_nc_u64_e32 v[10:11], v[10:11], v[14:15]
	s_wait_dscnt 0x0
	v_add_nc_u64_e32 v[12:13], v[12:13], v[14:15]
	s_branch .LBB2_1875
.LBB2_1873:                             ;   in Loop: Header=BB2_1875 Depth=4
	s_or_b32 exec_lo, exec_lo, s63
.LBB2_1874:                             ;   in Loop: Header=BB2_1875 Depth=4
	s_delay_alu instid0(SALU_CYCLE_1)
	s_or_b32 exec_lo, exec_lo, s13
	v_sub_nc_u32_e32 v18, v18, v38
	flat_store_b8 v[12:13], v15 th:TH_STORE_NT
	v_add_nc_u64_e32 v[8:9], v[8:9], v[38:39]
	v_add_nc_u64_e32 v[10:11], v[10:11], v[38:39]
	s_wait_xcnt 0x0
	v_add_nc_u64_e32 v[12:13], v[12:13], v[38:39]
	v_cmp_gt_i32_e32 vcc_lo, 1, v18
	s_or_b32 s62, vcc_lo, s62
	s_delay_alu instid0(SALU_CYCLE_1)
	s_and_not1_b32 exec_lo, exec_lo, s62
	s_cbranch_execz .LBB2_1918
.LBB2_1875:                             ;   Parent Loop BB2_47 Depth=1
                                        ;     Parent Loop BB2_271 Depth=2
                                        ;       Parent Loop BB2_274 Depth=3
                                        ; =>      This Inner Loop Header: Depth=4
	flat_load_i8 v2, v[8:9] th:TH_LOAD_NT
	flat_load_i8 v14, v[10:11] th:TH_LOAD_NT
	v_dual_mov_b32 v15, 0 :: v_dual_mov_b32 v19, 0
	s_mov_b32 s13, exec_lo
	s_wait_loadcnt_dscnt 0x101
	s_wait_xcnt 0x0
	v_cmpx_ne_u16_e32 0, v2
	s_cbranch_execz .LBB2_1885
; %bb.1876:                             ;   in Loop: Header=BB2_1875 Depth=4
	v_bfrev_b32_e32 v19, 1
	s_mov_b32 s63, exec_lo
	v_cmpx_ne_u16_e32 0xff80, v2
	s_cbranch_execz .LBB2_1884
; %bb.1877:                             ;   in Loop: Header=BB2_1875 Depth=4
	v_and_b32_e32 v19, 0x7c, v2
	v_and_b32_e32 v115, 3, v2
	s_delay_alu instid0(VALU_DEP_2) | instskip(SKIP_1) | instid1(SALU_CYCLE_1)
	v_cmp_ne_u32_e32 vcc_lo, 0x7c, v19
                                        ; implicit-def: $vgpr19
	s_and_saveexec_b32 s72, vcc_lo
	s_xor_b32 s72, exec_lo, s72
	s_cbranch_execz .LBB2_1881
; %bb.1878:                             ;   in Loop: Header=BB2_1875 Depth=4
	v_and_b32_e32 v19, 0xff, v2
	s_mov_b32 s73, exec_lo
	s_delay_alu instid0(VALU_DEP_1) | instskip(NEXT) | instid1(VALU_DEP_1)
	v_bfe_u32 v19, v19, 2, 5
	v_cmpx_eq_u32_e32 0, v19
; %bb.1879:                             ;   in Loop: Header=BB2_1875 Depth=4
	v_clz_i32_u32_e32 v19, v115
	s_delay_alu instid0(VALU_DEP_1) | instskip(NEXT) | instid1(VALU_DEP_1)
	v_min_u32_e32 v19, 32, v19
	v_subrev_nc_u32_e32 v20, 29, v19
	s_delay_alu instid0(VALU_DEP_1) | instskip(NEXT) | instid1(VALU_DEP_1)
	v_lshlrev_b64_e32 v[20:21], v20, v[2:3]
	v_dual_sub_nc_u32 v19, 30, v19 :: v_dual_bitop2_b32 v115, 3, v20 bitop3:0x40
; %bb.1880:                             ;   in Loop: Header=BB2_1875 Depth=4
	s_or_b32 exec_lo, exec_lo, s73
	v_bfe_i32 v2, v2, 0, 16
	s_delay_alu instid0(VALU_DEP_1) | instskip(NEXT) | instid1(VALU_DEP_1)
	v_and_b32_e32 v2, 0x80000000, v2
	v_lshl_add_u32 v2, v19, 23, v2
	s_delay_alu instid0(VALU_DEP_1) | instskip(NEXT) | instid1(VALU_DEP_1)
	v_lshl_or_b32 v2, v115, 21, v2
                                        ; implicit-def: $vgpr115
	v_add_nc_u32_e32 v19, 0x38000000, v2
.LBB2_1881:                             ;   in Loop: Header=BB2_1875 Depth=4
	s_and_not1_saveexec_b32 s72, s72
; %bb.1882:                             ;   in Loop: Header=BB2_1875 Depth=4
	v_cmp_lt_i16_e32 vcc_lo, -1, v2
	v_cndmask_b32_e32 v2, 0xff800000, v109, vcc_lo
	v_cmp_eq_u32_e32 vcc_lo, 0, v115
	s_delay_alu instid0(VALU_DEP_2)
	v_cndmask_b32_e32 v19, 0x7f800001, v2, vcc_lo
; %bb.1883:                             ;   in Loop: Header=BB2_1875 Depth=4
	s_or_b32 exec_lo, exec_lo, s72
.LBB2_1884:                             ;   in Loop: Header=BB2_1875 Depth=4
	s_delay_alu instid0(SALU_CYCLE_1)
	s_or_b32 exec_lo, exec_lo, s63
.LBB2_1885:                             ;   in Loop: Header=BB2_1875 Depth=4
	s_delay_alu instid0(SALU_CYCLE_1) | instskip(NEXT) | instid1(SALU_CYCLE_1)
	s_or_b32 exec_lo, exec_lo, s13
	s_mov_b32 s13, exec_lo
	s_wait_loadcnt_dscnt 0x0
	v_cmpx_ne_u16_e32 0, v14
	s_cbranch_execz .LBB2_1895
; %bb.1886:                             ;   in Loop: Header=BB2_1875 Depth=4
	v_bfrev_b32_e32 v15, 1
	s_mov_b32 s63, exec_lo
	v_cmpx_ne_u16_e32 0xff80, v14
	s_cbranch_execz .LBB2_1894
; %bb.1887:                             ;   in Loop: Header=BB2_1875 Depth=4
	v_and_b32_e32 v15, 0x7c, v14
	v_and_b32_e32 v2, 3, v14
	s_delay_alu instid0(VALU_DEP_2) | instskip(SKIP_1) | instid1(SALU_CYCLE_1)
	v_cmp_ne_u32_e32 vcc_lo, 0x7c, v15
                                        ; implicit-def: $vgpr15
	s_and_saveexec_b32 s72, vcc_lo
	s_xor_b32 s72, exec_lo, s72
	s_cbranch_execz .LBB2_1891
; %bb.1888:                             ;   in Loop: Header=BB2_1875 Depth=4
	v_and_b32_e32 v15, 0xff, v14
	s_mov_b32 s73, exec_lo
	s_delay_alu instid0(VALU_DEP_1) | instskip(NEXT) | instid1(VALU_DEP_1)
	v_bfe_u32 v15, v15, 2, 5
	v_cmpx_eq_u32_e32 0, v15
; %bb.1889:                             ;   in Loop: Header=BB2_1875 Depth=4
	v_clz_i32_u32_e32 v2, v2
	v_mov_b32_e32 v15, v3
	s_delay_alu instid0(VALU_DEP_2) | instskip(NEXT) | instid1(VALU_DEP_1)
	v_min_u32_e32 v2, 32, v2
	v_subrev_nc_u32_e32 v20, 29, v2
	s_delay_alu instid0(VALU_DEP_1) | instskip(NEXT) | instid1(VALU_DEP_1)
	v_lshlrev_b64_e32 v[20:21], v20, v[14:15]
	v_dual_sub_nc_u32 v15, 30, v2 :: v_dual_bitop2_b32 v2, 3, v20 bitop3:0x40
; %bb.1890:                             ;   in Loop: Header=BB2_1875 Depth=4
	s_or_b32 exec_lo, exec_lo, s73
	v_bfe_i32 v14, v14, 0, 16
	s_delay_alu instid0(VALU_DEP_1) | instskip(NEXT) | instid1(VALU_DEP_1)
	v_and_b32_e32 v14, 0x80000000, v14
	v_lshl_add_u32 v14, v15, 23, v14
	s_delay_alu instid0(VALU_DEP_1) | instskip(NEXT) | instid1(VALU_DEP_1)
	v_lshl_or_b32 v2, v2, 21, v14
                                        ; implicit-def: $vgpr14
	v_add_nc_u32_e32 v15, 0x38000000, v2
                                        ; implicit-def: $vgpr2
.LBB2_1891:                             ;   in Loop: Header=BB2_1875 Depth=4
	s_and_not1_saveexec_b32 s72, s72
; %bb.1892:                             ;   in Loop: Header=BB2_1875 Depth=4
	v_cmp_lt_i16_e32 vcc_lo, -1, v14
	v_cndmask_b32_e32 v14, 0xff800000, v109, vcc_lo
	v_cmp_eq_u32_e32 vcc_lo, 0, v2
	s_delay_alu instid0(VALU_DEP_2)
	v_cndmask_b32_e32 v15, 0x7f800001, v14, vcc_lo
; %bb.1893:                             ;   in Loop: Header=BB2_1875 Depth=4
	s_or_b32 exec_lo, exec_lo, s72
.LBB2_1894:                             ;   in Loop: Header=BB2_1875 Depth=4
	s_delay_alu instid0(SALU_CYCLE_1)
	s_or_b32 exec_lo, exec_lo, s63
.LBB2_1895:                             ;   in Loop: Header=BB2_1875 Depth=4
	s_delay_alu instid0(SALU_CYCLE_1) | instskip(NEXT) | instid1(VALU_DEP_1)
	s_or_b32 exec_lo, exec_lo, s13
	v_mul_f32_e32 v14, v19, v15
	v_mov_b32_e32 v21, v3
                                        ; implicit-def: $vgpr15
	s_mov_b32 s13, exec_lo
	s_delay_alu instid0(VALU_DEP_2) | instskip(SKIP_1) | instid1(VALU_DEP_2)
	v_and_b32_e32 v20, 0x7f800000, v14
	v_and_b32_e32 v2, 0x7fffff, v14
	v_cmpx_ne_u64_e32 0x7f800000, v[20:21]
	s_xor_b32 s63, exec_lo, s13
	s_cbranch_execz .LBB2_1913
; %bb.1896:                             ;   in Loop: Header=BB2_1875 Depth=4
	v_dual_mov_b32 v21, v3 :: v_dual_lshrrev_b32 v15, 24, v14
	v_and_b32_e32 v20, 0x7fffffff, v14
	s_mov_b32 s13, exec_lo
	s_delay_alu instid0(VALU_DEP_2) | instskip(NEXT) | instid1(VALU_DEP_2)
	v_and_b32_e32 v19, 0x80, v15
                                        ; implicit-def: $vgpr15
	v_cmpx_gt_u64_e32 0x47600001, v[20:21]
	s_xor_b32 s72, exec_lo, s13
	s_cbranch_execz .LBB2_1910
; %bb.1897:                             ;   in Loop: Header=BB2_1875 Depth=4
	v_mov_b32_e32 v15, 0
	s_mov_b32 s73, exec_lo
	v_cmpx_ne_u32_e32 0, v14
	s_cbranch_execz .LBB2_1909
; %bb.1898:                             ;   in Loop: Header=BB2_1875 Depth=4
	v_bfe_u32 v115, v14, 23, 8
	v_or_b32_e32 v20, 0x800000, v2
	s_delay_alu instid0(VALU_DEP_2) | instskip(SKIP_1) | instid1(VALU_DEP_2)
	v_sub_nc_u32_e32 v14, 0x71, v115
	v_cmp_gt_u32_e32 vcc_lo, 0x72, v115
	v_cndmask_b32_e32 v14, 0, v14, vcc_lo
	v_cmp_eq_u32_e32 vcc_lo, 0, v115
	s_delay_alu instid0(VALU_DEP_2) | instskip(NEXT) | instid1(VALU_DEP_1)
	v_cndmask_b32_e64 v40, v14, 0x70, vcc_lo
	v_dual_cndmask_b32 v2, v20, v2, vcc_lo :: v_dual_add_nc_u32 v14, 21, v40
	v_add_nc_u32_e32 v21, 20, v40
	s_delay_alu instid0(VALU_DEP_2) | instskip(NEXT) | instid1(VALU_DEP_2)
	v_lshlrev_b64_e64 v[14:15], v14, -1
	v_lshlrev_b64_e64 v[20:21], v21, 1
	s_delay_alu instid0(VALU_DEP_2) | instskip(NEXT) | instid1(VALU_DEP_3)
	v_bfi_b32 v119, v15, 0, 0
	v_bfi_b32 v118, v14, 0, v2
	v_lshrrev_b64 v[14:15], v40, v[2:3]
	s_delay_alu instid0(VALU_DEP_2) | instskip(NEXT) | instid1(VALU_DEP_2)
	v_cmp_eq_u64_e64 s13, v[118:119], v[20:21]
	v_mov_b64_e32 v[118:119], v[14:15]
	s_and_saveexec_b32 s74, s13
; %bb.1899:                             ;   in Loop: Header=BB2_1875 Depth=4
	v_bfe_u32 v2, v14, 21, 1
	s_delay_alu instid0(VALU_DEP_1) | instskip(NEXT) | instid1(VALU_DEP_1)
	v_add_nc_u64_e32 v[20:21], v[14:15], v[2:3]
	v_add_nc_u64_e32 v[118:119], -1, v[20:21]
; %bb.1900:                             ;   in Loop: Header=BB2_1875 Depth=4
	s_or_b32 exec_lo, exec_lo, s74
	v_add_nc_u32_e32 v2, 0xffffff81, v115
	v_lshrrev_b32_e32 v15, 23, v14
	s_mov_b32 s13, exec_lo
                                        ; implicit-def: $vgpr115
	s_delay_alu instid0(VALU_DEP_2) | instskip(NEXT) | instid1(VALU_DEP_1)
	v_cndmask_b32_e64 v2, v2, 0xffffff82, vcc_lo
	v_add3_u32 v119, v40, v2, v15
	v_and_b32_e32 v2, 0x1fffff, v118
	s_delay_alu instid0(VALU_DEP_1) | instskip(NEXT) | instid1(VALU_DEP_1)
	v_dual_add_nc_u32 v118, 14, v119 :: v_dual_add_nc_u32 v2, v2, v14
                                        ; implicit-def: $vgpr14_vgpr15
	v_cmpx_ne_u32_e32 0, v118
	s_xor_b32 s13, exec_lo, s13
; %bb.1901:                             ;   in Loop: Header=BB2_1875 Depth=4
	s_delay_alu instid0(VALU_DEP_2) | instskip(SKIP_1) | instid1(VALU_DEP_1)
	v_cmp_lt_u64_e32 vcc_lo, 0xffffff, v[2:3]
	v_add_nc_u32_e32 v14, 15, v119
	v_cndmask_b32_e32 v115, v118, v14, vcc_lo
	v_cndmask_b32_e64 v14, 0, 1, vcc_lo
	s_delay_alu instid0(VALU_DEP_1)
	v_lshrrev_b64 v[14:15], v14, v[2:3]
; %bb.1902:                             ;   in Loop: Header=BB2_1875 Depth=4
	s_and_not1_saveexec_b32 s13, s13
; %bb.1903:                             ;   in Loop: Header=BB2_1875 Depth=4
	v_mov_b64_e32 v[14:15], v[2:3]
	v_bfe_u32 v115, v2, 23, 1
; %bb.1904:                             ;   in Loop: Header=BB2_1875 Depth=4
	s_or_b32 exec_lo, exec_lo, s13
	s_delay_alu instid0(VALU_DEP_2) | instskip(NEXT) | instid1(VALU_DEP_2)
	v_lshrrev_b64 v[14:15], 21, v[14:15]
	v_cmp_gt_i32_e32 vcc_lo, 32, v115
	v_cmp_ne_u32_e64 s13, 0, v115
	s_delay_alu instid0(VALU_DEP_3) | instskip(NEXT) | instid1(VALU_DEP_1)
	v_dual_cndmask_b32 v15, 0, v15 :: v_dual_cndmask_b32 v14, 3, v14
	v_cmp_ne_u64_e32 vcc_lo, 0, v[14:15]
                                        ; implicit-def: $vgpr15
	s_or_b32 s13, s13, vcc_lo
	s_delay_alu instid0(SALU_CYCLE_1) | instskip(NEXT) | instid1(SALU_CYCLE_1)
	s_and_saveexec_b32 s74, s13
	s_xor_b32 s13, exec_lo, s74
; %bb.1905:                             ;   in Loop: Header=BB2_1875 Depth=4
	v_min_i32_e32 v2, 31, v115
	s_delay_alu instid0(VALU_DEP_1) | instskip(NEXT) | instid1(VALU_DEP_1)
	v_lshl_or_b32 v2, v2, 2, v19
                                        ; implicit-def: $vgpr19
	v_and_or_b32 v15, v14, 3, v2
; %bb.1906:                             ;   in Loop: Header=BB2_1875 Depth=4
	s_and_not1_saveexec_b32 s13, s13
; %bb.1907:                             ;   in Loop: Header=BB2_1875 Depth=4
	v_mov_b32_e32 v15, v19
; %bb.1908:                             ;   in Loop: Header=BB2_1875 Depth=4
	s_or_b32 exec_lo, exec_lo, s13
.LBB2_1909:                             ;   in Loop: Header=BB2_1875 Depth=4
	s_delay_alu instid0(SALU_CYCLE_1)
	s_or_b32 exec_lo, exec_lo, s73
                                        ; implicit-def: $vgpr19
.LBB2_1910:                             ;   in Loop: Header=BB2_1875 Depth=4
	s_and_not1_saveexec_b32 s13, s72
; %bb.1911:                             ;   in Loop: Header=BB2_1875 Depth=4
	v_or_b32_e32 v15, 0x7b, v19
; %bb.1912:                             ;   in Loop: Header=BB2_1875 Depth=4
	s_or_b32 exec_lo, exec_lo, s13
                                        ; implicit-def: $vgpr14
.LBB2_1913:                             ;   in Loop: Header=BB2_1875 Depth=4
	s_and_not1_saveexec_b32 s13, s63
	s_cbranch_execz .LBB2_1874
; %bb.1914:                             ;   in Loop: Header=BB2_1875 Depth=4
	s_mov_b32 s63, exec_lo
                                        ; implicit-def: $vgpr15
	v_cmpx_ne_u64_e32 0, v[2:3]
	s_xor_b32 s63, exec_lo, s63
; %bb.1915:                             ;   in Loop: Header=BB2_1875 Depth=4
	v_lshrrev_b32_e32 v2, 24, v14
                                        ; implicit-def: $vgpr14
	s_delay_alu instid0(VALU_DEP_1)
	v_or_b32_e32 v15, 0x7f, v2
; %bb.1916:                             ;   in Loop: Header=BB2_1875 Depth=4
	s_and_not1_saveexec_b32 s63, s63
	s_cbranch_execz .LBB2_1873
; %bb.1917:                             ;   in Loop: Header=BB2_1875 Depth=4
	v_cmp_lt_i32_e32 vcc_lo, -1, v14
	v_cndmask_b32_e64 v15, -4, 0x7c, vcc_lo
	s_branch .LBB2_1873
.LBB2_1918:                             ;   in Loop: Header=BB2_274 Depth=3
	s_or_b32 exec_lo, exec_lo, s14
	v_cmp_lt_i32_e64 s13, 0, v113
	s_and_saveexec_b32 s14, s2
	s_cbranch_execz .LBB2_1937
.LBB2_1919:                             ;   in Loop: Header=BB2_274 Depth=3
	s_and_saveexec_b32 s62, s3
	s_delay_alu instid0(SALU_CYCLE_1)
	s_xor_b32 s62, exec_lo, s62
	s_cbranch_execz .LBB2_1934
; %bb.1920:                             ;   in Loop: Header=BB2_274 Depth=3
	s_and_saveexec_b32 s63, s6
	s_cbranch_execz .LBB2_1933
; %bb.1921:                             ;   in Loop: Header=BB2_274 Depth=3
	s_mov_b32 s73, exec_lo
	s_mov_b32 s72, exec_lo
	v_mbcnt_lo_u32_b32 v2, s73, 0
	global_wb scope:SCOPE_DEV
	s_wait_storecnt 0x0
	s_wait_loadcnt_dscnt 0x0
	global_inv scope:SCOPE_DEV
	v_cmpx_eq_u32_e32 0, v2
	s_cbranch_execz .LBB2_1923
; %bb.1922:                             ;   in Loop: Header=BB2_274 Depth=3
	s_bcnt1_i32_b32 s73, s73
	s_delay_alu instid0(SALU_CYCLE_1)
	v_mov_b32_e32 v2, s73
	s_wait_loadcnt 0x0
	ds_add_u64 v0, v[2:3]
	s_trap 2
.LBB2_1923:                             ;   in Loop: Header=BB2_274 Depth=3
	s_or_b32 exec_lo, exec_lo, s72
	s_trap 2
	ds_load_b64 v[8:9], v0
	s_wait_dscnt 0x0
	v_add_nc_u64_e32 v[32:33], v[32:33], v[36:37]
	s_mov_b32 s72, exec_lo
	s_delay_alu instid0(VALU_DEP_1)
	v_cmpx_lt_u64_e64 v[8:9], v[32:33]
	s_cbranch_execz .LBB2_1932
; %bb.1924:                             ;   in Loop: Header=BB2_274 Depth=3
	s_mov_b32 s73, 0
	s_mov_b32 s76, 0
                                        ; implicit-def: $sgpr74
                                        ; implicit-def: $sgpr75
	s_branch .LBB2_1926
.LBB2_1925:                             ;   in Loop: Header=BB2_1926 Depth=4
	s_or_b32 exec_lo, exec_lo, s78
	s_delay_alu instid0(SALU_CYCLE_1) | instskip(NEXT) | instid1(SALU_CYCLE_1)
	s_and_b32 s77, exec_lo, s79
	s_or_b32 s73, s77, s73
	s_and_not1_b32 s74, s74, exec_lo
	s_and_b32 s77, s75, exec_lo
	s_delay_alu instid0(SALU_CYCLE_1)
	s_or_b32 s74, s74, s77
	s_and_not1_b32 exec_lo, exec_lo, s73
	s_cbranch_execz .LBB2_1930
.LBB2_1926:                             ;   Parent Loop BB2_47 Depth=1
                                        ;     Parent Loop BB2_271 Depth=2
                                        ;       Parent Loop BB2_274 Depth=3
                                        ; =>      This Inner Loop Header: Depth=4
	s_add_co_i32 s76, s76, 1
	s_delay_alu instid0(SALU_CYCLE_1) | instskip(SKIP_1) | instid1(SALU_CYCLE_1)
	s_cmp_lg_u32 s76, 0x2710
	s_cselect_b32 s77, -1, 0
	s_and_b32 vcc_lo, exec_lo, s77
	s_cbranch_vccz .LBB2_1928
; %bb.1927:                             ;   in Loop: Header=BB2_1926 Depth=4
	s_mov_b32 s79, -1
	s_or_b32 s75, s75, exec_lo
	s_and_saveexec_b32 s78, s77
	s_cbranch_execz .LBB2_1925
	s_branch .LBB2_1929
.LBB2_1928:                             ;   in Loop: Header=BB2_1926 Depth=4
	s_trap 2
	ds_load_b64 v[8:9], v0
	s_and_not1_b32 s77, s77, exec_lo
	s_mov_b32 s76, 0
	s_wait_loadcnt_dscnt 0x0
	flat_load_b32 v2, v[8:9] scope:SCOPE_SYS
	s_wait_loadcnt_dscnt 0x0
	global_inv scope:SCOPE_SYS
	v_cmp_eq_u32_e32 vcc_lo, 0, v2
	s_and_b32 s78, vcc_lo, exec_lo
	s_delay_alu instid0(SALU_CYCLE_1)
	s_or_b32 s77, s77, s78
	s_mov_b32 s79, -1
	s_or_b32 s75, s75, exec_lo
	s_and_saveexec_b32 s78, s77
	s_cbranch_execz .LBB2_1925
.LBB2_1929:                             ;   in Loop: Header=BB2_1926 Depth=4
	s_sleep 1
	s_trap 2
	ds_load_b64 v[8:9], v0
	s_wait_dscnt 0x0
	s_and_not1_b32 s75, s75, exec_lo
	v_cmp_ge_u64_e32 vcc_lo, v[8:9], v[32:33]
	s_or_not1_b32 s79, vcc_lo, exec_lo
	s_branch .LBB2_1925
.LBB2_1930:                             ;   in Loop: Header=BB2_274 Depth=3
	s_or_b32 exec_lo, exec_lo, s73
	s_and_saveexec_b32 s73, s74
	s_delay_alu instid0(SALU_CYCLE_1)
	s_xor_b32 s73, exec_lo, s73
	s_cbranch_execz .LBB2_1932
; %bb.1931:                             ;   in Loop: Header=BB2_274 Depth=3
	ds_store_b32 v0, v107
	s_trap 2
.LBB2_1932:                             ;   in Loop: Header=BB2_274 Depth=3
	s_or_b32 exec_lo, exec_lo, s72
	;;#ASMSTART
	s_wakeup
	;;#ASMEND
.LBB2_1933:                             ;   in Loop: Header=BB2_274 Depth=3
	s_or_b32 exec_lo, exec_lo, s63
.LBB2_1934:                             ;   in Loop: Header=BB2_274 Depth=3
	s_and_not1_saveexec_b32 s62, s62
	s_cbranch_execz .LBB2_1936
; %bb.1935:                             ;   in Loop: Header=BB2_274 Depth=3
	global_wb scope:SCOPE_DEV
	s_wait_storecnt 0x0
	s_wait_loadcnt_dscnt 0x0
	global_inv scope:SCOPE_DEV
	s_barrier_signal -1
	s_barrier_wait -1
.LBB2_1936:                             ;   in Loop: Header=BB2_274 Depth=3
	s_or_b32 exec_lo, exec_lo, s62
.LBB2_1937:                             ;   in Loop: Header=BB2_274 Depth=3
	s_delay_alu instid0(SALU_CYCLE_1) | instskip(SKIP_2) | instid1(SALU_CYCLE_1)
	s_or_b32 exec_lo, exec_lo, s14
	v_and_b32_e32 v8, 16, v30
	s_and_saveexec_b32 s14, s7
	s_xor_b32 s14, exec_lo, s14
	s_cbranch_execz .LBB2_1941
; %bb.1938:                             ;   in Loop: Header=BB2_274 Depth=3
	v_and_b32_e32 v2, 16, v30
	v_and_b32_e32 v8, 16, v30
	s_delay_alu instid0(VALU_DEP_2) | instskip(SKIP_1) | instid1(SALU_CYCLE_1)
	v_cmp_ne_u32_e32 vcc_lo, 0, v2
	s_and_b32 s62, vcc_lo, s13
	s_and_saveexec_b32 s13, s62
	s_cbranch_execz .LBB2_1940
; %bb.1939:                             ;   in Loop: Header=BB2_274 Depth=3
	v_mov_b32_e32 v8, 1
	global_wb scope:SCOPE_SYS
	s_wait_storecnt 0x0
	s_wait_loadcnt_dscnt 0x0
	global_inv scope:SCOPE_SYS
.LBB2_1940:                             ;   in Loop: Header=BB2_274 Depth=3
	s_or_b32 exec_lo, exec_lo, s13
.LBB2_1941:                             ;   in Loop: Header=BB2_274 Depth=3
	s_and_not1_saveexec_b32 s13, s14
	s_cbranch_execz .LBB2_1960
; %bb.1942:                             ;   in Loop: Header=BB2_274 Depth=3
	s_and_saveexec_b32 s14, s3
	s_delay_alu instid0(SALU_CYCLE_1)
	s_xor_b32 s14, exec_lo, s14
	s_cbranch_execz .LBB2_1957
; %bb.1943:                             ;   in Loop: Header=BB2_274 Depth=3
	s_and_saveexec_b32 s62, s6
	s_cbranch_execz .LBB2_1956
; %bb.1944:                             ;   in Loop: Header=BB2_274 Depth=3
	s_mov_b32 s72, exec_lo
	s_mov_b32 s63, exec_lo
	v_mbcnt_lo_u32_b32 v2, s72, 0
	;;#ASMSTART
	s_waitcnt lgkmcnt(0) vmcnt(0)
	;;#ASMEND
	s_delay_alu instid0(VALU_DEP_1)
	v_cmpx_eq_u32_e32 0, v2
	s_cbranch_execz .LBB2_1946
; %bb.1945:                             ;   in Loop: Header=BB2_274 Depth=3
	s_bcnt1_i32_b32 s72, s72
	s_delay_alu instid0(SALU_CYCLE_1)
	v_mov_b32_e32 v2, s72
	s_wait_storecnt 0x0
	s_wait_loadcnt_dscnt 0x0
	ds_add_u64 v0, v[2:3]
	s_trap 2
.LBB2_1946:                             ;   in Loop: Header=BB2_274 Depth=3
	s_or_b32 exec_lo, exec_lo, s63
	s_trap 2
	ds_load_b64 v[10:11], v0
	s_wait_dscnt 0x0
	v_add_nc_u64_e32 v[32:33], v[32:33], v[36:37]
	s_mov_b32 s63, exec_lo
	s_delay_alu instid0(VALU_DEP_1)
	v_cmpx_lt_u64_e64 v[10:11], v[32:33]
	s_cbranch_execz .LBB2_1955
; %bb.1947:                             ;   in Loop: Header=BB2_274 Depth=3
	s_mov_b32 s72, 0
	s_mov_b32 s75, 0
                                        ; implicit-def: $sgpr73
                                        ; implicit-def: $sgpr74
	s_branch .LBB2_1949
.LBB2_1948:                             ;   in Loop: Header=BB2_1949 Depth=4
	s_or_b32 exec_lo, exec_lo, s77
	s_delay_alu instid0(SALU_CYCLE_1) | instskip(NEXT) | instid1(SALU_CYCLE_1)
	s_and_b32 s76, exec_lo, s78
	s_or_b32 s72, s76, s72
	s_and_not1_b32 s73, s73, exec_lo
	s_and_b32 s76, s74, exec_lo
	s_delay_alu instid0(SALU_CYCLE_1)
	s_or_b32 s73, s73, s76
	s_and_not1_b32 exec_lo, exec_lo, s72
	s_cbranch_execz .LBB2_1953
.LBB2_1949:                             ;   Parent Loop BB2_47 Depth=1
                                        ;     Parent Loop BB2_271 Depth=2
                                        ;       Parent Loop BB2_274 Depth=3
                                        ; =>      This Inner Loop Header: Depth=4
	s_add_co_i32 s75, s75, 1
	s_delay_alu instid0(SALU_CYCLE_1) | instskip(SKIP_1) | instid1(SALU_CYCLE_1)
	s_cmp_lg_u32 s75, 0x2710
	s_cselect_b32 s76, -1, 0
	s_and_b32 vcc_lo, exec_lo, s76
	s_cbranch_vccz .LBB2_1951
; %bb.1950:                             ;   in Loop: Header=BB2_1949 Depth=4
	s_mov_b32 s78, -1
	s_or_b32 s74, s74, exec_lo
	s_and_saveexec_b32 s77, s76
	s_cbranch_execz .LBB2_1948
	s_branch .LBB2_1952
.LBB2_1951:                             ;   in Loop: Header=BB2_1949 Depth=4
	s_trap 2
	ds_load_b64 v[10:11], v0
	s_and_not1_b32 s76, s76, exec_lo
	s_mov_b32 s75, 0
	s_wait_storecnt 0x0
	s_wait_loadcnt_dscnt 0x0
	flat_load_b32 v2, v[10:11] scope:SCOPE_SYS
	s_wait_loadcnt_dscnt 0x0
	global_inv scope:SCOPE_SYS
	v_cmp_eq_u32_e32 vcc_lo, 0, v2
	s_and_b32 s77, vcc_lo, exec_lo
	s_delay_alu instid0(SALU_CYCLE_1)
	s_or_b32 s76, s76, s77
	s_mov_b32 s78, -1
	s_or_b32 s74, s74, exec_lo
	s_and_saveexec_b32 s77, s76
	s_cbranch_execz .LBB2_1948
.LBB2_1952:                             ;   in Loop: Header=BB2_1949 Depth=4
	s_sleep 1
	s_trap 2
	ds_load_b64 v[10:11], v0
	s_wait_dscnt 0x0
	s_and_not1_b32 s74, s74, exec_lo
	v_cmp_ge_u64_e32 vcc_lo, v[10:11], v[32:33]
	s_or_not1_b32 s78, vcc_lo, exec_lo
	s_branch .LBB2_1948
.LBB2_1953:                             ;   in Loop: Header=BB2_274 Depth=3
	s_or_b32 exec_lo, exec_lo, s72
	s_and_saveexec_b32 s72, s73
	s_delay_alu instid0(SALU_CYCLE_1)
	s_xor_b32 s72, exec_lo, s72
	s_cbranch_execz .LBB2_1955
; %bb.1954:                             ;   in Loop: Header=BB2_274 Depth=3
	ds_store_b32 v0, v107
	s_trap 2
.LBB2_1955:                             ;   in Loop: Header=BB2_274 Depth=3
	s_or_b32 exec_lo, exec_lo, s63
	;;#ASMSTART
	s_wakeup
	;;#ASMEND
.LBB2_1956:                             ;   in Loop: Header=BB2_274 Depth=3
	s_or_b32 exec_lo, exec_lo, s62
.LBB2_1957:                             ;   in Loop: Header=BB2_274 Depth=3
	s_and_not1_saveexec_b32 s14, s14
	s_cbranch_execz .LBB2_1959
; %bb.1958:                             ;   in Loop: Header=BB2_274 Depth=3
	;;#ASMSTART
	s_waitcnt lgkmcnt(0) vmcnt(0)
	;;#ASMEND
	s_barrier_signal -1
	s_barrier_wait -1
.LBB2_1959:                             ;   in Loop: Header=BB2_274 Depth=3
	s_or_b32 exec_lo, exec_lo, s14
.LBB2_1960:                             ;   in Loop: Header=BB2_274 Depth=3
	s_delay_alu instid0(SALU_CYCLE_1) | instskip(SKIP_2) | instid1(SALU_CYCLE_1)
	s_or_b32 exec_lo, exec_lo, s13
	v_cmp_ne_u32_e32 vcc_lo, 0, v8
	s_xor_b32 s13, s4, -1
	s_and_b32 s14, vcc_lo, s13
	s_delay_alu instid0(SALU_CYCLE_1)
	s_and_saveexec_b32 s13, s14
	s_cbranch_execz .LBB2_1962
; %bb.1961:                             ;   in Loop: Header=BB2_274 Depth=3
	global_wb scope:SCOPE_SYS
	s_wait_storecnt 0x0
	s_wait_loadcnt_dscnt 0x0
	flat_store_b32 v[28:29], v107 scope:SCOPE_SYS
.LBB2_1962:                             ;   in Loop: Header=BB2_274 Depth=3
	s_wait_xcnt 0x0
	s_or_b32 exec_lo, exec_lo, s13
	v_and_b32_e32 v2, 48, v30
	s_mov_b32 s13, exec_lo
	s_delay_alu instid0(VALU_DEP_1)
	v_cmpx_ne_u32_e32 0, v2
	s_cbranch_execz .LBB2_273
; %bb.1963:                             ;   in Loop: Header=BB2_274 Depth=3
	v_add_nc_u64_e32 v[98:99], 2, v[98:99]
	global_wb scope:SCOPE_SYS
	s_wait_storecnt 0x0
	s_wait_loadcnt_dscnt 0x0
	flat_store_b64 v[22:23], v[98:99] scope:SCOPE_SYS
	s_branch .LBB2_273
.LBB2_1964:                             ;   in Loop: Header=BB2_271 Depth=2
	s_or_b32 exec_lo, exec_lo, s29
.LBB2_1965:                             ;   in Loop: Header=BB2_271 Depth=2
	s_delay_alu instid0(SALU_CYCLE_1) | instskip(NEXT) | instid1(SALU_CYCLE_1)
	s_or_b32 exec_lo, exec_lo, s18
	s_mov_b32 s14, exec_lo
	v_cmpx_gt_i32_e32 2, v2
	s_cbranch_execz .LBB2_270
; %bb.1966:                             ;   in Loop: Header=BB2_271 Depth=2
	v_cmp_eq_u32_e64 s29, 0, v2
	s_mov_b32 s18, 0
	s_branch .LBB2_1968
.LBB2_1967:                             ;   in Loop: Header=BB2_1968 Depth=3
	s_wait_xcnt 0x0
	s_or_b32 exec_lo, exec_lo, s13
	v_add_nc_u32_e32 v114, v112, v114
	s_mov_b32 s29, 0
	s_and_not1_b32 exec_lo, exec_lo, s18
	s_cbranch_execz .LBB2_269
.LBB2_1968:                             ;   Parent Loop BB2_47 Depth=1
                                        ;     Parent Loop BB2_271 Depth=2
                                        ; =>    This Loop Header: Depth=3
                                        ;         Child Loop BB2_1974 Depth 4
                                        ;         Child Loop BB2_2002 Depth 4
	;; [unrolled: 1-line block ×3, first 2 shown]
	s_delay_alu instid0(VALU_DEP_1) | instskip(SKIP_2) | instid1(VALU_DEP_2)
	v_sub_nc_u32_e32 v2, v92, v114
	v_and_b32_e32 v8, 12, v30
	s_mov_b32 s42, exec_lo
	v_min_i32_e32 v112, v112, v2
	s_delay_alu instid0(VALU_DEP_2)
	v_cmpx_ne_u32_e32 0, v8
	s_cbranch_execz .LBB2_1994
; %bb.1969:                             ;   in Loop: Header=BB2_1968 Depth=3
	v_and_b32_e32 v2, 8, v30
	v_add_nc_u64_e32 v[8:9], 2, v[98:99]
	s_mov_b32 s43, exec_lo
	s_wait_loadcnt_dscnt 0x1
	s_delay_alu instid0(VALU_DEP_2) | instskip(NEXT) | instid1(VALU_DEP_1)
	v_add_nc_u64_e32 v[10:11], v[34:35], v[2:3]
	v_cmpx_lt_u64_e64 v[10:11], v[8:9]
	s_cbranch_execz .LBB2_1981
; %bb.1970:                             ;   in Loop: Header=BB2_1968 Depth=3
	v_and_b32_e32 v10, 64, v30
	s_mov_b32 s62, 0
	s_mov_b32 s74, 0
                                        ; implicit-def: $sgpr63
                                        ; implicit-def: $sgpr72
                                        ; implicit-def: $sgpr73
	s_delay_alu instid0(VALU_DEP_1)
	v_cmp_eq_u32_e32 vcc_lo, 0, v10
	s_branch .LBB2_1974
.LBB2_1971:                             ;   in Loop: Header=BB2_1974 Depth=4
	s_wait_loadcnt_dscnt 0x0
	v_add_nc_u64_e32 v[12:13], v[34:35], v[2:3]
	s_or_b32 s77, s77, exec_lo
	s_delay_alu instid0(VALU_DEP_1)
	v_cmp_ge_u64_e64 s13, v[12:13], v[8:9]
	s_or_not1_b32 s76, s13, exec_lo
.LBB2_1972:                             ;   in Loop: Header=BB2_1974 Depth=4
	s_or_b32 exec_lo, exec_lo, s79
	s_delay_alu instid0(SALU_CYCLE_1)
	s_and_not1_b32 s13, s73, exec_lo
	s_and_b32 s73, s77, exec_lo
	s_and_not1_b32 s72, s72, exec_lo
	s_and_b32 s76, s76, exec_lo
	s_or_b32 s73, s13, s73
	s_or_b32 s72, s72, s76
.LBB2_1973:                             ;   in Loop: Header=BB2_1974 Depth=4
	s_or_b32 exec_lo, exec_lo, s75
	s_delay_alu instid0(SALU_CYCLE_1) | instskip(NEXT) | instid1(SALU_CYCLE_1)
	s_and_b32 s13, exec_lo, s72
	s_or_b32 s62, s13, s62
	s_and_not1_b32 s13, s63, exec_lo
	s_and_b32 s63, s73, exec_lo
	s_delay_alu instid0(SALU_CYCLE_1)
	s_or_b32 s63, s13, s63
	s_and_not1_b32 exec_lo, exec_lo, s62
	s_cbranch_execz .LBB2_1978
.LBB2_1974:                             ;   Parent Loop BB2_47 Depth=1
                                        ;     Parent Loop BB2_271 Depth=2
                                        ;       Parent Loop BB2_1968 Depth=3
                                        ; =>      This Inner Loop Header: Depth=4
	s_sleep 1
	s_wait_loadcnt_dscnt 0x0
	flat_load_b64 v[34:35], v[22:23] scope:SCOPE_SYS
	s_or_b32 s73, s73, exec_lo
	s_or_b32 s72, s72, exec_lo
                                        ; implicit-def: $vgpr10
	s_wait_xcnt 0x0
	s_and_saveexec_b32 s75, vcc_lo
	s_cbranch_execz .LBB2_1973
; %bb.1975:                             ;   in Loop: Header=BB2_1974 Depth=4
	s_cmp_lt_i32 s74, 0x270f
	s_mov_b32 s76, -1
	s_cselect_b32 s78, -1, 0
	s_cmp_gt_i32 s74, 0x270e
	s_cbranch_scc0 .LBB2_1977
; %bb.1976:                             ;   in Loop: Header=BB2_1974 Depth=4
	s_trap 2
	ds_load_b64 v[10:11], v0
	s_and_not1_b32 s74, s78, exec_lo
	s_mov_b32 s77, 0
	s_wait_storecnt 0x0
	s_wait_loadcnt_dscnt 0x0
	flat_load_b32 v10, v[10:11] scope:SCOPE_SYS
	s_wait_loadcnt_dscnt 0x0
	global_inv scope:SCOPE_SYS
	v_cmp_eq_u32_e64 s13, 0, v10
	s_and_b32 s13, s13, exec_lo
	s_delay_alu instid0(SALU_CYCLE_1)
	s_or_b32 s78, s74, s13
	s_mov_b32 s74, 0
	s_and_saveexec_b32 s79, s78
	s_cbranch_execz .LBB2_1972
	s_branch .LBB2_1971
.LBB2_1977:                             ;   in Loop: Header=BB2_1974 Depth=4
	s_add_co_i32 s74, s74, 1
	s_mov_b32 s77, -1
                                        ; implicit-def: $vgpr10
	s_and_saveexec_b32 s79, s78
	s_cbranch_execz .LBB2_1972
	s_branch .LBB2_1971
.LBB2_1978:                             ;   in Loop: Header=BB2_1968 Depth=3
	s_or_b32 exec_lo, exec_lo, s62
	s_xor_b32 s13, s63, -1
	s_delay_alu instid0(SALU_CYCLE_1) | instskip(NEXT) | instid1(SALU_CYCLE_1)
	s_and_saveexec_b32 s62, s13
	s_xor_b32 s13, exec_lo, s62
	s_cbranch_execz .LBB2_1980
; %bb.1979:                             ;   in Loop: Header=BB2_1968 Depth=3
	v_or_b32_e32 v30, 64, v30
	s_wait_storecnt 0x0
	s_wait_loadcnt_dscnt 0x0
	ds_store_b32 v0, v10
	s_trap 2
.LBB2_1980:                             ;   in Loop: Header=BB2_1968 Depth=3
	s_or_b32 exec_lo, exec_lo, s13
.LBB2_1981:                             ;   in Loop: Header=BB2_1968 Depth=3
	s_delay_alu instid0(SALU_CYCLE_1) | instskip(SKIP_2) | instid1(VALU_DEP_1)
	s_or_b32 exec_lo, exec_lo, s43
	v_and_b32_e32 v10, 0x108, v30
	;;#ASMSTART
	s_wakeup
	;;#ASMEND
	v_cmp_ne_u32_e32 vcc_lo, 0x108, v10
                                        ; implicit-def: $vgpr10_vgpr11
	s_and_saveexec_b32 s13, vcc_lo
	s_delay_alu instid0(SALU_CYCLE_1)
	s_xor_b32 s13, exec_lo, s13
; %bb.1982:                             ;   in Loop: Header=BB2_1968 Depth=3
	v_dual_mov_b32 v11, v3 :: v_dual_bitop2_b32 v10, 7, v98 bitop3:0x40
                                        ; implicit-def: $vgpr98_vgpr99
; %bb.1983:                             ;   in Loop: Header=BB2_1968 Depth=3
	s_and_not1_saveexec_b32 s13, s13
	s_cbranch_execz .LBB2_1985
; %bb.1984:                             ;   in Loop: Header=BB2_1968 Depth=3
	v_dual_ashrrev_i32 v113, 31, v112 :: v_dual_bitop2_b32 v10, 7, v98 bitop3:0x40
	v_mov_b32_e32 v11, v3
	s_delay_alu instid0(VALU_DEP_2)
	v_mad_nc_u64_u32 v[12:13], v10, 24, v[6:7]
	flat_store_b64 v[12:13], v[112:113] offset:8
.LBB2_1985:                             ;   in Loop: Header=BB2_1968 Depth=3
	s_wait_xcnt 0x0
	s_or_b32 exec_lo, exec_lo, s13
	v_and_b32_e32 v12, 0x100, v30
	s_mov_b32 s13, -1
	s_delay_alu instid0(VALU_DEP_1)
	v_cmp_ne_u32_e32 vcc_lo, 0, v12
                                        ; implicit-def: $vgpr12_vgpr13
	s_and_saveexec_b32 s43, vcc_lo
	s_cbranch_execz .LBB2_1989
; %bb.1986:                             ;   in Loop: Header=BB2_1968 Depth=3
	v_mad_nc_u64_u32 v[14:15], v10, 24, v[6:7]
	s_delay_alu instid0(VALU_DEP_1)
	v_mad_u32 v15, v11, 24, v15
	flat_load_b32 v12, v[14:15]
	s_wait_loadcnt_dscnt 0x0
	v_cmp_eq_u32_e64 s13, 1, v12
	v_cmp_ne_u32_e32 vcc_lo, 1, v12
                                        ; implicit-def: $vgpr12_vgpr13
	s_wait_xcnt 0x0
	s_and_saveexec_b32 s62, s13
	s_cbranch_execz .LBB2_1988
; %bb.1987:                             ;   in Loop: Header=BB2_1968 Depth=3
	flat_load_b32 v12, v[14:15] offset:4 scope:SCOPE_SYS
	s_wait_loadcnt_dscnt 0x0
	v_ashrrev_i32_e32 v13, 31, v12
.LBB2_1988:                             ;   in Loop: Header=BB2_1968 Depth=3
	s_wait_xcnt 0x0
	s_or_b32 exec_lo, exec_lo, s62
	s_delay_alu instid0(SALU_CYCLE_1)
	s_or_not1_b32 s13, vcc_lo, exec_lo
.LBB2_1989:                             ;   in Loop: Header=BB2_1968 Depth=3
	s_or_b32 exec_lo, exec_lo, s43
	s_and_saveexec_b32 s43, s13
; %bb.1990:                             ;   in Loop: Header=BB2_1968 Depth=3
	v_mul_u64_e32 v[12:13], v[10:11], v[24:25]
; %bb.1991:                             ;   in Loop: Header=BB2_1968 Depth=3
	s_or_b32 exec_lo, exec_lo, s43
	v_cmp_eq_u32_e32 vcc_lo, 0, v2
	s_delay_alu instid0(VALU_DEP_2) | instskip(SKIP_3) | instid1(VALU_DEP_1)
	v_add_nc_u64_e32 v[10:11], v[26:27], v[12:13]
	v_and_b32_e32 v14, 0x2000, v30
	s_mov_b32 s13, exec_lo
	v_cndmask_b32_e32 v2, 0xc8, v108, vcc_lo
	v_add_nc_u32_e32 v2, v0, v2
	ds_store_b64 v2, v[10:11] offset:584
	v_cmpx_ne_u32_e32 0, v14
	s_cbranch_execz .LBB2_1993
; %bb.1992:                             ;   in Loop: Header=BB2_1968 Depth=3
	ds_load_b64 v[10:11], v0 offset:872
	s_wait_dscnt 0x0
	v_add_nc_u64_e32 v[10:11], 1, v[10:11]
	ds_store_b64 v0, v[10:11] offset:872
.LBB2_1993:                             ;   in Loop: Header=BB2_1968 Depth=3
	s_or_b32 exec_lo, exec_lo, s13
	v_mov_b64_e32 v[98:99], v[8:9]
.LBB2_1994:                             ;   in Loop: Header=BB2_1968 Depth=3
	s_or_b32 exec_lo, exec_lo, s42
	s_xor_b32 s13, s29, -1
	s_delay_alu instid0(SALU_CYCLE_1) | instskip(NEXT) | instid1(SALU_CYCLE_1)
	s_and_b32 s13, exec_lo, s13
	s_or_b32 s18, s13, s18
	s_and_saveexec_b32 s13, s2
	s_cbranch_execz .LBB2_2013
; %bb.1995:                             ;   in Loop: Header=BB2_1968 Depth=3
	s_and_saveexec_b32 s29, s3
	s_delay_alu instid0(SALU_CYCLE_1)
	s_xor_b32 s29, exec_lo, s29
	s_cbranch_execz .LBB2_2010
; %bb.1996:                             ;   in Loop: Header=BB2_1968 Depth=3
	s_and_saveexec_b32 s42, s6
	s_cbranch_execz .LBB2_2009
; %bb.1997:                             ;   in Loop: Header=BB2_1968 Depth=3
	s_mov_b32 s62, exec_lo
	s_mov_b32 s43, exec_lo
	v_mbcnt_lo_u32_b32 v2, s62, 0
	global_wb scope:SCOPE_DEV
	s_wait_storecnt 0x0
	s_wait_loadcnt_dscnt 0x0
	global_inv scope:SCOPE_DEV
	v_cmpx_eq_u32_e32 0, v2
	s_cbranch_execz .LBB2_1999
; %bb.1998:                             ;   in Loop: Header=BB2_1968 Depth=3
	s_bcnt1_i32_b32 s62, s62
	s_delay_alu instid0(SALU_CYCLE_1)
	v_mov_b32_e32 v2, s62
	s_wait_loadcnt 0x0
	ds_add_u64 v0, v[2:3]
	s_trap 2
.LBB2_1999:                             ;   in Loop: Header=BB2_1968 Depth=3
	s_or_b32 exec_lo, exec_lo, s43
	s_trap 2
	ds_load_b64 v[8:9], v0
	s_wait_dscnt 0x0
	v_add_nc_u64_e32 v[32:33], v[32:33], v[36:37]
	s_mov_b32 s43, exec_lo
	s_delay_alu instid0(VALU_DEP_1)
	v_cmpx_lt_u64_e64 v[8:9], v[32:33]
	s_cbranch_execz .LBB2_2008
; %bb.2000:                             ;   in Loop: Header=BB2_1968 Depth=3
	s_mov_b32 s62, 0
	s_mov_b32 s73, 0
                                        ; implicit-def: $sgpr63
                                        ; implicit-def: $sgpr72
	s_branch .LBB2_2002
.LBB2_2001:                             ;   in Loop: Header=BB2_2002 Depth=4
	s_or_b32 exec_lo, exec_lo, s75
	s_delay_alu instid0(SALU_CYCLE_1) | instskip(NEXT) | instid1(SALU_CYCLE_1)
	s_and_b32 s74, exec_lo, s76
	s_or_b32 s62, s74, s62
	s_and_not1_b32 s63, s63, exec_lo
	s_and_b32 s74, s72, exec_lo
	s_delay_alu instid0(SALU_CYCLE_1)
	s_or_b32 s63, s63, s74
	s_and_not1_b32 exec_lo, exec_lo, s62
	s_cbranch_execz .LBB2_2006
.LBB2_2002:                             ;   Parent Loop BB2_47 Depth=1
                                        ;     Parent Loop BB2_271 Depth=2
                                        ;       Parent Loop BB2_1968 Depth=3
                                        ; =>      This Inner Loop Header: Depth=4
	s_add_co_i32 s73, s73, 1
	s_delay_alu instid0(SALU_CYCLE_1) | instskip(SKIP_1) | instid1(SALU_CYCLE_1)
	s_cmp_lg_u32 s73, 0x2710
	s_cselect_b32 s74, -1, 0
	s_and_b32 vcc_lo, exec_lo, s74
	s_cbranch_vccz .LBB2_2004
; %bb.2003:                             ;   in Loop: Header=BB2_2002 Depth=4
	s_mov_b32 s76, -1
	s_or_b32 s72, s72, exec_lo
	s_and_saveexec_b32 s75, s74
	s_cbranch_execz .LBB2_2001
	s_branch .LBB2_2005
.LBB2_2004:                             ;   in Loop: Header=BB2_2002 Depth=4
	s_trap 2
	ds_load_b64 v[8:9], v0
	s_and_not1_b32 s74, s74, exec_lo
	s_mov_b32 s73, 0
	s_wait_loadcnt_dscnt 0x0
	flat_load_b32 v2, v[8:9] scope:SCOPE_SYS
	s_wait_loadcnt_dscnt 0x0
	global_inv scope:SCOPE_SYS
	v_cmp_eq_u32_e32 vcc_lo, 0, v2
	s_and_b32 s75, vcc_lo, exec_lo
	s_delay_alu instid0(SALU_CYCLE_1)
	s_or_b32 s74, s74, s75
	s_mov_b32 s76, -1
	s_or_b32 s72, s72, exec_lo
	s_and_saveexec_b32 s75, s74
	s_cbranch_execz .LBB2_2001
.LBB2_2005:                             ;   in Loop: Header=BB2_2002 Depth=4
	s_sleep 1
	s_trap 2
	ds_load_b64 v[8:9], v0
	s_wait_dscnt 0x0
	s_and_not1_b32 s72, s72, exec_lo
	v_cmp_ge_u64_e32 vcc_lo, v[8:9], v[32:33]
	s_or_not1_b32 s76, vcc_lo, exec_lo
	s_branch .LBB2_2001
.LBB2_2006:                             ;   in Loop: Header=BB2_1968 Depth=3
	s_or_b32 exec_lo, exec_lo, s62
	s_and_saveexec_b32 s62, s63
	s_delay_alu instid0(SALU_CYCLE_1)
	s_xor_b32 s62, exec_lo, s62
	s_cbranch_execz .LBB2_2008
; %bb.2007:                             ;   in Loop: Header=BB2_1968 Depth=3
	ds_store_b32 v0, v107
	s_trap 2
.LBB2_2008:                             ;   in Loop: Header=BB2_1968 Depth=3
	s_or_b32 exec_lo, exec_lo, s43
	;;#ASMSTART
	s_wakeup
	;;#ASMEND
.LBB2_2009:                             ;   in Loop: Header=BB2_1968 Depth=3
	s_or_b32 exec_lo, exec_lo, s42
.LBB2_2010:                             ;   in Loop: Header=BB2_1968 Depth=3
	s_and_not1_saveexec_b32 s29, s29
	s_cbranch_execz .LBB2_2012
; %bb.2011:                             ;   in Loop: Header=BB2_1968 Depth=3
	global_wb scope:SCOPE_DEV
	s_wait_storecnt 0x0
	s_wait_loadcnt_dscnt 0x0
	global_inv scope:SCOPE_DEV
	s_barrier_signal -1
	s_barrier_wait -1
.LBB2_2012:                             ;   in Loop: Header=BB2_1968 Depth=3
	s_or_b32 exec_lo, exec_lo, s29
.LBB2_2013:                             ;   in Loop: Header=BB2_1968 Depth=3
	s_delay_alu instid0(SALU_CYCLE_1) | instskip(SKIP_1) | instid1(SALU_CYCLE_1)
	s_or_b32 exec_lo, exec_lo, s13
                                        ; implicit-def: $vgpr2
	s_and_saveexec_b32 s13, s57
	s_xor_b32 s13, exec_lo, s13
	s_cbranch_execz .LBB2_2025
; %bb.2014:                             ;   in Loop: Header=BB2_1968 Depth=3
	s_and_saveexec_b32 s29, s3
	s_delay_alu instid0(SALU_CYCLE_1)
	s_xor_b32 s29, exec_lo, s29
	s_cbranch_execz .LBB2_2030
; %bb.2015:                             ;   in Loop: Header=BB2_1968 Depth=3
	s_and_saveexec_b32 s42, s6
	s_cbranch_execz .LBB2_2029
; %bb.2016:                             ;   in Loop: Header=BB2_1968 Depth=3
	s_mov_b32 s62, exec_lo
	s_mov_b32 s43, exec_lo
	v_mbcnt_lo_u32_b32 v2, s62, 0
	;;#ASMSTART
	s_waitcnt lgkmcnt(0) vmcnt(0)
	;;#ASMEND
	s_delay_alu instid0(VALU_DEP_1)
	v_cmpx_eq_u32_e32 0, v2
	s_cbranch_execz .LBB2_2018
; %bb.2017:                             ;   in Loop: Header=BB2_1968 Depth=3
	s_bcnt1_i32_b32 s62, s62
	s_delay_alu instid0(SALU_CYCLE_1)
	v_mov_b32_e32 v2, s62
	s_wait_storecnt 0x0
	s_wait_loadcnt_dscnt 0x0
	ds_add_u64 v0, v[2:3]
	s_trap 2
.LBB2_2018:                             ;   in Loop: Header=BB2_1968 Depth=3
	s_or_b32 exec_lo, exec_lo, s43
	s_trap 2
	ds_load_b64 v[8:9], v0
	s_wait_dscnt 0x0
	v_add_nc_u64_e32 v[32:33], v[32:33], v[36:37]
	s_mov_b32 s43, exec_lo
	s_delay_alu instid0(VALU_DEP_1)
	v_cmpx_lt_u64_e64 v[8:9], v[32:33]
	s_cbranch_execz .LBB2_2028
; %bb.2019:                             ;   in Loop: Header=BB2_1968 Depth=3
	s_mov_b32 s62, 0
	s_mov_b32 s73, 0
                                        ; implicit-def: $sgpr63
                                        ; implicit-def: $sgpr72
	s_branch .LBB2_2021
.LBB2_2020:                             ;   in Loop: Header=BB2_2021 Depth=4
	s_or_b32 exec_lo, exec_lo, s75
	s_delay_alu instid0(SALU_CYCLE_1) | instskip(NEXT) | instid1(SALU_CYCLE_1)
	s_and_b32 s74, exec_lo, s76
	s_or_b32 s62, s74, s62
	s_and_not1_b32 s63, s63, exec_lo
	s_and_b32 s74, s72, exec_lo
	s_delay_alu instid0(SALU_CYCLE_1)
	s_or_b32 s63, s63, s74
	s_and_not1_b32 exec_lo, exec_lo, s62
	s_cbranch_execz .LBB2_2026
.LBB2_2021:                             ;   Parent Loop BB2_47 Depth=1
                                        ;     Parent Loop BB2_271 Depth=2
                                        ;       Parent Loop BB2_1968 Depth=3
                                        ; =>      This Inner Loop Header: Depth=4
	s_add_co_i32 s73, s73, 1
	s_delay_alu instid0(SALU_CYCLE_1) | instskip(SKIP_1) | instid1(SALU_CYCLE_1)
	s_cmp_lg_u32 s73, 0x2710
	s_cselect_b32 s74, -1, 0
	s_and_b32 vcc_lo, exec_lo, s74
	s_cbranch_vccz .LBB2_2023
; %bb.2022:                             ;   in Loop: Header=BB2_2021 Depth=4
	s_mov_b32 s76, -1
	s_or_b32 s72, s72, exec_lo
	s_and_saveexec_b32 s75, s74
	s_cbranch_execz .LBB2_2020
	s_branch .LBB2_2024
.LBB2_2023:                             ;   in Loop: Header=BB2_2021 Depth=4
	s_trap 2
	ds_load_b64 v[8:9], v0
	s_and_not1_b32 s74, s74, exec_lo
	s_mov_b32 s73, 0
	s_wait_storecnt 0x0
	s_wait_loadcnt_dscnt 0x0
	flat_load_b32 v2, v[8:9] scope:SCOPE_SYS
	s_wait_loadcnt_dscnt 0x0
	global_inv scope:SCOPE_SYS
	v_cmp_eq_u32_e32 vcc_lo, 0, v2
	s_and_b32 s75, vcc_lo, exec_lo
	s_delay_alu instid0(SALU_CYCLE_1)
	s_or_b32 s74, s74, s75
	s_mov_b32 s76, -1
	s_or_b32 s72, s72, exec_lo
	s_and_saveexec_b32 s75, s74
	s_cbranch_execz .LBB2_2020
.LBB2_2024:                             ;   in Loop: Header=BB2_2021 Depth=4
	s_sleep 1
	s_trap 2
	ds_load_b64 v[8:9], v0
	s_wait_dscnt 0x0
	s_and_not1_b32 s72, s72, exec_lo
	v_cmp_ge_u64_e32 vcc_lo, v[8:9], v[32:33]
	s_or_not1_b32 s76, vcc_lo, exec_lo
	s_branch .LBB2_2020
.LBB2_2025:                             ;   in Loop: Header=BB2_1968 Depth=3
	s_and_not1_saveexec_b32 s29, s13
	s_cbranch_execnz .LBB2_2033
	s_branch .LBB2_2036
.LBB2_2026:                             ;   in Loop: Header=BB2_1968 Depth=3
	s_or_b32 exec_lo, exec_lo, s62
	s_and_saveexec_b32 s62, s63
	s_delay_alu instid0(SALU_CYCLE_1)
	s_xor_b32 s62, exec_lo, s62
	s_cbranch_execz .LBB2_2028
; %bb.2027:                             ;   in Loop: Header=BB2_1968 Depth=3
	ds_store_b32 v0, v107
	s_trap 2
.LBB2_2028:                             ;   in Loop: Header=BB2_1968 Depth=3
	s_or_b32 exec_lo, exec_lo, s43
	;;#ASMSTART
	s_wakeup
	;;#ASMEND
.LBB2_2029:                             ;   in Loop: Header=BB2_1968 Depth=3
	s_or_b32 exec_lo, exec_lo, s42
.LBB2_2030:                             ;   in Loop: Header=BB2_1968 Depth=3
	s_and_not1_saveexec_b32 s29, s29
	s_cbranch_execz .LBB2_2032
; %bb.2031:                             ;   in Loop: Header=BB2_1968 Depth=3
	;;#ASMSTART
	s_waitcnt lgkmcnt(0) vmcnt(0)
	;;#ASMEND
	s_barrier_signal -1
	s_barrier_wait -1
.LBB2_2032:                             ;   in Loop: Header=BB2_1968 Depth=3
	s_or_b32 exec_lo, exec_lo, s29
	v_and_b32_e32 v2, 16, v30
	s_and_not1_saveexec_b32 s29, s13
	s_cbranch_execz .LBB2_2036
.LBB2_2033:                             ;   in Loop: Header=BB2_1968 Depth=3
	s_trap 2
	ds_load_b32 v2, v0
	v_cmp_lt_i32_e32 vcc_lo, 0, v112
	s_wait_dscnt 0x0
	v_readfirstlane_b32 s13, v2
	v_and_b32_e32 v2, 16, v30
	s_cmp_eq_u32 s13, 0
	s_delay_alu instid0(VALU_DEP_1) | instskip(SKIP_3) | instid1(SALU_CYCLE_1)
	v_cmp_ne_u32_e64 s13, 0, v2
	s_cselect_b32 s42, -1, 0
	v_and_b32_e32 v2, 16, v30
	s_and_b32 s42, vcc_lo, s42
	s_and_b32 s42, s13, s42
	s_delay_alu instid0(SALU_CYCLE_1)
	s_and_saveexec_b32 s13, s42
	s_cbranch_execz .LBB2_2035
; %bb.2034:                             ;   in Loop: Header=BB2_1968 Depth=3
	v_mov_b32_e32 v2, 1
	global_wb scope:SCOPE_SYS
	s_wait_loadcnt 0x0
	s_wait_storecnt 0x0
	global_inv scope:SCOPE_SYS
.LBB2_2035:                             ;   in Loop: Header=BB2_1968 Depth=3
	s_or_b32 exec_lo, exec_lo, s13
.LBB2_2036:                             ;   in Loop: Header=BB2_1968 Depth=3
	s_delay_alu instid0(SALU_CYCLE_1) | instskip(NEXT) | instid1(VALU_DEP_1)
	s_or_b32 exec_lo, exec_lo, s29
	v_cmp_ne_u32_e32 vcc_lo, 0, v2
	s_xor_b32 s13, s4, -1
	s_delay_alu instid0(SALU_CYCLE_1) | instskip(NEXT) | instid1(SALU_CYCLE_1)
	s_and_b32 s29, vcc_lo, s13
	s_and_saveexec_b32 s13, s29
	s_cbranch_execz .LBB2_2038
; %bb.2037:                             ;   in Loop: Header=BB2_1968 Depth=3
	global_wb scope:SCOPE_SYS
	s_wait_storecnt 0x0
	s_wait_loadcnt_dscnt 0x0
	flat_store_b32 v[28:29], v107 scope:SCOPE_SYS
.LBB2_2038:                             ;   in Loop: Header=BB2_1968 Depth=3
	s_wait_xcnt 0x0
	s_or_b32 exec_lo, exec_lo, s13
	v_and_b32_e32 v2, 48, v30
	s_mov_b32 s13, exec_lo
	s_delay_alu instid0(VALU_DEP_1)
	v_cmpx_ne_u32_e32 0, v2
	s_cbranch_execz .LBB2_1967
; %bb.2039:                             ;   in Loop: Header=BB2_1968 Depth=3
	v_add_nc_u64_e32 v[98:99], 2, v[98:99]
	global_wb scope:SCOPE_SYS
	s_wait_storecnt 0x0
	s_wait_loadcnt_dscnt 0x0
	flat_store_b64 v[22:23], v[98:99] scope:SCOPE_SYS
	s_branch .LBB2_1967
.LBB2_2040:                             ;   in Loop: Header=BB2_47 Depth=1
	v_mul_u64_e32 v[8:9], s[16:17], v[96:97]
	v_mov_b32_e32 v114, 0
	s_delay_alu instid0(VALU_DEP_2) | instskip(NEXT) | instid1(VALU_DEP_1)
	v_sub_nc_u64_e32 v[10:11], v[100:101], v[8:9]
	v_min_i64 v[10:11], v[96:97], v[10:11]
	s_delay_alu instid0(VALU_DEP_1) | instskip(SKIP_1) | instid1(VALU_DEP_2)
	v_max_i32_e32 v123, 0, v10
	v_cmp_lt_i32_e32 vcc_lo, 0, v10
	v_add_nc_u32_e32 v2, 31, v123
	s_and_b32 s13, s59, vcc_lo
	s_delay_alu instid0(VALU_DEP_1) | instskip(NEXT) | instid1(VALU_DEP_1)
	v_lshrrev_b32_e32 v2, 1, v2
	v_and_b32_e32 v11, 0x3ffffff0, v2
	s_delay_alu instid0(VALU_DEP_1)
	v_dual_mov_b32 v2, 0 :: v_dual_max_i32 v112, s47, v11
	s_and_saveexec_b32 s18, s13
	s_cbranch_execz .LBB2_5319
; %bb.2041:                             ;   in Loop: Header=BB2_47 Depth=1
	v_add_nc_u64_e32 v[116:117], v[8:9], v[102:103]
	v_mov_b32_e32 v114, 0
	s_mov_b32 s63, 1
	s_mov_b32 s62, -1
	s_mov_b32 s29, 0
	s_branch .LBB2_2043
.LBB2_2042:                             ;   in Loop: Header=BB2_2043 Depth=2
	s_wait_xcnt 0x0
	s_or_b32 exec_lo, exec_lo, s13
	v_dual_add_nc_u32 v114, v112, v114 :: v_dual_mov_b32 v2, s63
	s_xor_b32 s13, s62, -1
	s_mov_b32 s62, 0
	s_mov_b32 s63, 2
	s_delay_alu instid0(VALU_DEP_1) | instskip(SKIP_1) | instid1(SALU_CYCLE_1)
	v_cmp_ge_i32_e32 vcc_lo, v114, v123
	s_or_b32 s13, s13, vcc_lo
	s_and_b32 s13, exec_lo, s13
	s_delay_alu instid0(SALU_CYCLE_1) | instskip(NEXT) | instid1(SALU_CYCLE_1)
	s_or_b32 s29, s13, s29
	s_and_not1_b32 exec_lo, exec_lo, s29
	s_cbranch_execz .LBB2_5318
.LBB2_2043:                             ;   Parent Loop BB2_47 Depth=1
                                        ; =>  This Loop Header: Depth=2
                                        ;       Child Loop BB2_2051 Depth 3
                                        ;       Child Loop BB2_2079 Depth 3
	;; [unrolled: 1-line block ×4, first 2 shown]
                                        ;         Child Loop BB2_2674 Depth 4
                                        ;       Child Loop BB2_2704 Depth 3
                                        ;         Child Loop BB2_3257 Depth 4
                                        ;       Child Loop BB2_3292 Depth 3
                                        ;       Child Loop BB2_3647 Depth 3
                                        ;         Child Loop BB2_3692 Depth 4
                                        ;       Child Loop BB2_3706 Depth 3
                                        ;       Child Loop BB2_4287 Depth 3
	;; [unrolled: 1-line block ×6, first 2 shown]
	s_and_saveexec_b32 s13, s0
	s_cbranch_execz .LBB2_2045
; %bb.2044:                             ;   in Loop: Header=BB2_2043 Depth=2
	s_trap 2
	ds_load_b64 v[12:13], v0
	ds_load_2addr_b64 v[8:11], v0 offset1:1
	s_wait_dscnt 0x1
	v_add_nc_u64_e32 v[14:15], v[12:13], v[116:117]
	v_cmp_ne_u64_e32 vcc_lo, 0, v[12:13]
	v_ashrrev_i32_e32 v115, 31, v114
	s_wait_dscnt 0x0
	v_add_nc_u64_e32 v[8:9], v[8:9], v[116:117]
	v_add_nc_u64_e32 v[10:11], v[10:11], v[116:117]
	s_delay_alu instid0(VALU_DEP_3) | instskip(NEXT) | instid1(VALU_DEP_1)
	v_add_nc_u64_e32 v[14:15], v[14:15], v[114:115]
	v_cndmask_b32_e32 v13, 0, v15, vcc_lo
	s_delay_alu instid0(VALU_DEP_4) | instskip(NEXT) | instid1(VALU_DEP_4)
	v_add_nc_u64_e32 v[8:9], v[8:9], v[114:115]
	v_add_nc_u64_e32 v[10:11], v[10:11], v[114:115]
	s_delay_alu instid0(VALU_DEP_4)
	v_cndmask_b32_e32 v12, 0, v14, vcc_lo
	ds_store_b64 v0, v[8:9]
	ds_store_b64 v0, v[10:11]
	;; [unrolled: 1-line block ×3, first 2 shown]
.LBB2_2045:                             ;   in Loop: Header=BB2_2043 Depth=2
	s_or_b32 exec_lo, exec_lo, s13
	v_sub_nc_u32_e32 v2, v123, v114
	v_and_b32_e32 v8, 12, v30
	s_mov_b32 s14, exec_lo
	s_delay_alu instid0(VALU_DEP_2) | instskip(NEXT) | instid1(VALU_DEP_2)
	v_min_i32_e32 v112, v112, v2
	v_cmpx_ne_u32_e32 0, v8
	s_cbranch_execz .LBB2_2071
; %bb.2046:                             ;   in Loop: Header=BB2_2043 Depth=2
	v_and_b32_e32 v2, 8, v30
	v_add_nc_u64_e32 v[8:9], 2, v[98:99]
	s_mov_b32 s15, exec_lo
	s_wait_loadcnt_dscnt 0x1
	s_delay_alu instid0(VALU_DEP_2) | instskip(NEXT) | instid1(VALU_DEP_1)
	v_add_nc_u64_e32 v[10:11], v[34:35], v[2:3]
	v_cmpx_lt_u64_e64 v[10:11], v[8:9]
	s_cbranch_execz .LBB2_2058
; %bb.2047:                             ;   in Loop: Header=BB2_2043 Depth=2
	v_and_b32_e32 v10, 64, v30
	s_mov_b32 s42, 0
	s_mov_b32 s74, 0
                                        ; implicit-def: $sgpr43
                                        ; implicit-def: $sgpr72
                                        ; implicit-def: $sgpr73
	s_delay_alu instid0(VALU_DEP_1)
	v_cmp_eq_u32_e32 vcc_lo, 0, v10
	s_branch .LBB2_2051
.LBB2_2048:                             ;   in Loop: Header=BB2_2051 Depth=3
	s_wait_loadcnt_dscnt 0x0
	v_add_nc_u64_e32 v[12:13], v[34:35], v[2:3]
	s_or_b32 s77, s77, exec_lo
	s_delay_alu instid0(VALU_DEP_1)
	v_cmp_ge_u64_e64 s13, v[12:13], v[8:9]
	s_or_not1_b32 s76, s13, exec_lo
.LBB2_2049:                             ;   in Loop: Header=BB2_2051 Depth=3
	s_or_b32 exec_lo, exec_lo, s79
	s_delay_alu instid0(SALU_CYCLE_1)
	s_and_not1_b32 s13, s73, exec_lo
	s_and_b32 s73, s77, exec_lo
	s_and_not1_b32 s72, s72, exec_lo
	s_and_b32 s76, s76, exec_lo
	s_or_b32 s73, s13, s73
	s_or_b32 s72, s72, s76
.LBB2_2050:                             ;   in Loop: Header=BB2_2051 Depth=3
	s_or_b32 exec_lo, exec_lo, s75
	s_delay_alu instid0(SALU_CYCLE_1) | instskip(NEXT) | instid1(SALU_CYCLE_1)
	s_and_b32 s13, exec_lo, s72
	s_or_b32 s42, s13, s42
	s_and_not1_b32 s13, s43, exec_lo
	s_and_b32 s43, s73, exec_lo
	s_delay_alu instid0(SALU_CYCLE_1)
	s_or_b32 s43, s13, s43
	s_and_not1_b32 exec_lo, exec_lo, s42
	s_cbranch_execz .LBB2_2055
.LBB2_2051:                             ;   Parent Loop BB2_47 Depth=1
                                        ;     Parent Loop BB2_2043 Depth=2
                                        ; =>    This Inner Loop Header: Depth=3
	s_sleep 1
	s_wait_loadcnt_dscnt 0x0
	flat_load_b64 v[34:35], v[22:23] scope:SCOPE_SYS
	s_or_b32 s73, s73, exec_lo
	s_or_b32 s72, s72, exec_lo
                                        ; implicit-def: $vgpr10
	s_wait_xcnt 0x0
	s_and_saveexec_b32 s75, vcc_lo
	s_cbranch_execz .LBB2_2050
; %bb.2052:                             ;   in Loop: Header=BB2_2051 Depth=3
	s_cmp_lt_i32 s74, 0x270f
	s_mov_b32 s76, -1
	s_cselect_b32 s78, -1, 0
	s_cmp_gt_i32 s74, 0x270e
	s_cbranch_scc0 .LBB2_2054
; %bb.2053:                             ;   in Loop: Header=BB2_2051 Depth=3
	s_trap 2
	ds_load_b64 v[10:11], v0
	s_and_not1_b32 s74, s78, exec_lo
	s_mov_b32 s77, 0
	s_wait_storecnt 0x0
	s_wait_loadcnt_dscnt 0x0
	flat_load_b32 v10, v[10:11] scope:SCOPE_SYS
	s_wait_loadcnt_dscnt 0x0
	global_inv scope:SCOPE_SYS
	v_cmp_eq_u32_e64 s13, 0, v10
	s_and_b32 s13, s13, exec_lo
	s_delay_alu instid0(SALU_CYCLE_1)
	s_or_b32 s78, s74, s13
	s_mov_b32 s74, 0
	s_and_saveexec_b32 s79, s78
	s_cbranch_execz .LBB2_2049
	s_branch .LBB2_2048
.LBB2_2054:                             ;   in Loop: Header=BB2_2051 Depth=3
	s_add_co_i32 s74, s74, 1
	s_mov_b32 s77, -1
                                        ; implicit-def: $vgpr10
	s_and_saveexec_b32 s79, s78
	s_cbranch_execz .LBB2_2049
	s_branch .LBB2_2048
.LBB2_2055:                             ;   in Loop: Header=BB2_2043 Depth=2
	s_or_b32 exec_lo, exec_lo, s42
	s_xor_b32 s13, s43, -1
	s_delay_alu instid0(SALU_CYCLE_1) | instskip(NEXT) | instid1(SALU_CYCLE_1)
	s_and_saveexec_b32 s42, s13
	s_xor_b32 s13, exec_lo, s42
	s_cbranch_execz .LBB2_2057
; %bb.2056:                             ;   in Loop: Header=BB2_2043 Depth=2
	v_or_b32_e32 v30, 64, v30
	s_wait_storecnt 0x0
	s_wait_loadcnt_dscnt 0x0
	ds_store_b32 v0, v10
	s_trap 2
.LBB2_2057:                             ;   in Loop: Header=BB2_2043 Depth=2
	s_or_b32 exec_lo, exec_lo, s13
.LBB2_2058:                             ;   in Loop: Header=BB2_2043 Depth=2
	s_delay_alu instid0(SALU_CYCLE_1) | instskip(SKIP_2) | instid1(VALU_DEP_1)
	s_or_b32 exec_lo, exec_lo, s15
	v_and_b32_e32 v10, 0x108, v30
	;;#ASMSTART
	s_wakeup
	;;#ASMEND
	v_cmp_ne_u32_e32 vcc_lo, 0x108, v10
                                        ; implicit-def: $vgpr10_vgpr11
	s_and_saveexec_b32 s13, vcc_lo
	s_delay_alu instid0(SALU_CYCLE_1)
	s_xor_b32 s13, exec_lo, s13
; %bb.2059:                             ;   in Loop: Header=BB2_2043 Depth=2
	v_dual_mov_b32 v11, v3 :: v_dual_bitop2_b32 v10, 7, v98 bitop3:0x40
                                        ; implicit-def: $vgpr98_vgpr99
; %bb.2060:                             ;   in Loop: Header=BB2_2043 Depth=2
	s_and_not1_saveexec_b32 s13, s13
	s_cbranch_execz .LBB2_2062
; %bb.2061:                             ;   in Loop: Header=BB2_2043 Depth=2
	v_dual_ashrrev_i32 v113, 31, v112 :: v_dual_bitop2_b32 v10, 7, v98 bitop3:0x40
	v_mov_b32_e32 v11, v3
	s_delay_alu instid0(VALU_DEP_2)
	v_mad_nc_u64_u32 v[12:13], v10, 24, v[6:7]
	flat_store_b64 v[12:13], v[112:113] offset:8
.LBB2_2062:                             ;   in Loop: Header=BB2_2043 Depth=2
	s_wait_xcnt 0x0
	s_or_b32 exec_lo, exec_lo, s13
	v_and_b32_e32 v12, 0x100, v30
	s_mov_b32 s13, -1
	s_delay_alu instid0(VALU_DEP_1)
	v_cmp_ne_u32_e32 vcc_lo, 0, v12
                                        ; implicit-def: $vgpr12_vgpr13
	s_and_saveexec_b32 s15, vcc_lo
	s_cbranch_execz .LBB2_2066
; %bb.2063:                             ;   in Loop: Header=BB2_2043 Depth=2
	v_mad_nc_u64_u32 v[14:15], v10, 24, v[6:7]
	s_delay_alu instid0(VALU_DEP_1)
	v_mad_u32 v15, v11, 24, v15
	flat_load_b32 v12, v[14:15]
	s_wait_loadcnt_dscnt 0x0
	v_cmp_eq_u32_e64 s13, 1, v12
	v_cmp_ne_u32_e32 vcc_lo, 1, v12
                                        ; implicit-def: $vgpr12_vgpr13
	s_wait_xcnt 0x0
	s_and_saveexec_b32 s42, s13
	s_cbranch_execz .LBB2_2065
; %bb.2064:                             ;   in Loop: Header=BB2_2043 Depth=2
	flat_load_b32 v12, v[14:15] offset:4 scope:SCOPE_SYS
	s_wait_loadcnt_dscnt 0x0
	v_ashrrev_i32_e32 v13, 31, v12
.LBB2_2065:                             ;   in Loop: Header=BB2_2043 Depth=2
	s_wait_xcnt 0x0
	s_or_b32 exec_lo, exec_lo, s42
	s_delay_alu instid0(SALU_CYCLE_1)
	s_or_not1_b32 s13, vcc_lo, exec_lo
.LBB2_2066:                             ;   in Loop: Header=BB2_2043 Depth=2
	s_or_b32 exec_lo, exec_lo, s15
	s_and_saveexec_b32 s15, s13
; %bb.2067:                             ;   in Loop: Header=BB2_2043 Depth=2
	v_mul_u64_e32 v[12:13], v[10:11], v[24:25]
; %bb.2068:                             ;   in Loop: Header=BB2_2043 Depth=2
	s_or_b32 exec_lo, exec_lo, s15
	v_cmp_eq_u32_e32 vcc_lo, 0, v2
	s_delay_alu instid0(VALU_DEP_2) | instskip(SKIP_3) | instid1(VALU_DEP_1)
	v_add_nc_u64_e32 v[10:11], v[26:27], v[12:13]
	v_and_b32_e32 v14, 0x2000, v30
	s_mov_b32 s13, exec_lo
	v_cndmask_b32_e32 v2, 0xd0, v108, vcc_lo
	v_add_nc_u32_e32 v2, v0, v2
	ds_store_b64 v2, v[10:11] offset:584
	v_cmpx_ne_u32_e32 0, v14
	s_cbranch_execz .LBB2_2070
; %bb.2069:                             ;   in Loop: Header=BB2_2043 Depth=2
	ds_load_b64 v[10:11], v0 offset:872
	s_wait_dscnt 0x0
	v_add_nc_u64_e32 v[10:11], 1, v[10:11]
	ds_store_b64 v0, v[10:11] offset:872
.LBB2_2070:                             ;   in Loop: Header=BB2_2043 Depth=2
	s_or_b32 exec_lo, exec_lo, s13
	v_mov_b64_e32 v[98:99], v[8:9]
.LBB2_2071:                             ;   in Loop: Header=BB2_2043 Depth=2
	s_or_b32 exec_lo, exec_lo, s14
	s_and_saveexec_b32 s13, s2
	s_cbranch_execz .LBB2_2090
; %bb.2072:                             ;   in Loop: Header=BB2_2043 Depth=2
	s_and_saveexec_b32 s14, s3
	s_delay_alu instid0(SALU_CYCLE_1)
	s_xor_b32 s14, exec_lo, s14
	s_cbranch_execz .LBB2_2087
; %bb.2073:                             ;   in Loop: Header=BB2_2043 Depth=2
	s_and_saveexec_b32 s15, s6
	s_cbranch_execz .LBB2_2086
; %bb.2074:                             ;   in Loop: Header=BB2_2043 Depth=2
	s_mov_b32 s43, exec_lo
	s_mov_b32 s42, exec_lo
	v_mbcnt_lo_u32_b32 v2, s43, 0
	global_wb scope:SCOPE_DEV
	s_wait_storecnt 0x0
	s_wait_loadcnt_dscnt 0x0
	global_inv scope:SCOPE_DEV
	v_cmpx_eq_u32_e32 0, v2
	s_cbranch_execz .LBB2_2076
; %bb.2075:                             ;   in Loop: Header=BB2_2043 Depth=2
	s_bcnt1_i32_b32 s43, s43
	s_delay_alu instid0(SALU_CYCLE_1)
	v_mov_b32_e32 v2, s43
	s_wait_loadcnt 0x0
	ds_add_u64 v0, v[2:3]
	s_trap 2
.LBB2_2076:                             ;   in Loop: Header=BB2_2043 Depth=2
	s_or_b32 exec_lo, exec_lo, s42
	s_trap 2
	ds_load_b64 v[8:9], v0
	s_wait_dscnt 0x0
	v_add_nc_u64_e32 v[32:33], v[32:33], v[36:37]
	s_mov_b32 s42, exec_lo
	s_delay_alu instid0(VALU_DEP_1)
	v_cmpx_lt_u64_e64 v[8:9], v[32:33]
	s_cbranch_execz .LBB2_2085
; %bb.2077:                             ;   in Loop: Header=BB2_2043 Depth=2
	s_mov_b32 s43, 0
	s_mov_b32 s74, 0
                                        ; implicit-def: $sgpr72
                                        ; implicit-def: $sgpr73
	s_branch .LBB2_2079
.LBB2_2078:                             ;   in Loop: Header=BB2_2079 Depth=3
	s_or_b32 exec_lo, exec_lo, s76
	s_delay_alu instid0(SALU_CYCLE_1) | instskip(NEXT) | instid1(SALU_CYCLE_1)
	s_and_b32 s75, exec_lo, s77
	s_or_b32 s43, s75, s43
	s_and_not1_b32 s72, s72, exec_lo
	s_and_b32 s75, s73, exec_lo
	s_delay_alu instid0(SALU_CYCLE_1)
	s_or_b32 s72, s72, s75
	s_and_not1_b32 exec_lo, exec_lo, s43
	s_cbranch_execz .LBB2_2083
.LBB2_2079:                             ;   Parent Loop BB2_47 Depth=1
                                        ;     Parent Loop BB2_2043 Depth=2
                                        ; =>    This Inner Loop Header: Depth=3
	s_add_co_i32 s74, s74, 1
	s_delay_alu instid0(SALU_CYCLE_1) | instskip(SKIP_1) | instid1(SALU_CYCLE_1)
	s_cmp_lg_u32 s74, 0x2710
	s_cselect_b32 s75, -1, 0
	s_and_b32 vcc_lo, exec_lo, s75
	s_cbranch_vccz .LBB2_2081
; %bb.2080:                             ;   in Loop: Header=BB2_2079 Depth=3
	s_mov_b32 s77, -1
	s_or_b32 s73, s73, exec_lo
	s_and_saveexec_b32 s76, s75
	s_cbranch_execz .LBB2_2078
	s_branch .LBB2_2082
.LBB2_2081:                             ;   in Loop: Header=BB2_2079 Depth=3
	s_trap 2
	ds_load_b64 v[8:9], v0
	s_and_not1_b32 s75, s75, exec_lo
	s_mov_b32 s74, 0
	s_wait_loadcnt_dscnt 0x0
	flat_load_b32 v2, v[8:9] scope:SCOPE_SYS
	s_wait_loadcnt_dscnt 0x0
	global_inv scope:SCOPE_SYS
	v_cmp_eq_u32_e32 vcc_lo, 0, v2
	s_and_b32 s76, vcc_lo, exec_lo
	s_delay_alu instid0(SALU_CYCLE_1)
	s_or_b32 s75, s75, s76
	s_mov_b32 s77, -1
	s_or_b32 s73, s73, exec_lo
	s_and_saveexec_b32 s76, s75
	s_cbranch_execz .LBB2_2078
.LBB2_2082:                             ;   in Loop: Header=BB2_2079 Depth=3
	s_sleep 1
	s_trap 2
	ds_load_b64 v[8:9], v0
	s_wait_dscnt 0x0
	s_and_not1_b32 s73, s73, exec_lo
	v_cmp_ge_u64_e32 vcc_lo, v[8:9], v[32:33]
	s_or_not1_b32 s77, vcc_lo, exec_lo
	s_branch .LBB2_2078
.LBB2_2083:                             ;   in Loop: Header=BB2_2043 Depth=2
	s_or_b32 exec_lo, exec_lo, s43
	s_and_saveexec_b32 s43, s72
	s_delay_alu instid0(SALU_CYCLE_1)
	s_xor_b32 s43, exec_lo, s43
	s_cbranch_execz .LBB2_2085
; %bb.2084:                             ;   in Loop: Header=BB2_2043 Depth=2
	ds_store_b32 v0, v107
	s_trap 2
.LBB2_2085:                             ;   in Loop: Header=BB2_2043 Depth=2
	s_or_b32 exec_lo, exec_lo, s42
	;;#ASMSTART
	s_wakeup
	;;#ASMEND
.LBB2_2086:                             ;   in Loop: Header=BB2_2043 Depth=2
	s_or_b32 exec_lo, exec_lo, s15
.LBB2_2087:                             ;   in Loop: Header=BB2_2043 Depth=2
	s_and_not1_saveexec_b32 s14, s14
	s_cbranch_execz .LBB2_2089
; %bb.2088:                             ;   in Loop: Header=BB2_2043 Depth=2
	global_wb scope:SCOPE_DEV
	s_wait_storecnt 0x0
	s_wait_loadcnt_dscnt 0x0
	global_inv scope:SCOPE_DEV
	s_barrier_signal -1
	s_barrier_wait -1
.LBB2_2089:                             ;   in Loop: Header=BB2_2043 Depth=2
	s_or_b32 exec_lo, exec_lo, s14
.LBB2_2090:                             ;   in Loop: Header=BB2_2043 Depth=2
	s_delay_alu instid0(SALU_CYCLE_1) | instskip(SKIP_4) | instid1(VALU_DEP_1)
	s_or_b32 exec_lo, exec_lo, s13
	s_trap 2
	ds_load_b32 v8, v0
	v_and_b32_e32 v2, 0x4000, v30
	s_xor_b32 s13, s1, -1
	v_cmp_ne_u32_e32 vcc_lo, 0, v2
	s_and_b32 s14, s13, vcc_lo
	s_delay_alu instid0(SALU_CYCLE_1)
	s_and_saveexec_b32 s13, s14
	s_cbranch_execz .LBB2_2109
; %bb.2091:                             ;   in Loop: Header=BB2_2043 Depth=2
	s_and_saveexec_b32 s14, s3
	s_delay_alu instid0(SALU_CYCLE_1)
	s_xor_b32 s14, exec_lo, s14
	s_cbranch_execz .LBB2_2106
; %bb.2092:                             ;   in Loop: Header=BB2_2043 Depth=2
	s_and_saveexec_b32 s15, s6
	s_cbranch_execz .LBB2_2105
; %bb.2093:                             ;   in Loop: Header=BB2_2043 Depth=2
	s_mov_b32 s43, exec_lo
	s_mov_b32 s42, exec_lo
	v_mbcnt_lo_u32_b32 v2, s43, 0
	global_wb scope:SCOPE_DEV
	s_wait_storecnt 0x0
	s_wait_loadcnt_dscnt 0x0
	global_inv scope:SCOPE_DEV
	v_cmpx_eq_u32_e32 0, v2
	s_cbranch_execz .LBB2_2095
; %bb.2094:                             ;   in Loop: Header=BB2_2043 Depth=2
	s_bcnt1_i32_b32 s43, s43
	s_delay_alu instid0(SALU_CYCLE_1)
	v_mov_b32_e32 v2, s43
	s_wait_loadcnt 0x0
	ds_add_u64 v0, v[2:3]
	s_trap 2
.LBB2_2095:                             ;   in Loop: Header=BB2_2043 Depth=2
	s_or_b32 exec_lo, exec_lo, s42
	s_trap 2
	ds_load_b64 v[10:11], v0
	s_wait_dscnt 0x0
	v_add_nc_u64_e32 v[32:33], v[32:33], v[36:37]
	s_mov_b32 s42, exec_lo
	s_delay_alu instid0(VALU_DEP_1)
	v_cmpx_lt_u64_e64 v[10:11], v[32:33]
	s_cbranch_execz .LBB2_2104
; %bb.2096:                             ;   in Loop: Header=BB2_2043 Depth=2
	s_mov_b32 s43, 0
	s_mov_b32 s74, 0
                                        ; implicit-def: $sgpr72
                                        ; implicit-def: $sgpr73
	s_branch .LBB2_2098
.LBB2_2097:                             ;   in Loop: Header=BB2_2098 Depth=3
	s_or_b32 exec_lo, exec_lo, s76
	s_delay_alu instid0(SALU_CYCLE_1) | instskip(NEXT) | instid1(SALU_CYCLE_1)
	s_and_b32 s75, exec_lo, s77
	s_or_b32 s43, s75, s43
	s_and_not1_b32 s72, s72, exec_lo
	s_and_b32 s75, s73, exec_lo
	s_delay_alu instid0(SALU_CYCLE_1)
	s_or_b32 s72, s72, s75
	s_and_not1_b32 exec_lo, exec_lo, s43
	s_cbranch_execz .LBB2_2102
.LBB2_2098:                             ;   Parent Loop BB2_47 Depth=1
                                        ;     Parent Loop BB2_2043 Depth=2
                                        ; =>    This Inner Loop Header: Depth=3
	s_add_co_i32 s74, s74, 1
	s_delay_alu instid0(SALU_CYCLE_1) | instskip(SKIP_1) | instid1(SALU_CYCLE_1)
	s_cmp_lg_u32 s74, 0x2710
	s_cselect_b32 s75, -1, 0
	s_and_b32 vcc_lo, exec_lo, s75
	s_cbranch_vccz .LBB2_2100
; %bb.2099:                             ;   in Loop: Header=BB2_2098 Depth=3
	s_mov_b32 s77, -1
	s_or_b32 s73, s73, exec_lo
	s_and_saveexec_b32 s76, s75
	s_cbranch_execz .LBB2_2097
	s_branch .LBB2_2101
.LBB2_2100:                             ;   in Loop: Header=BB2_2098 Depth=3
	s_trap 2
	ds_load_b64 v[10:11], v0
	s_and_not1_b32 s75, s75, exec_lo
	s_mov_b32 s74, 0
	s_wait_loadcnt_dscnt 0x0
	flat_load_b32 v2, v[10:11] scope:SCOPE_SYS
	s_wait_loadcnt_dscnt 0x0
	global_inv scope:SCOPE_SYS
	v_cmp_eq_u32_e32 vcc_lo, 0, v2
	s_and_b32 s76, vcc_lo, exec_lo
	s_delay_alu instid0(SALU_CYCLE_1)
	s_or_b32 s75, s75, s76
	s_mov_b32 s77, -1
	s_or_b32 s73, s73, exec_lo
	s_and_saveexec_b32 s76, s75
	s_cbranch_execz .LBB2_2097
.LBB2_2101:                             ;   in Loop: Header=BB2_2098 Depth=3
	s_sleep 1
	s_trap 2
	ds_load_b64 v[10:11], v0
	s_wait_dscnt 0x0
	s_and_not1_b32 s73, s73, exec_lo
	v_cmp_ge_u64_e32 vcc_lo, v[10:11], v[32:33]
	s_or_not1_b32 s77, vcc_lo, exec_lo
	s_branch .LBB2_2097
.LBB2_2102:                             ;   in Loop: Header=BB2_2043 Depth=2
	s_or_b32 exec_lo, exec_lo, s43
	s_and_saveexec_b32 s43, s72
	s_delay_alu instid0(SALU_CYCLE_1)
	s_xor_b32 s43, exec_lo, s43
	s_cbranch_execz .LBB2_2104
; %bb.2103:                             ;   in Loop: Header=BB2_2043 Depth=2
	ds_store_b32 v0, v107
	s_trap 2
.LBB2_2104:                             ;   in Loop: Header=BB2_2043 Depth=2
	s_or_b32 exec_lo, exec_lo, s42
	;;#ASMSTART
	s_wakeup
	;;#ASMEND
.LBB2_2105:                             ;   in Loop: Header=BB2_2043 Depth=2
	s_or_b32 exec_lo, exec_lo, s15
.LBB2_2106:                             ;   in Loop: Header=BB2_2043 Depth=2
	s_and_not1_saveexec_b32 s14, s14
	s_cbranch_execz .LBB2_2108
; %bb.2107:                             ;   in Loop: Header=BB2_2043 Depth=2
	global_wb scope:SCOPE_DEV
	s_wait_storecnt 0x0
	s_wait_loadcnt_dscnt 0x0
	global_inv scope:SCOPE_DEV
	s_barrier_signal -1
	s_barrier_wait -1
.LBB2_2108:                             ;   in Loop: Header=BB2_2043 Depth=2
	s_or_b32 exec_lo, exec_lo, s14
.LBB2_2109:                             ;   in Loop: Header=BB2_2043 Depth=2
	s_delay_alu instid0(SALU_CYCLE_1)
	s_or_b32 exec_lo, exec_lo, s13
	s_trap 2
	ds_load_b64 v[118:119], v0
	s_wait_dscnt 0x0
	v_cmp_eq_u64_e32 vcc_lo, 0, v[118:119]
	s_cbranch_vccnz .LBB2_2118
; %bb.2110:                             ;   in Loop: Header=BB2_2043 Depth=2
	s_trap 2
	ds_load_b64 v[40:41], v0
	s_wait_dscnt 0x0
	v_cmp_eq_u64_e32 vcc_lo, 0, v[40:41]
	s_cbranch_vccnz .LBB2_2118
; %bb.2111:                             ;   in Loop: Header=BB2_2043 Depth=2
	s_trap 2
	ds_load_b64 v[42:43], v0
	v_cmp_eq_u32_e64 s13, 0, v8
	s_delay_alu instid0(VALU_DEP_1)
	v_cndmask_b32_e64 v113, 0, v112, s13
	s_mov_b32 s13, -1
	s_wait_dscnt 0x0
	v_cmp_ne_u64_e32 vcc_lo, 0, v[42:43]
	s_cbranch_vccz .LBB2_3695
; %bb.2112:                             ;   in Loop: Header=BB2_2043 Depth=2
	s_and_saveexec_b32 s14, s12
	s_cbranch_execz .LBB2_2114
; %bb.2113:                             ;   in Loop: Header=BB2_2043 Depth=2
	ds_load_b32 v2, v0 offset:720
	s_wait_dscnt 0x0
	v_and_b32_e32 v2, 15, v2
	s_delay_alu instid0(VALU_DEP_1)
	v_cmp_eq_u32_e32 vcc_lo, 0, v2
	s_or_not1_b32 s13, vcc_lo, exec_lo
.LBB2_2114:                             ;   in Loop: Header=BB2_2043 Depth=2
	s_or_b32 exec_lo, exec_lo, s14
	s_and_saveexec_b32 s14, s12
	s_cbranch_execz .LBB2_2116
; %bb.2115:                             ;   in Loop: Header=BB2_2043 Depth=2
	ds_load_b32 v2, v0 offset:784
	s_wait_dscnt 0x0
	v_and_b32_e32 v2, 15, v2
	s_delay_alu instid0(VALU_DEP_1) | instskip(SKIP_3) | instid1(SALU_CYCLE_1)
	v_cmp_eq_u32_e32 vcc_lo, 0, v2
	s_and_b32 s15, s13, vcc_lo
	s_and_not1_b32 s13, s13, exec_lo
	s_and_b32 s15, s15, exec_lo
	s_or_b32 s13, s13, s15
.LBB2_2116:                             ;   in Loop: Header=BB2_2043 Depth=2
	s_or_b32 exec_lo, exec_lo, s14
	s_xor_b32 s13, s13, -1
	v_dual_mov_b32 v124, 0 :: v_dual_mov_b32 v125, v113
	v_cndmask_b32_e64 v2, 0, 1, s13
	v_mov_b32_e32 v126, v0
	s_mov_b32 s14, -1
	s_delay_alu instid0(VALU_DEP_2)
	v_cmp_ne_u32_e32 vcc_lo, 0, v2
	v_mov_b32_e32 v2, v120
	s_cbranch_vccz .LBB2_2119
; %bb.2117:                             ;   in Loop: Header=BB2_2043 Depth=2
	s_and_saveexec_b32 s15, s14
	s_cbranch_execz .LBB2_3694
	s_branch .LBB2_3288
.LBB2_2118:                             ;   in Loop: Header=BB2_2043 Depth=2
	s_mov_b32 s13, 0
	s_and_saveexec_b32 s14, s2
	s_cbranch_execnz .LBB2_5273
	s_branch .LBB2_5291
.LBB2_2119:                             ;   in Loop: Header=BB2_2043 Depth=2
	v_dual_ashrrev_i32 v2, 31, v113 :: v_dual_sub_nc_u32 v115, v113, v50
	s_mov_b32 s72, exec_lo
	s_delay_alu instid0(VALU_DEP_1) | instskip(NEXT) | instid1(VALU_DEP_1)
	v_lshrrev_b32_e32 v2, 23, v2
	v_add_nc_u32_e32 v2, v113, v2
	s_delay_alu instid0(VALU_DEP_1) | instskip(NEXT) | instid1(VALU_DEP_1)
	v_and_b32_e32 v77, 0xfffffe00, v2
	v_dual_ashrrev_i32 v2, 9, v2 :: v_dual_sub_nc_u32 v76, v113, v77
	s_delay_alu instid0(VALU_DEP_1) | instskip(NEXT) | instid1(VALU_DEP_1)
	v_cmp_lt_i32_e64 s13, 15, v76
	v_add_co_ci_u32_e64 v74, null, v2, v122, s13
	v_cmpx_lt_i32_e32 15, v115
	s_cbranch_execz .LBB2_2701
; %bb.2120:                             ;   in Loop: Header=BB2_2043 Depth=2
	s_trap 2
	ds_load_b64 v[8:9], v0
	v_add_nc_u64_e32 v[44:45], v[40:41], v[50:51]
	v_add_nc_u64_e32 v[46:47], v[42:43], v[50:51]
	;; [unrolled: 1-line block ×3, first 2 shown]
	s_mov_b32 s73, 0
	s_wait_dscnt 0x0
	v_add_nc_u64_e32 v[58:59], v[8:9], v[50:51]
.LBB2_2121:                             ;   Parent Loop BB2_47 Depth=1
                                        ;     Parent Loop BB2_2043 Depth=2
                                        ; =>    This Loop Header: Depth=3
                                        ;         Child Loop BB2_2674 Depth 4
	global_load_b128 v[12:15], v[56:57], off th:TH_LOAD_NT
	global_load_b128 v[8:11], v[58:59], off th:TH_LOAD_NT
	s_wait_loadcnt 0x1
	v_and_b32_e32 v2, 0xff, v12
	s_delay_alu instid0(VALU_DEP_1)
	v_cmp_ne_u16_e32 vcc_lo, 0, v2
	v_mov_b32_e32 v2, 0
	s_wait_xcnt 0x0
	s_and_saveexec_b32 s14, vcc_lo
	s_cbranch_execz .LBB2_2131
; %bb.2122:                             ;   in Loop: Header=BB2_2121 Depth=3
	v_bfe_i32 v19, v12, 0, 8
	v_bfrev_b32_e32 v2, 1
	s_mov_b32 s15, exec_lo
	s_delay_alu instid0(VALU_DEP_2)
	v_cmpx_ne_u16_e32 0xff80, v19
	s_cbranch_execz .LBB2_2130
; %bb.2123:                             ;   in Loop: Header=BB2_2121 Depth=3
	v_and_b32_e32 v2, 0x7c, v12
	v_and_b32_e32 v18, 3, v12
	s_delay_alu instid0(VALU_DEP_2) | instskip(SKIP_1) | instid1(SALU_CYCLE_1)
	v_cmp_ne_u32_e32 vcc_lo, 0x7c, v2
                                        ; implicit-def: $vgpr2
	s_and_saveexec_b32 s42, vcc_lo
	s_xor_b32 s42, exec_lo, s42
	s_cbranch_execz .LBB2_2127
; %bb.2124:                             ;   in Loop: Header=BB2_2121 Depth=3
	v_bfe_u32 v2, v12, 2, 5
	s_mov_b32 s43, exec_lo
	s_delay_alu instid0(VALU_DEP_1)
	v_cmpx_eq_u32_e32 0, v2
; %bb.2125:                             ;   in Loop: Header=BB2_2121 Depth=3
	v_clz_i32_u32_e32 v2, v18
	s_delay_alu instid0(VALU_DEP_1) | instskip(NEXT) | instid1(VALU_DEP_1)
	v_min_u32_e32 v2, 32, v2
	v_subrev_nc_u32_e32 v18, 29, v2
	v_sub_nc_u32_e32 v2, 30, v2
	s_delay_alu instid0(VALU_DEP_2) | instskip(NEXT) | instid1(VALU_DEP_1)
	v_lshlrev_b64_e32 v[18:19], v18, v[12:13]
	v_and_b32_e32 v18, 3, v18
; %bb.2126:                             ;   in Loop: Header=BB2_2121 Depth=3
	s_or_b32 exec_lo, exec_lo, s43
	v_lshlrev_b32_e32 v19, 24, v12
	s_delay_alu instid0(VALU_DEP_1) | instskip(NEXT) | instid1(VALU_DEP_1)
	v_and_b32_e32 v19, 0x80000000, v19
	v_lshl_add_u32 v2, v2, 23, v19
                                        ; implicit-def: $vgpr19
	s_delay_alu instid0(VALU_DEP_1) | instskip(NEXT) | instid1(VALU_DEP_1)
	v_lshl_or_b32 v2, v18, 21, v2
                                        ; implicit-def: $vgpr18
	v_add_nc_u32_e32 v2, 0x38000000, v2
.LBB2_2127:                             ;   in Loop: Header=BB2_2121 Depth=3
	s_and_not1_saveexec_b32 s42, s42
; %bb.2128:                             ;   in Loop: Header=BB2_2121 Depth=3
	v_cmp_lt_i16_e32 vcc_lo, -1, v19
	v_cndmask_b32_e32 v2, 0xff800000, v109, vcc_lo
	v_cmp_eq_u32_e32 vcc_lo, 0, v18
	s_delay_alu instid0(VALU_DEP_2)
	v_cndmask_b32_e32 v2, 0x7f800001, v2, vcc_lo
; %bb.2129:                             ;   in Loop: Header=BB2_2121 Depth=3
	s_or_b32 exec_lo, exec_lo, s42
.LBB2_2130:                             ;   in Loop: Header=BB2_2121 Depth=3
	s_delay_alu instid0(SALU_CYCLE_1)
	s_or_b32 exec_lo, exec_lo, s15
.LBB2_2131:                             ;   in Loop: Header=BB2_2121 Depth=3
	s_delay_alu instid0(SALU_CYCLE_1) | instskip(SKIP_4) | instid1(VALU_DEP_1)
	s_or_b32 exec_lo, exec_lo, s14
	s_wait_loadcnt 0x0
	v_and_b32_e32 v19, 0xff, v8
	s_mov_b32 s15, 0
	s_mov_b32 s14, exec_lo
	v_cmpx_lt_i16_e32 0x7f, v19
	s_xor_b32 s14, exec_lo, s14
	s_cbranch_execz .LBB2_2676
; %bb.2132:                             ;   in Loop: Header=BB2_2121 Depth=3
	s_mov_b32 s15, -1
	s_mov_b32 s42, exec_lo
	v_cmpx_eq_u16_e32 0x80, v19
; %bb.2133:                             ;   in Loop: Header=BB2_2121 Depth=3
	s_xor_b32 s15, exec_lo, -1
; %bb.2134:                             ;   in Loop: Header=BB2_2121 Depth=3
	s_or_b32 exec_lo, exec_lo, s42
	s_delay_alu instid0(SALU_CYCLE_1)
	s_and_b32 s15, s15, exec_lo
                                        ; implicit-def: $vgpr19
	s_or_saveexec_b32 s14, s14
	v_bfrev_b32_e32 v18, 1
	s_xor_b32 exec_lo, exec_lo, s14
	s_cbranch_execnz .LBB2_2677
.LBB2_2135:                             ;   in Loop: Header=BB2_2121 Depth=3
	s_or_b32 exec_lo, exec_lo, s14
	s_and_saveexec_b32 s14, s15
	s_cbranch_execz .LBB2_2137
.LBB2_2136:                             ;   in Loop: Header=BB2_2121 Depth=3
	v_and_b32_e32 v20, 3, v8
	v_bfe_u32 v60, v8, 2, 5
	s_delay_alu instid0(VALU_DEP_2) | instskip(NEXT) | instid1(VALU_DEP_2)
	v_clz_i32_u32_e32 v18, v20
	v_cmp_eq_u32_e32 vcc_lo, 0, v60
	s_delay_alu instid0(VALU_DEP_2) | instskip(NEXT) | instid1(VALU_DEP_1)
	v_min_u32_e32 v21, 32, v18
	v_subrev_nc_u32_e32 v18, 29, v21
	s_delay_alu instid0(VALU_DEP_1) | instskip(SKIP_1) | instid1(VALU_DEP_1)
	v_lshlrev_b64_e32 v[18:19], v18, v[8:9]
	v_dual_lshlrev_b32 v19, 24, v8 :: v_dual_sub_nc_u32 v21, 30, v21
	v_and_b32_e32 v19, 0x80000000, v19
	s_delay_alu instid0(VALU_DEP_2) | instskip(SKIP_1) | instid1(VALU_DEP_2)
	v_dual_cndmask_b32 v21, v60, v21, vcc_lo :: v_dual_bitop2_b32 v18, 3, v18 bitop3:0x40
	v_bfe_i32 v60, v8, 0, 8
	v_cndmask_b32_e32 v18, v20, v18, vcc_lo
	s_delay_alu instid0(VALU_DEP_3) | instskip(NEXT) | instid1(VALU_DEP_3)
	v_lshl_add_u32 v19, v21, 23, v19
	v_cmp_lt_i16_e32 vcc_lo, -1, v60
	s_delay_alu instid0(VALU_DEP_2) | instskip(SKIP_3) | instid1(VALU_DEP_4)
	v_lshl_or_b32 v18, v18, 21, v19
	v_cndmask_b32_e32 v21, 0xff800000, v109, vcc_lo
	v_and_b32_e32 v19, 0x7c, v8
	v_cmp_eq_u32_e32 vcc_lo, 0, v20
	v_add_nc_u32_e32 v18, 0x38000000, v18
	s_delay_alu instid0(VALU_DEP_4) | instskip(NEXT) | instid1(VALU_DEP_4)
	v_cndmask_b32_e32 v20, 0x7f800001, v21, vcc_lo
	v_cmp_eq_u32_e32 vcc_lo, 0x7c, v19
	s_delay_alu instid0(VALU_DEP_2)
	v_cndmask_b32_e32 v18, v18, v20, vcc_lo
.LBB2_2137:                             ;   in Loop: Header=BB2_2121 Depth=3
	s_or_b32 exec_lo, exec_lo, s14
	s_delay_alu instid0(VALU_DEP_1) | instskip(SKIP_1) | instid1(VALU_DEP_1)
	v_dual_mul_f32 v19, v2, v18 :: v_dual_mov_b32 v61, v3
                                        ; implicit-def: $vgpr75
	s_mov_b32 s14, exec_lo
	v_and_b32_e32 v60, 0x7f800000, v19
	v_and_b32_e32 v2, 0x7fffff, v19
	v_lshrrev_b32_e32 v18, 24, v19
	s_delay_alu instid0(VALU_DEP_3)
	v_cmpx_ne_u64_e32 0x7f800000, v[60:61]
	s_xor_b32 s15, exec_lo, s14
	s_cbranch_execz .LBB2_2151
; %bb.2138:                             ;   in Loop: Header=BB2_2121 Depth=3
	v_and_b32_e32 v60, 0x7fffffff, v19
	v_mov_b32_e32 v61, v3
	v_and_b32_e32 v18, 0x80, v18
                                        ; implicit-def: $vgpr75
	s_mov_b32 s14, exec_lo
	s_delay_alu instid0(VALU_DEP_2)
	v_cmpx_gt_u64_e32 0x47600001, v[60:61]
	s_xor_b32 s42, exec_lo, s14
	s_cbranch_execz .LBB2_2148
; %bb.2139:                             ;   in Loop: Header=BB2_2121 Depth=3
	v_mov_b32_e32 v75, 0
	s_mov_b32 s43, exec_lo
	v_cmpx_ne_u32_e32 0, v19
	s_cbranch_execz .LBB2_2147
; %bb.2140:                             ;   in Loop: Header=BB2_2121 Depth=3
	v_bfe_u32 v19, v19, 23, 8
	v_or_b32_e32 v21, 0x800000, v2
	s_delay_alu instid0(VALU_DEP_2) | instskip(SKIP_1) | instid1(VALU_DEP_2)
	v_sub_nc_u32_e32 v20, 0x71, v19
	v_cmp_gt_u32_e32 vcc_lo, 0x72, v19
	v_cndmask_b32_e32 v20, 0, v20, vcc_lo
	v_cmp_eq_u32_e32 vcc_lo, 0, v19
	v_cndmask_b32_e32 v2, v21, v2, vcc_lo
	s_delay_alu instid0(VALU_DEP_3) | instskip(NEXT) | instid1(VALU_DEP_1)
	v_cndmask_b32_e64 v72, v20, 0x70, vcc_lo
	v_add_nc_u32_e32 v20, 21, v72
	s_delay_alu instid0(VALU_DEP_1) | instskip(SKIP_1) | instid1(VALU_DEP_1)
	v_lshlrev_b64_e64 v[60:61], v20, -1
	v_add_nc_u32_e32 v20, 20, v72
	v_lshlrev_b64_e64 v[62:63], v20, 1
	s_delay_alu instid0(VALU_DEP_3) | instskip(NEXT) | instid1(VALU_DEP_4)
	v_bfi_b32 v79, v61, 0, 0
	v_bfi_b32 v78, v60, 0, v2
	v_lshrrev_b64 v[60:61], v72, v[2:3]
	s_delay_alu instid0(VALU_DEP_2) | instskip(NEXT) | instid1(VALU_DEP_2)
	v_cmp_eq_u64_e64 s14, v[78:79], v[62:63]
	v_mov_b64_e32 v[62:63], v[60:61]
	s_and_saveexec_b32 s74, s14
; %bb.2141:                             ;   in Loop: Header=BB2_2121 Depth=3
	v_bfe_u32 v2, v60, 21, 1
	s_delay_alu instid0(VALU_DEP_1) | instskip(NEXT) | instid1(VALU_DEP_1)
	v_add_nc_u64_e32 v[62:63], v[60:61], v[2:3]
	v_add_nc_u64_e32 v[62:63], -1, v[62:63]
; %bb.2142:                             ;   in Loop: Header=BB2_2121 Depth=3
	s_or_b32 exec_lo, exec_lo, s74
	v_add_nc_u32_e32 v2, 0xffffff81, v19
	v_lshrrev_b32_e32 v19, 23, v60
	s_mov_b32 s14, exec_lo
	s_delay_alu instid0(VALU_DEP_2) | instskip(NEXT) | instid1(VALU_DEP_1)
	v_cndmask_b32_e64 v2, v2, 0xffffff82, vcc_lo
	v_add3_u32 v63, v72, v2, v19
	v_and_b32_e32 v2, 0x1fffff, v62
                                        ; implicit-def: $vgpr19
	s_delay_alu instid0(VALU_DEP_1) | instskip(NEXT) | instid1(VALU_DEP_1)
	v_dual_add_nc_u32 v62, 14, v63 :: v_dual_add_nc_u32 v2, v2, v60
                                        ; implicit-def: $vgpr60_vgpr61
	v_cmpx_ne_u32_e32 0, v62
	s_xor_b32 s14, exec_lo, s14
; %bb.2143:                             ;   in Loop: Header=BB2_2121 Depth=3
	s_delay_alu instid0(VALU_DEP_2) | instskip(SKIP_2) | instid1(VALU_DEP_2)
	v_cmp_lt_u64_e32 vcc_lo, 0xffffff, v[2:3]
	v_add_nc_u32_e32 v19, 15, v63
	v_cndmask_b32_e64 v20, 0, 1, vcc_lo
	v_cndmask_b32_e32 v19, v62, v19, vcc_lo
	s_delay_alu instid0(VALU_DEP_2)
	v_lshrrev_b64 v[60:61], v20, v[2:3]
; %bb.2144:                             ;   in Loop: Header=BB2_2121 Depth=3
	s_and_not1_saveexec_b32 s14, s14
; %bb.2145:                             ;   in Loop: Header=BB2_2121 Depth=3
	v_mov_b64_e32 v[60:61], v[2:3]
	v_bfe_u32 v19, v2, 23, 1
; %bb.2146:                             ;   in Loop: Header=BB2_2121 Depth=3
	s_or_b32 exec_lo, exec_lo, s14
	s_delay_alu instid0(VALU_DEP_2) | instskip(NEXT) | instid1(VALU_DEP_2)
	v_lshrrev_b64 v[60:61], 21, v[60:61]
	v_cmp_gt_i32_e32 vcc_lo, 32, v19
	v_min_i32_e32 v2, 31, v19
	v_cmp_eq_u32_e64 s14, 0, v19
	s_delay_alu instid0(VALU_DEP_2) | instskip(SKIP_1) | instid1(VALU_DEP_2)
	v_dual_cndmask_b32 v61, 0, v61 :: v_dual_lshlrev_b32 v2, 2, v2
	v_cndmask_b32_e32 v60, 3, v60, vcc_lo
	v_and_b32_e32 v2, 0xfc, v2
	s_delay_alu instid0(VALU_DEP_2) | instskip(NEXT) | instid1(VALU_DEP_2)
	v_cmp_eq_u64_e32 vcc_lo, 0, v[60:61]
	v_and_or_b32 v2, v60, 3, v2
	s_and_b32 s14, s14, vcc_lo
	s_delay_alu instid0(VALU_DEP_1) | instid1(SALU_CYCLE_1)
	v_cndmask_b32_e64 v2, v2, 0, s14
	s_delay_alu instid0(VALU_DEP_1)
	v_or_b32_e32 v75, v2, v18
.LBB2_2147:                             ;   in Loop: Header=BB2_2121 Depth=3
	s_or_b32 exec_lo, exec_lo, s43
                                        ; implicit-def: $vgpr18
.LBB2_2148:                             ;   in Loop: Header=BB2_2121 Depth=3
	s_and_not1_saveexec_b32 s14, s42
; %bb.2149:                             ;   in Loop: Header=BB2_2121 Depth=3
	v_or_b32_e32 v75, 0x7b, v18
; %bb.2150:                             ;   in Loop: Header=BB2_2121 Depth=3
	s_or_b32 exec_lo, exec_lo, s14
                                        ; implicit-def: $vgpr19
                                        ; implicit-def: $vgpr18
.LBB2_2151:                             ;   in Loop: Header=BB2_2121 Depth=3
	s_and_not1_saveexec_b32 s14, s15
	s_cbranch_execz .LBB2_2157
; %bb.2152:                             ;   in Loop: Header=BB2_2121 Depth=3
	s_mov_b32 s15, exec_lo
                                        ; implicit-def: $vgpr75
	v_cmpx_ne_u64_e32 0, v[2:3]
	s_xor_b32 s15, exec_lo, s15
; %bb.2153:                             ;   in Loop: Header=BB2_2121 Depth=3
	v_or_b32_e32 v75, 0x7f, v18
                                        ; implicit-def: $vgpr19
; %bb.2154:                             ;   in Loop: Header=BB2_2121 Depth=3
	s_and_not1_saveexec_b32 s15, s15
; %bb.2155:                             ;   in Loop: Header=BB2_2121 Depth=3
	v_cmp_lt_i32_e32 vcc_lo, -1, v19
	v_cndmask_b32_e32 v75, 0xfc, v110, vcc_lo
; %bb.2156:                             ;   in Loop: Header=BB2_2121 Depth=3
	s_or_b32 exec_lo, exec_lo, s15
.LBB2_2157:                             ;   in Loop: Header=BB2_2121 Depth=3
	s_delay_alu instid0(SALU_CYCLE_1) | instskip(SKIP_3) | instid1(VALU_DEP_2)
	s_or_b32 exec_lo, exec_lo, s14
	v_lshrrev_b16 v2, 8, v12
	v_mov_b32_e32 v18, 0
	s_mov_b32 s14, exec_lo
	v_cmpx_ne_u16_e32 0, v2
	s_cbranch_execz .LBB2_2167
; %bb.2158:                             ;   in Loop: Header=BB2_2121 Depth=3
	v_bfrev_b32_e32 v18, 1
	s_mov_b32 s15, exec_lo
	v_cmpx_ne_u16_e32 0x80, v2
	s_cbranch_execz .LBB2_2166
; %bb.2159:                             ;   in Loop: Header=BB2_2121 Depth=3
	v_and_b32_e32 v60, 0xffff, v2
	s_delay_alu instid0(VALU_DEP_1) | instskip(SKIP_1) | instid1(VALU_DEP_2)
	v_and_b32_e32 v18, 0x7c, v60
	v_and_b32_e32 v19, 3, v60
	v_cmp_ne_u32_e32 vcc_lo, 0x7c, v18
                                        ; implicit-def: $vgpr18
	s_and_saveexec_b32 s42, vcc_lo
	s_delay_alu instid0(SALU_CYCLE_1)
	s_xor_b32 s42, exec_lo, s42
	s_cbranch_execz .LBB2_2163
; %bb.2160:                             ;   in Loop: Header=BB2_2121 Depth=3
	v_bfe_u32 v18, v60, 2, 5
	s_mov_b32 s43, exec_lo
	s_delay_alu instid0(VALU_DEP_1)
	v_cmpx_eq_u32_e32 0, v18
; %bb.2161:                             ;   in Loop: Header=BB2_2121 Depth=3
	v_clz_i32_u32_e32 v18, v19
	s_delay_alu instid0(VALU_DEP_1) | instskip(NEXT) | instid1(VALU_DEP_1)
	v_min_u32_e32 v18, 32, v18
	v_subrev_nc_u32_e32 v19, 29, v18
	s_delay_alu instid0(VALU_DEP_1) | instskip(NEXT) | instid1(VALU_DEP_1)
	v_lshlrev_b64_e32 v[60:61], v19, v[2:3]
	v_dual_sub_nc_u32 v18, 30, v18 :: v_dual_bitop2_b32 v19, 3, v60 bitop3:0x40
; %bb.2162:                             ;   in Loop: Header=BB2_2121 Depth=3
	s_or_b32 exec_lo, exec_lo, s43
	v_lshlrev_b32_e32 v2, 16, v12
	s_delay_alu instid0(VALU_DEP_1) | instskip(NEXT) | instid1(VALU_DEP_1)
	v_and_b32_e32 v2, 0x80000000, v2
	v_lshl_add_u32 v2, v18, 23, v2
	s_delay_alu instid0(VALU_DEP_1) | instskip(NEXT) | instid1(VALU_DEP_1)
	v_lshl_or_b32 v2, v19, 21, v2
                                        ; implicit-def: $vgpr19
	v_add_nc_u32_e32 v18, 0x38000000, v2
.LBB2_2163:                             ;   in Loop: Header=BB2_2121 Depth=3
	s_and_not1_saveexec_b32 s42, s42
; %bb.2164:                             ;   in Loop: Header=BB2_2121 Depth=3
	v_cmp_lt_i16_e32 vcc_lo, -1, v12
	v_cndmask_b32_e32 v2, 0xff800000, v109, vcc_lo
	v_cmp_eq_u32_e32 vcc_lo, 0, v19
	s_delay_alu instid0(VALU_DEP_2)
	v_cndmask_b32_e32 v18, 0x7f800001, v2, vcc_lo
; %bb.2165:                             ;   in Loop: Header=BB2_2121 Depth=3
	s_or_b32 exec_lo, exec_lo, s42
.LBB2_2166:                             ;   in Loop: Header=BB2_2121 Depth=3
	s_delay_alu instid0(SALU_CYCLE_1)
	s_or_b32 exec_lo, exec_lo, s15
.LBB2_2167:                             ;   in Loop: Header=BB2_2121 Depth=3
	s_delay_alu instid0(SALU_CYCLE_1) | instskip(SKIP_3) | instid1(VALU_DEP_1)
	s_or_b32 exec_lo, exec_lo, s14
	v_lshrrev_b16 v2, 8, v8
	s_mov_b32 s15, 0
	s_mov_b32 s14, exec_lo
	v_cmpx_lt_i16_e32 0x7f, v2
	s_xor_b32 s14, exec_lo, s14
	s_cbranch_execz .LBB2_2678
; %bb.2168:                             ;   in Loop: Header=BB2_2121 Depth=3
	s_mov_b32 s15, -1
	s_mov_b32 s42, exec_lo
	v_cmpx_eq_u16_e32 0x80, v2
; %bb.2169:                             ;   in Loop: Header=BB2_2121 Depth=3
	s_xor_b32 s15, exec_lo, -1
; %bb.2170:                             ;   in Loop: Header=BB2_2121 Depth=3
	s_or_b32 exec_lo, exec_lo, s42
	s_delay_alu instid0(SALU_CYCLE_1)
	s_and_b32 s15, s15, exec_lo
	s_or_saveexec_b32 s14, s14
	v_bfrev_b32_e32 v19, 1
	s_xor_b32 exec_lo, exec_lo, s14
	s_cbranch_execnz .LBB2_2679
.LBB2_2171:                             ;   in Loop: Header=BB2_2121 Depth=3
	s_or_b32 exec_lo, exec_lo, s14
	s_and_saveexec_b32 s14, s15
	s_cbranch_execz .LBB2_2173
.LBB2_2172:                             ;   in Loop: Header=BB2_2121 Depth=3
	v_and_b32_e32 v19, 0xffff, v2
	s_delay_alu instid0(VALU_DEP_1) | instskip(NEXT) | instid1(VALU_DEP_1)
	v_and_b32_e32 v20, 3, v19
	v_clz_i32_u32_e32 v21, v20
	s_delay_alu instid0(VALU_DEP_1) | instskip(NEXT) | instid1(VALU_DEP_1)
	v_min_u32_e32 v21, 32, v21
	v_subrev_nc_u32_e32 v60, 29, v21
	s_delay_alu instid0(VALU_DEP_1) | instskip(SKIP_3) | instid1(VALU_DEP_3)
	v_lshlrev_b64_e32 v[60:61], v60, v[2:3]
	v_bfe_u32 v61, v19, 2, 5
	v_dual_lshlrev_b32 v2, 24, v2 :: v_dual_sub_nc_u32 v21, 30, v21
	v_and_b32_e32 v19, 0x7c, v19
	v_cmp_eq_u32_e32 vcc_lo, 0, v61
	s_delay_alu instid0(VALU_DEP_3) | instskip(NEXT) | instid1(VALU_DEP_4)
	v_and_b32_e32 v2, 0x80000000, v2
	v_dual_cndmask_b32 v21, v61, v21, vcc_lo :: v_dual_bitop2_b32 v60, 3, v60 bitop3:0x40
	s_delay_alu instid0(VALU_DEP_1) | instskip(SKIP_1) | instid1(VALU_DEP_3)
	v_cndmask_b32_e32 v60, v20, v60, vcc_lo
	v_cmp_lt_i16_e32 vcc_lo, -1, v8
	v_lshl_add_u32 v2, v21, 23, v2
	v_cndmask_b32_e32 v21, 0xff800000, v109, vcc_lo
	v_cmp_eq_u32_e32 vcc_lo, 0, v20
	s_delay_alu instid0(VALU_DEP_3) | instskip(NEXT) | instid1(VALU_DEP_3)
	v_lshl_or_b32 v2, v60, 21, v2
	v_cndmask_b32_e32 v20, 0x7f800001, v21, vcc_lo
	s_delay_alu instid0(VALU_DEP_2) | instskip(SKIP_1) | instid1(VALU_DEP_2)
	v_add_nc_u32_e32 v2, 0x38000000, v2
	v_cmp_eq_u32_e32 vcc_lo, 0x7c, v19
	v_cndmask_b32_e32 v19, v2, v20, vcc_lo
.LBB2_2173:                             ;   in Loop: Header=BB2_2121 Depth=3
	s_or_b32 exec_lo, exec_lo, s14
	s_delay_alu instid0(VALU_DEP_1) | instskip(SKIP_1) | instid1(VALU_DEP_1)
	v_dual_mul_f32 v19, v18, v19 :: v_dual_mov_b32 v61, v3
                                        ; implicit-def: $vgpr78
	s_mov_b32 s14, exec_lo
	v_and_b32_e32 v60, 0x7f800000, v19
	v_and_b32_e32 v2, 0x7fffff, v19
	v_lshrrev_b32_e32 v18, 24, v19
	s_delay_alu instid0(VALU_DEP_3)
	v_cmpx_ne_u64_e32 0x7f800000, v[60:61]
	s_xor_b32 s15, exec_lo, s14
	s_cbranch_execz .LBB2_2187
; %bb.2174:                             ;   in Loop: Header=BB2_2121 Depth=3
	v_and_b32_e32 v60, 0x7fffffff, v19
	v_mov_b32_e32 v61, v3
	v_and_b32_e32 v18, 0x80, v18
                                        ; implicit-def: $vgpr78
	s_mov_b32 s14, exec_lo
	s_delay_alu instid0(VALU_DEP_2)
	v_cmpx_gt_u64_e32 0x47600001, v[60:61]
	s_xor_b32 s42, exec_lo, s14
	s_cbranch_execz .LBB2_2184
; %bb.2175:                             ;   in Loop: Header=BB2_2121 Depth=3
	v_mov_b32_e32 v78, 0
	s_mov_b32 s43, exec_lo
	v_cmpx_ne_u32_e32 0, v19
	s_cbranch_execz .LBB2_2183
; %bb.2176:                             ;   in Loop: Header=BB2_2121 Depth=3
	v_bfe_u32 v19, v19, 23, 8
	v_or_b32_e32 v21, 0x800000, v2
	s_delay_alu instid0(VALU_DEP_2) | instskip(SKIP_1) | instid1(VALU_DEP_2)
	v_sub_nc_u32_e32 v20, 0x71, v19
	v_cmp_gt_u32_e32 vcc_lo, 0x72, v19
	v_cndmask_b32_e32 v20, 0, v20, vcc_lo
	v_cmp_eq_u32_e32 vcc_lo, 0, v19
	v_cndmask_b32_e32 v2, v21, v2, vcc_lo
	s_delay_alu instid0(VALU_DEP_3) | instskip(NEXT) | instid1(VALU_DEP_1)
	v_cndmask_b32_e64 v72, v20, 0x70, vcc_lo
	v_add_nc_u32_e32 v20, 21, v72
	s_delay_alu instid0(VALU_DEP_1) | instskip(SKIP_1) | instid1(VALU_DEP_1)
	v_lshlrev_b64_e64 v[60:61], v20, -1
	v_add_nc_u32_e32 v20, 20, v72
	v_lshlrev_b64_e64 v[62:63], v20, 1
	s_delay_alu instid0(VALU_DEP_3) | instskip(NEXT) | instid1(VALU_DEP_4)
	v_bfi_b32 v79, v61, 0, 0
	v_bfi_b32 v78, v60, 0, v2
	v_lshrrev_b64 v[60:61], v72, v[2:3]
	s_delay_alu instid0(VALU_DEP_2) | instskip(NEXT) | instid1(VALU_DEP_2)
	v_cmp_eq_u64_e64 s14, v[78:79], v[62:63]
	v_mov_b64_e32 v[62:63], v[60:61]
	s_and_saveexec_b32 s74, s14
; %bb.2177:                             ;   in Loop: Header=BB2_2121 Depth=3
	v_bfe_u32 v2, v60, 21, 1
	s_delay_alu instid0(VALU_DEP_1) | instskip(NEXT) | instid1(VALU_DEP_1)
	v_add_nc_u64_e32 v[62:63], v[60:61], v[2:3]
	v_add_nc_u64_e32 v[62:63], -1, v[62:63]
; %bb.2178:                             ;   in Loop: Header=BB2_2121 Depth=3
	s_or_b32 exec_lo, exec_lo, s74
	v_add_nc_u32_e32 v2, 0xffffff81, v19
	v_lshrrev_b32_e32 v19, 23, v60
	s_mov_b32 s14, exec_lo
	s_delay_alu instid0(VALU_DEP_2) | instskip(NEXT) | instid1(VALU_DEP_1)
	v_cndmask_b32_e64 v2, v2, 0xffffff82, vcc_lo
	v_add3_u32 v63, v72, v2, v19
	v_and_b32_e32 v2, 0x1fffff, v62
                                        ; implicit-def: $vgpr19
	s_delay_alu instid0(VALU_DEP_1) | instskip(NEXT) | instid1(VALU_DEP_1)
	v_dual_add_nc_u32 v62, 14, v63 :: v_dual_add_nc_u32 v2, v2, v60
                                        ; implicit-def: $vgpr60_vgpr61
	v_cmpx_ne_u32_e32 0, v62
	s_xor_b32 s14, exec_lo, s14
; %bb.2179:                             ;   in Loop: Header=BB2_2121 Depth=3
	s_delay_alu instid0(VALU_DEP_2) | instskip(SKIP_2) | instid1(VALU_DEP_2)
	v_cmp_lt_u64_e32 vcc_lo, 0xffffff, v[2:3]
	v_add_nc_u32_e32 v19, 15, v63
	v_cndmask_b32_e64 v20, 0, 1, vcc_lo
	v_cndmask_b32_e32 v19, v62, v19, vcc_lo
	s_delay_alu instid0(VALU_DEP_2)
	v_lshrrev_b64 v[60:61], v20, v[2:3]
; %bb.2180:                             ;   in Loop: Header=BB2_2121 Depth=3
	s_and_not1_saveexec_b32 s14, s14
; %bb.2181:                             ;   in Loop: Header=BB2_2121 Depth=3
	v_mov_b64_e32 v[60:61], v[2:3]
	v_bfe_u32 v19, v2, 23, 1
; %bb.2182:                             ;   in Loop: Header=BB2_2121 Depth=3
	s_or_b32 exec_lo, exec_lo, s14
	s_delay_alu instid0(VALU_DEP_2) | instskip(NEXT) | instid1(VALU_DEP_2)
	v_lshrrev_b64 v[60:61], 21, v[60:61]
	v_cmp_gt_i32_e32 vcc_lo, 32, v19
	v_min_i32_e32 v2, 31, v19
	v_cmp_eq_u32_e64 s14, 0, v19
	s_delay_alu instid0(VALU_DEP_2) | instskip(SKIP_1) | instid1(VALU_DEP_2)
	v_dual_cndmask_b32 v61, 0, v61 :: v_dual_lshlrev_b32 v2, 2, v2
	v_cndmask_b32_e32 v60, 3, v60, vcc_lo
	v_and_b32_e32 v2, 0xfc, v2
	s_delay_alu instid0(VALU_DEP_2) | instskip(NEXT) | instid1(VALU_DEP_2)
	v_cmp_eq_u64_e32 vcc_lo, 0, v[60:61]
	v_and_or_b32 v2, v60, 3, v2
	s_and_b32 s14, s14, vcc_lo
	s_delay_alu instid0(VALU_DEP_1) | instid1(SALU_CYCLE_1)
	v_cndmask_b32_e64 v2, v2, 0, s14
	s_delay_alu instid0(VALU_DEP_1)
	v_or_b32_e32 v78, v2, v18
.LBB2_2183:                             ;   in Loop: Header=BB2_2121 Depth=3
	s_or_b32 exec_lo, exec_lo, s43
                                        ; implicit-def: $vgpr18
.LBB2_2184:                             ;   in Loop: Header=BB2_2121 Depth=3
	s_and_not1_saveexec_b32 s14, s42
; %bb.2185:                             ;   in Loop: Header=BB2_2121 Depth=3
	v_or_b32_e32 v78, 0x7b, v18
; %bb.2186:                             ;   in Loop: Header=BB2_2121 Depth=3
	s_or_b32 exec_lo, exec_lo, s14
                                        ; implicit-def: $vgpr19
                                        ; implicit-def: $vgpr18
.LBB2_2187:                             ;   in Loop: Header=BB2_2121 Depth=3
	s_and_not1_saveexec_b32 s14, s15
	s_cbranch_execz .LBB2_2193
; %bb.2188:                             ;   in Loop: Header=BB2_2121 Depth=3
	s_mov_b32 s15, exec_lo
                                        ; implicit-def: $vgpr78
	v_cmpx_ne_u64_e32 0, v[2:3]
	s_xor_b32 s15, exec_lo, s15
; %bb.2189:                             ;   in Loop: Header=BB2_2121 Depth=3
	v_or_b32_e32 v78, 0x7f, v18
                                        ; implicit-def: $vgpr19
; %bb.2190:                             ;   in Loop: Header=BB2_2121 Depth=3
	s_and_not1_saveexec_b32 s15, s15
; %bb.2191:                             ;   in Loop: Header=BB2_2121 Depth=3
	v_cmp_lt_i32_e32 vcc_lo, -1, v19
	v_cndmask_b32_e32 v78, 0xfc, v110, vcc_lo
; %bb.2192:                             ;   in Loop: Header=BB2_2121 Depth=3
	s_or_b32 exec_lo, exec_lo, s15
.LBB2_2193:                             ;   in Loop: Header=BB2_2121 Depth=3
	s_delay_alu instid0(SALU_CYCLE_1) | instskip(SKIP_2) | instid1(VALU_DEP_1)
	s_or_b32 exec_lo, exec_lo, s14
	v_dual_lshrrev_b32 v2, 16, v12 :: v_dual_mov_b32 v18, 0
	s_mov_b32 s14, exec_lo
	v_and_b32_e32 v19, 0xff, v2
	s_delay_alu instid0(VALU_DEP_1)
	v_cmpx_ne_u16_e32 0, v19
	s_cbranch_execz .LBB2_2203
; %bb.2194:                             ;   in Loop: Header=BB2_2121 Depth=3
	v_bfrev_b32_e32 v18, 1
	s_mov_b32 s15, exec_lo
	v_cmpx_ne_u16_e32 0x80, v19
	s_cbranch_execz .LBB2_2202
; %bb.2195:                             ;   in Loop: Header=BB2_2121 Depth=3
	v_and_b32_e32 v18, 0x7c0000, v12
	v_bfe_u32 v19, v12, 16, 2
	s_delay_alu instid0(VALU_DEP_2) | instskip(SKIP_1) | instid1(SALU_CYCLE_1)
	v_cmp_ne_u32_e32 vcc_lo, 0x7c0000, v18
                                        ; implicit-def: $vgpr18
	s_and_saveexec_b32 s42, vcc_lo
	s_xor_b32 s42, exec_lo, s42
	s_cbranch_execz .LBB2_2199
; %bb.2196:                             ;   in Loop: Header=BB2_2121 Depth=3
	v_bfe_u32 v18, v12, 18, 5
	s_mov_b32 s43, exec_lo
	s_delay_alu instid0(VALU_DEP_1)
	v_cmpx_eq_u32_e32 0, v18
; %bb.2197:                             ;   in Loop: Header=BB2_2121 Depth=3
	v_clz_i32_u32_e32 v18, v19
	s_delay_alu instid0(VALU_DEP_1) | instskip(NEXT) | instid1(VALU_DEP_1)
	v_min_u32_e32 v18, 32, v18
	v_subrev_nc_u32_e32 v19, 29, v18
	s_delay_alu instid0(VALU_DEP_1) | instskip(NEXT) | instid1(VALU_DEP_1)
	v_lshlrev_b64_e32 v[60:61], v19, v[2:3]
	v_dual_sub_nc_u32 v18, 30, v18 :: v_dual_bitop2_b32 v19, 3, v60 bitop3:0x40
; %bb.2198:                             ;   in Loop: Header=BB2_2121 Depth=3
	s_or_b32 exec_lo, exec_lo, s43
	v_lshlrev_b32_e32 v2, 24, v2
	s_delay_alu instid0(VALU_DEP_1) | instskip(NEXT) | instid1(VALU_DEP_1)
	v_and_b32_e32 v2, 0x80000000, v2
	v_lshl_add_u32 v2, v18, 23, v2
	s_delay_alu instid0(VALU_DEP_1) | instskip(NEXT) | instid1(VALU_DEP_1)
	v_lshl_or_b32 v2, v19, 21, v2
                                        ; implicit-def: $vgpr19
	v_add_nc_u32_e32 v18, 0x38000000, v2
                                        ; implicit-def: $vgpr2
.LBB2_2199:                             ;   in Loop: Header=BB2_2121 Depth=3
	s_and_not1_saveexec_b32 s42, s42
; %bb.2200:                             ;   in Loop: Header=BB2_2121 Depth=3
	v_bfe_i32 v2, v2, 0, 8
	s_delay_alu instid0(VALU_DEP_1) | instskip(SKIP_2) | instid1(VALU_DEP_2)
	v_cmp_lt_i16_e32 vcc_lo, -1, v2
	v_cndmask_b32_e32 v2, 0xff800000, v109, vcc_lo
	v_cmp_eq_u32_e32 vcc_lo, 0, v19
	v_cndmask_b32_e32 v18, 0x7f800001, v2, vcc_lo
; %bb.2201:                             ;   in Loop: Header=BB2_2121 Depth=3
	s_or_b32 exec_lo, exec_lo, s42
.LBB2_2202:                             ;   in Loop: Header=BB2_2121 Depth=3
	s_delay_alu instid0(SALU_CYCLE_1)
	s_or_b32 exec_lo, exec_lo, s15
.LBB2_2203:                             ;   in Loop: Header=BB2_2121 Depth=3
	s_delay_alu instid0(SALU_CYCLE_1) | instskip(SKIP_3) | instid1(VALU_DEP_1)
	s_or_b32 exec_lo, exec_lo, s14
	v_lshrrev_b32_e32 v2, 16, v8
	s_mov_b32 s15, 0
	s_mov_b32 s14, exec_lo
	v_and_b32_e32 v60, 0xff, v2
	s_delay_alu instid0(VALU_DEP_1)
	v_cmpx_lt_i16_e32 0x7f, v60
	s_xor_b32 s14, exec_lo, s14
	s_cbranch_execz .LBB2_2680
; %bb.2204:                             ;   in Loop: Header=BB2_2121 Depth=3
	s_mov_b32 s15, -1
	s_mov_b32 s42, exec_lo
	v_cmpx_eq_u16_e32 0x80, v60
; %bb.2205:                             ;   in Loop: Header=BB2_2121 Depth=3
	s_xor_b32 s15, exec_lo, -1
; %bb.2206:                             ;   in Loop: Header=BB2_2121 Depth=3
	s_or_b32 exec_lo, exec_lo, s42
	s_delay_alu instid0(SALU_CYCLE_1)
	s_and_b32 s15, s15, exec_lo
                                        ; implicit-def: $vgpr60
	s_or_saveexec_b32 s14, s14
	v_bfrev_b32_e32 v19, 1
	s_xor_b32 exec_lo, exec_lo, s14
	s_cbranch_execnz .LBB2_2681
.LBB2_2207:                             ;   in Loop: Header=BB2_2121 Depth=3
	s_or_b32 exec_lo, exec_lo, s14
	s_and_saveexec_b32 s14, s15
	s_cbranch_execz .LBB2_2209
.LBB2_2208:                             ;   in Loop: Header=BB2_2121 Depth=3
	v_and_b32_e32 v19, 3, v2
	s_delay_alu instid0(VALU_DEP_1) | instskip(NEXT) | instid1(VALU_DEP_1)
	v_clz_i32_u32_e32 v20, v19
	v_min_u32_e32 v20, 32, v20
	s_delay_alu instid0(VALU_DEP_1) | instskip(SKIP_1) | instid1(VALU_DEP_2)
	v_subrev_nc_u32_e32 v21, 29, v20
	v_sub_nc_u32_e32 v20, 30, v20
	v_lshlrev_b64_e32 v[60:61], v21, v[2:3]
	v_bfe_u32 v61, v8, 18, 5
	v_lshlrev_b32_e32 v21, 24, v2
	v_bfe_i32 v2, v2, 0, 8
	s_delay_alu instid0(VALU_DEP_3) | instskip(NEXT) | instid1(VALU_DEP_3)
	v_cmp_eq_u32_e32 vcc_lo, 0, v61
	v_and_b32_e32 v21, 0x80000000, v21
	v_and_b32_e32 v60, 3, v60
	v_cndmask_b32_e32 v20, v61, v20, vcc_lo
	s_delay_alu instid0(VALU_DEP_2) | instskip(SKIP_1) | instid1(VALU_DEP_3)
	v_cndmask_b32_e32 v60, v19, v60, vcc_lo
	v_cmp_lt_i16_e32 vcc_lo, -1, v2
	v_lshl_add_u32 v20, v20, 23, v21
	v_and_b32_e32 v21, 0x7c0000, v8
	v_cndmask_b32_e32 v2, 0xff800000, v109, vcc_lo
	v_cmp_eq_u32_e32 vcc_lo, 0, v19
	s_delay_alu instid0(VALU_DEP_4) | instskip(NEXT) | instid1(VALU_DEP_3)
	v_lshl_or_b32 v20, v60, 21, v20
	v_cndmask_b32_e32 v2, 0x7f800001, v2, vcc_lo
	s_delay_alu instid0(VALU_DEP_2) | instskip(SKIP_1) | instid1(VALU_DEP_2)
	v_add_nc_u32_e32 v19, 0x38000000, v20
	v_cmp_eq_u32_e32 vcc_lo, 0x7c0000, v21
	v_cndmask_b32_e32 v19, v19, v2, vcc_lo
.LBB2_2209:                             ;   in Loop: Header=BB2_2121 Depth=3
	s_or_b32 exec_lo, exec_lo, s14
	s_delay_alu instid0(VALU_DEP_1) | instskip(SKIP_1) | instid1(VALU_DEP_1)
	v_dual_mul_f32 v19, v18, v19 :: v_dual_mov_b32 v61, v3
                                        ; implicit-def: $vgpr79
	s_mov_b32 s14, exec_lo
	v_and_b32_e32 v60, 0x7f800000, v19
	v_and_b32_e32 v2, 0x7fffff, v19
	v_lshrrev_b32_e32 v18, 24, v19
	s_delay_alu instid0(VALU_DEP_3)
	v_cmpx_ne_u64_e32 0x7f800000, v[60:61]
	s_xor_b32 s15, exec_lo, s14
	s_cbranch_execz .LBB2_2223
; %bb.2210:                             ;   in Loop: Header=BB2_2121 Depth=3
	v_and_b32_e32 v60, 0x7fffffff, v19
	v_mov_b32_e32 v61, v3
	v_and_b32_e32 v18, 0x80, v18
                                        ; implicit-def: $vgpr79
	s_mov_b32 s14, exec_lo
	s_delay_alu instid0(VALU_DEP_2)
	v_cmpx_gt_u64_e32 0x47600001, v[60:61]
	s_xor_b32 s42, exec_lo, s14
	s_cbranch_execz .LBB2_2220
; %bb.2211:                             ;   in Loop: Header=BB2_2121 Depth=3
	v_mov_b32_e32 v79, 0
	s_mov_b32 s43, exec_lo
	v_cmpx_ne_u32_e32 0, v19
	s_cbranch_execz .LBB2_2219
; %bb.2212:                             ;   in Loop: Header=BB2_2121 Depth=3
	v_bfe_u32 v19, v19, 23, 8
	v_or_b32_e32 v21, 0x800000, v2
	s_delay_alu instid0(VALU_DEP_2) | instskip(SKIP_1) | instid1(VALU_DEP_2)
	v_sub_nc_u32_e32 v20, 0x71, v19
	v_cmp_gt_u32_e32 vcc_lo, 0x72, v19
	v_cndmask_b32_e32 v20, 0, v20, vcc_lo
	v_cmp_eq_u32_e32 vcc_lo, 0, v19
	v_cndmask_b32_e32 v2, v21, v2, vcc_lo
	s_delay_alu instid0(VALU_DEP_3) | instskip(NEXT) | instid1(VALU_DEP_1)
	v_cndmask_b32_e64 v72, v20, 0x70, vcc_lo
	v_add_nc_u32_e32 v20, 21, v72
	s_delay_alu instid0(VALU_DEP_1) | instskip(SKIP_1) | instid1(VALU_DEP_1)
	v_lshlrev_b64_e64 v[60:61], v20, -1
	v_add_nc_u32_e32 v20, 20, v72
	v_lshlrev_b64_e64 v[62:63], v20, 1
	s_delay_alu instid0(VALU_DEP_3) | instskip(NEXT) | instid1(VALU_DEP_4)
	v_bfi_b32 v89, v61, 0, 0
	v_bfi_b32 v88, v60, 0, v2
	v_lshrrev_b64 v[60:61], v72, v[2:3]
	s_delay_alu instid0(VALU_DEP_2) | instskip(NEXT) | instid1(VALU_DEP_2)
	v_cmp_eq_u64_e64 s14, v[88:89], v[62:63]
	v_mov_b64_e32 v[62:63], v[60:61]
	s_and_saveexec_b32 s74, s14
; %bb.2213:                             ;   in Loop: Header=BB2_2121 Depth=3
	v_bfe_u32 v2, v60, 21, 1
	s_delay_alu instid0(VALU_DEP_1) | instskip(NEXT) | instid1(VALU_DEP_1)
	v_add_nc_u64_e32 v[62:63], v[60:61], v[2:3]
	v_add_nc_u64_e32 v[62:63], -1, v[62:63]
; %bb.2214:                             ;   in Loop: Header=BB2_2121 Depth=3
	s_or_b32 exec_lo, exec_lo, s74
	v_add_nc_u32_e32 v2, 0xffffff81, v19
	v_lshrrev_b32_e32 v19, 23, v60
	s_mov_b32 s14, exec_lo
	s_delay_alu instid0(VALU_DEP_2) | instskip(NEXT) | instid1(VALU_DEP_1)
	v_cndmask_b32_e64 v2, v2, 0xffffff82, vcc_lo
	v_add3_u32 v63, v72, v2, v19
	v_and_b32_e32 v2, 0x1fffff, v62
                                        ; implicit-def: $vgpr19
	s_delay_alu instid0(VALU_DEP_1) | instskip(NEXT) | instid1(VALU_DEP_1)
	v_dual_add_nc_u32 v62, 14, v63 :: v_dual_add_nc_u32 v2, v2, v60
                                        ; implicit-def: $vgpr60_vgpr61
	v_cmpx_ne_u32_e32 0, v62
	s_xor_b32 s14, exec_lo, s14
; %bb.2215:                             ;   in Loop: Header=BB2_2121 Depth=3
	s_delay_alu instid0(VALU_DEP_2) | instskip(SKIP_2) | instid1(VALU_DEP_2)
	v_cmp_lt_u64_e32 vcc_lo, 0xffffff, v[2:3]
	v_add_nc_u32_e32 v19, 15, v63
	v_cndmask_b32_e64 v20, 0, 1, vcc_lo
	v_cndmask_b32_e32 v19, v62, v19, vcc_lo
	s_delay_alu instid0(VALU_DEP_2)
	v_lshrrev_b64 v[60:61], v20, v[2:3]
; %bb.2216:                             ;   in Loop: Header=BB2_2121 Depth=3
	s_and_not1_saveexec_b32 s14, s14
; %bb.2217:                             ;   in Loop: Header=BB2_2121 Depth=3
	v_mov_b64_e32 v[60:61], v[2:3]
	v_bfe_u32 v19, v2, 23, 1
; %bb.2218:                             ;   in Loop: Header=BB2_2121 Depth=3
	s_or_b32 exec_lo, exec_lo, s14
	s_delay_alu instid0(VALU_DEP_2) | instskip(NEXT) | instid1(VALU_DEP_2)
	v_lshrrev_b64 v[60:61], 21, v[60:61]
	v_cmp_gt_i32_e32 vcc_lo, 32, v19
	v_min_i32_e32 v2, 31, v19
	v_cmp_eq_u32_e64 s14, 0, v19
	s_delay_alu instid0(VALU_DEP_2) | instskip(SKIP_1) | instid1(VALU_DEP_2)
	v_dual_cndmask_b32 v61, 0, v61 :: v_dual_lshlrev_b32 v2, 2, v2
	v_cndmask_b32_e32 v60, 3, v60, vcc_lo
	v_and_b32_e32 v2, 0xfc, v2
	s_delay_alu instid0(VALU_DEP_2) | instskip(NEXT) | instid1(VALU_DEP_2)
	v_cmp_eq_u64_e32 vcc_lo, 0, v[60:61]
	v_and_or_b32 v2, v60, 3, v2
	s_and_b32 s14, s14, vcc_lo
	s_delay_alu instid0(VALU_DEP_1) | instid1(SALU_CYCLE_1)
	v_cndmask_b32_e64 v2, v2, 0, s14
	s_delay_alu instid0(VALU_DEP_1)
	v_or_b32_e32 v79, v2, v18
.LBB2_2219:                             ;   in Loop: Header=BB2_2121 Depth=3
	s_or_b32 exec_lo, exec_lo, s43
                                        ; implicit-def: $vgpr18
.LBB2_2220:                             ;   in Loop: Header=BB2_2121 Depth=3
	s_and_not1_saveexec_b32 s14, s42
; %bb.2221:                             ;   in Loop: Header=BB2_2121 Depth=3
	v_or_b32_e32 v79, 0x7b, v18
; %bb.2222:                             ;   in Loop: Header=BB2_2121 Depth=3
	s_or_b32 exec_lo, exec_lo, s14
                                        ; implicit-def: $vgpr19
                                        ; implicit-def: $vgpr18
.LBB2_2223:                             ;   in Loop: Header=BB2_2121 Depth=3
	s_and_not1_saveexec_b32 s14, s15
	s_cbranch_execz .LBB2_2229
; %bb.2224:                             ;   in Loop: Header=BB2_2121 Depth=3
	s_mov_b32 s15, exec_lo
                                        ; implicit-def: $vgpr79
	v_cmpx_ne_u64_e32 0, v[2:3]
	s_xor_b32 s15, exec_lo, s15
; %bb.2225:                             ;   in Loop: Header=BB2_2121 Depth=3
	v_or_b32_e32 v79, 0x7f, v18
                                        ; implicit-def: $vgpr19
; %bb.2226:                             ;   in Loop: Header=BB2_2121 Depth=3
	s_and_not1_saveexec_b32 s15, s15
; %bb.2227:                             ;   in Loop: Header=BB2_2121 Depth=3
	v_cmp_lt_i32_e32 vcc_lo, -1, v19
	v_cndmask_b32_e32 v79, 0xfc, v110, vcc_lo
; %bb.2228:                             ;   in Loop: Header=BB2_2121 Depth=3
	s_or_b32 exec_lo, exec_lo, s15
.LBB2_2229:                             ;   in Loop: Header=BB2_2121 Depth=3
	s_delay_alu instid0(SALU_CYCLE_1)
	s_or_b32 exec_lo, exec_lo, s14
	v_mov_b32_e32 v18, 0
	s_mov_b32 s14, exec_lo
	v_cmpx_lt_u32_e32 0xffffff, v12
	s_cbranch_execz .LBB2_2239
; %bb.2230:                             ;   in Loop: Header=BB2_2121 Depth=3
	v_lshrrev_b32_e32 v2, 24, v12
	v_bfrev_b32_e32 v18, 1
	s_mov_b32 s15, exec_lo
	s_delay_alu instid0(VALU_DEP_2)
	v_cmpx_ne_u32_e32 0x80, v2
	s_cbranch_execz .LBB2_2238
; %bb.2231:                             ;   in Loop: Header=BB2_2121 Depth=3
	v_and_b32_e32 v18, 0x7c000000, v12
	v_bfe_u32 v19, v12, 24, 2
	s_delay_alu instid0(VALU_DEP_2) | instskip(SKIP_1) | instid1(SALU_CYCLE_1)
	v_cmp_ne_u32_e32 vcc_lo, 0x7c000000, v18
                                        ; implicit-def: $vgpr18
	s_and_saveexec_b32 s42, vcc_lo
	s_xor_b32 s42, exec_lo, s42
	s_cbranch_execz .LBB2_2235
; %bb.2232:                             ;   in Loop: Header=BB2_2121 Depth=3
	v_bfe_u32 v18, v12, 26, 5
	s_mov_b32 s43, exec_lo
	s_delay_alu instid0(VALU_DEP_1)
	v_cmpx_eq_u32_e32 0, v18
; %bb.2233:                             ;   in Loop: Header=BB2_2121 Depth=3
	v_clz_i32_u32_e32 v18, v19
	s_delay_alu instid0(VALU_DEP_1) | instskip(NEXT) | instid1(VALU_DEP_1)
	v_min_u32_e32 v18, 32, v18
	v_subrev_nc_u32_e32 v19, 29, v18
	s_delay_alu instid0(VALU_DEP_1) | instskip(NEXT) | instid1(VALU_DEP_1)
	v_lshlrev_b64_e32 v[60:61], v19, v[2:3]
	v_dual_sub_nc_u32 v18, 30, v18 :: v_dual_bitop2_b32 v19, 3, v60 bitop3:0x40
; %bb.2234:                             ;   in Loop: Header=BB2_2121 Depth=3
	s_or_b32 exec_lo, exec_lo, s43
	v_and_b32_e32 v2, 0x80000000, v12
	s_delay_alu instid0(VALU_DEP_1) | instskip(NEXT) | instid1(VALU_DEP_1)
	v_lshl_add_u32 v2, v18, 23, v2
	v_lshl_or_b32 v2, v19, 21, v2
                                        ; implicit-def: $vgpr19
	s_delay_alu instid0(VALU_DEP_1)
	v_add_nc_u32_e32 v18, 0x38000000, v2
.LBB2_2235:                             ;   in Loop: Header=BB2_2121 Depth=3
	s_and_not1_saveexec_b32 s42, s42
; %bb.2236:                             ;   in Loop: Header=BB2_2121 Depth=3
	v_cmp_lt_i32_e32 vcc_lo, -1, v12
	v_cndmask_b32_e32 v2, 0xff800000, v109, vcc_lo
	v_cmp_eq_u32_e32 vcc_lo, 0, v19
	s_delay_alu instid0(VALU_DEP_2)
	v_cndmask_b32_e32 v18, 0x7f800001, v2, vcc_lo
; %bb.2237:                             ;   in Loop: Header=BB2_2121 Depth=3
	s_or_b32 exec_lo, exec_lo, s42
.LBB2_2238:                             ;   in Loop: Header=BB2_2121 Depth=3
	s_delay_alu instid0(SALU_CYCLE_1)
	s_or_b32 exec_lo, exec_lo, s15
.LBB2_2239:                             ;   in Loop: Header=BB2_2121 Depth=3
	s_delay_alu instid0(SALU_CYCLE_1) | instskip(SKIP_3) | instid1(VALU_DEP_2)
	s_or_b32 exec_lo, exec_lo, s14
	v_bfe_u32 v19, v8, 24, 2
	v_bfe_u32 v62, v8, 26, 5
                                        ; implicit-def: $vgpr88
	s_mov_b32 s14, exec_lo
	v_clz_i32_u32_e32 v2, v19
	s_delay_alu instid0(VALU_DEP_2) | instskip(NEXT) | instid1(VALU_DEP_2)
	v_cmp_eq_u32_e32 vcc_lo, 0, v62
	v_min_u32_e32 v20, 32, v2
	v_lshrrev_b32_e32 v2, 24, v8
	s_delay_alu instid0(VALU_DEP_2) | instskip(SKIP_1) | instid1(VALU_DEP_2)
	v_subrev_nc_u32_e32 v21, 29, v20
	v_sub_nc_u32_e32 v20, 30, v20
	v_lshlrev_b64_e32 v[60:61], v21, v[2:3]
	v_and_b32_e32 v21, 0x80000000, v8
	s_delay_alu instid0(VALU_DEP_3) | instskip(NEXT) | instid1(VALU_DEP_1)
	v_dual_cndmask_b32 v20, v62, v20 :: v_dual_mov_b32 v61, v3
	v_lshl_add_u32 v20, v20, 23, v21
	s_delay_alu instid0(VALU_DEP_4) | instskip(NEXT) | instid1(VALU_DEP_1)
	v_and_b32_e32 v60, 3, v60
	v_cndmask_b32_e32 v21, v19, v60, vcc_lo
	v_cmp_lt_i32_e32 vcc_lo, -1, v8
	s_delay_alu instid0(VALU_DEP_2) | instskip(SKIP_3) | instid1(VALU_DEP_4)
	v_lshl_or_b32 v20, v21, 21, v20
	v_cndmask_b32_e32 v60, 0xff800000, v109, vcc_lo
	v_and_b32_e32 v21, 0x7c000000, v8
	v_cmp_eq_u32_e32 vcc_lo, 0, v19
	v_add_nc_u32_e32 v20, 0x38000000, v20
	s_delay_alu instid0(VALU_DEP_4) | instskip(NEXT) | instid1(VALU_DEP_4)
	v_cndmask_b32_e32 v19, 0x7f800001, v60, vcc_lo
	v_cmp_eq_u32_e32 vcc_lo, 0x7c000000, v21
	s_delay_alu instid0(VALU_DEP_2) | instskip(SKIP_1) | instid1(VALU_DEP_2)
	v_cndmask_b32_e32 v19, v20, v19, vcc_lo
	v_cmp_ne_u32_e32 vcc_lo, 0x80, v2
	v_cndmask_b32_e32 v2, 0x80000000, v19, vcc_lo
	v_cmp_lt_u32_e32 vcc_lo, 0xffffff, v8
	s_delay_alu instid0(VALU_DEP_2) | instskip(NEXT) | instid1(VALU_DEP_1)
	v_cndmask_b32_e32 v2, 0, v2, vcc_lo
	v_mul_f32_e32 v19, v2, v18
	s_delay_alu instid0(VALU_DEP_1) | instskip(SKIP_2) | instid1(VALU_DEP_3)
	v_and_b32_e32 v60, 0x7f800000, v19
	v_and_b32_e32 v2, 0x7fffff, v19
	v_lshrrev_b32_e32 v18, 24, v19
	v_cmpx_ne_u64_e32 0x7f800000, v[60:61]
	s_xor_b32 s15, exec_lo, s14
	s_cbranch_execz .LBB2_2253
; %bb.2240:                             ;   in Loop: Header=BB2_2121 Depth=3
	v_and_b32_e32 v60, 0x7fffffff, v19
	v_mov_b32_e32 v61, v3
	v_and_b32_e32 v18, 0x80, v18
                                        ; implicit-def: $vgpr88
	s_mov_b32 s14, exec_lo
	s_delay_alu instid0(VALU_DEP_2)
	v_cmpx_gt_u64_e32 0x47600001, v[60:61]
	s_xor_b32 s42, exec_lo, s14
	s_cbranch_execz .LBB2_2250
; %bb.2241:                             ;   in Loop: Header=BB2_2121 Depth=3
	v_mov_b32_e32 v88, 0
	s_mov_b32 s43, exec_lo
	v_cmpx_ne_u32_e32 0, v19
	s_cbranch_execz .LBB2_2249
; %bb.2242:                             ;   in Loop: Header=BB2_2121 Depth=3
	v_bfe_u32 v19, v19, 23, 8
	v_or_b32_e32 v21, 0x800000, v2
	s_delay_alu instid0(VALU_DEP_2) | instskip(SKIP_1) | instid1(VALU_DEP_2)
	v_sub_nc_u32_e32 v20, 0x71, v19
	v_cmp_gt_u32_e32 vcc_lo, 0x72, v19
	v_cndmask_b32_e32 v20, 0, v20, vcc_lo
	v_cmp_eq_u32_e32 vcc_lo, 0, v19
	v_cndmask_b32_e32 v2, v21, v2, vcc_lo
	s_delay_alu instid0(VALU_DEP_3) | instskip(NEXT) | instid1(VALU_DEP_1)
	v_cndmask_b32_e64 v72, v20, 0x70, vcc_lo
	v_add_nc_u32_e32 v20, 21, v72
	s_delay_alu instid0(VALU_DEP_1) | instskip(SKIP_1) | instid1(VALU_DEP_1)
	v_lshlrev_b64_e64 v[60:61], v20, -1
	v_add_nc_u32_e32 v20, 20, v72
	v_lshlrev_b64_e64 v[62:63], v20, 1
	s_delay_alu instid0(VALU_DEP_3) | instskip(NEXT) | instid1(VALU_DEP_4)
	v_bfi_b32 v89, v61, 0, 0
	v_bfi_b32 v88, v60, 0, v2
	v_lshrrev_b64 v[60:61], v72, v[2:3]
	s_delay_alu instid0(VALU_DEP_2) | instskip(NEXT) | instid1(VALU_DEP_2)
	v_cmp_eq_u64_e64 s14, v[88:89], v[62:63]
	v_mov_b64_e32 v[62:63], v[60:61]
	s_and_saveexec_b32 s74, s14
; %bb.2243:                             ;   in Loop: Header=BB2_2121 Depth=3
	v_bfe_u32 v2, v60, 21, 1
	s_delay_alu instid0(VALU_DEP_1) | instskip(NEXT) | instid1(VALU_DEP_1)
	v_add_nc_u64_e32 v[62:63], v[60:61], v[2:3]
	v_add_nc_u64_e32 v[62:63], -1, v[62:63]
; %bb.2244:                             ;   in Loop: Header=BB2_2121 Depth=3
	s_or_b32 exec_lo, exec_lo, s74
	v_add_nc_u32_e32 v2, 0xffffff81, v19
	v_lshrrev_b32_e32 v19, 23, v60
	s_mov_b32 s14, exec_lo
	s_delay_alu instid0(VALU_DEP_2) | instskip(NEXT) | instid1(VALU_DEP_1)
	v_cndmask_b32_e64 v2, v2, 0xffffff82, vcc_lo
	v_add3_u32 v63, v72, v2, v19
	v_and_b32_e32 v2, 0x1fffff, v62
                                        ; implicit-def: $vgpr19
	s_delay_alu instid0(VALU_DEP_1) | instskip(NEXT) | instid1(VALU_DEP_1)
	v_dual_add_nc_u32 v62, 14, v63 :: v_dual_add_nc_u32 v2, v2, v60
                                        ; implicit-def: $vgpr60_vgpr61
	v_cmpx_ne_u32_e32 0, v62
	s_xor_b32 s14, exec_lo, s14
; %bb.2245:                             ;   in Loop: Header=BB2_2121 Depth=3
	s_delay_alu instid0(VALU_DEP_2) | instskip(SKIP_2) | instid1(VALU_DEP_2)
	v_cmp_lt_u64_e32 vcc_lo, 0xffffff, v[2:3]
	v_add_nc_u32_e32 v19, 15, v63
	v_cndmask_b32_e64 v20, 0, 1, vcc_lo
	v_cndmask_b32_e32 v19, v62, v19, vcc_lo
	s_delay_alu instid0(VALU_DEP_2)
	v_lshrrev_b64 v[60:61], v20, v[2:3]
; %bb.2246:                             ;   in Loop: Header=BB2_2121 Depth=3
	s_and_not1_saveexec_b32 s14, s14
; %bb.2247:                             ;   in Loop: Header=BB2_2121 Depth=3
	v_mov_b64_e32 v[60:61], v[2:3]
	v_bfe_u32 v19, v2, 23, 1
; %bb.2248:                             ;   in Loop: Header=BB2_2121 Depth=3
	s_or_b32 exec_lo, exec_lo, s14
	s_delay_alu instid0(VALU_DEP_2) | instskip(NEXT) | instid1(VALU_DEP_2)
	v_lshrrev_b64 v[60:61], 21, v[60:61]
	v_cmp_gt_i32_e32 vcc_lo, 32, v19
	v_min_i32_e32 v2, 31, v19
	v_cmp_eq_u32_e64 s14, 0, v19
	s_delay_alu instid0(VALU_DEP_2) | instskip(SKIP_1) | instid1(VALU_DEP_2)
	v_dual_cndmask_b32 v61, 0, v61 :: v_dual_lshlrev_b32 v2, 2, v2
	v_cndmask_b32_e32 v60, 3, v60, vcc_lo
	v_and_b32_e32 v2, 0xfc, v2
	s_delay_alu instid0(VALU_DEP_2) | instskip(NEXT) | instid1(VALU_DEP_2)
	v_cmp_eq_u64_e32 vcc_lo, 0, v[60:61]
	v_and_or_b32 v2, v60, 3, v2
	s_and_b32 s14, s14, vcc_lo
	s_delay_alu instid0(VALU_DEP_1) | instid1(SALU_CYCLE_1)
	v_cndmask_b32_e64 v2, v2, 0, s14
	s_delay_alu instid0(VALU_DEP_1)
	v_or_b32_e32 v88, v2, v18
.LBB2_2249:                             ;   in Loop: Header=BB2_2121 Depth=3
	s_or_b32 exec_lo, exec_lo, s43
                                        ; implicit-def: $vgpr18
.LBB2_2250:                             ;   in Loop: Header=BB2_2121 Depth=3
	s_and_not1_saveexec_b32 s14, s42
; %bb.2251:                             ;   in Loop: Header=BB2_2121 Depth=3
	v_or_b32_e32 v88, 0x7b, v18
; %bb.2252:                             ;   in Loop: Header=BB2_2121 Depth=3
	s_or_b32 exec_lo, exec_lo, s14
                                        ; implicit-def: $vgpr19
                                        ; implicit-def: $vgpr18
.LBB2_2253:                             ;   in Loop: Header=BB2_2121 Depth=3
	s_and_not1_saveexec_b32 s14, s15
	s_cbranch_execz .LBB2_2259
; %bb.2254:                             ;   in Loop: Header=BB2_2121 Depth=3
	s_mov_b32 s15, exec_lo
                                        ; implicit-def: $vgpr88
	v_cmpx_ne_u64_e32 0, v[2:3]
	s_xor_b32 s15, exec_lo, s15
; %bb.2255:                             ;   in Loop: Header=BB2_2121 Depth=3
	v_or_b32_e32 v88, 0x7f, v18
                                        ; implicit-def: $vgpr19
; %bb.2256:                             ;   in Loop: Header=BB2_2121 Depth=3
	s_and_not1_saveexec_b32 s15, s15
; %bb.2257:                             ;   in Loop: Header=BB2_2121 Depth=3
	v_cmp_lt_i32_e32 vcc_lo, -1, v19
	v_cndmask_b32_e32 v88, 0xfc, v110, vcc_lo
; %bb.2258:                             ;   in Loop: Header=BB2_2121 Depth=3
	s_or_b32 exec_lo, exec_lo, s15
.LBB2_2259:                             ;   in Loop: Header=BB2_2121 Depth=3
	s_delay_alu instid0(SALU_CYCLE_1) | instskip(SKIP_3) | instid1(VALU_DEP_2)
	s_or_b32 exec_lo, exec_lo, s14
	v_and_b32_e32 v19, 0xff, v13
	v_dual_mov_b32 v2, v13 :: v_dual_mov_b32 v18, 0
	s_mov_b32 s14, exec_lo
	v_cmpx_ne_u16_e32 0, v19
	s_cbranch_execz .LBB2_2269
; %bb.2260:                             ;   in Loop: Header=BB2_2121 Depth=3
	v_bfrev_b32_e32 v18, 1
	s_mov_b32 s15, exec_lo
	v_cmpx_ne_u16_e32 0x80, v19
	s_cbranch_execz .LBB2_2268
; %bb.2261:                             ;   in Loop: Header=BB2_2121 Depth=3
	v_and_b32_e32 v18, 0x7c, v13
	v_and_b32_e32 v19, 3, v13
	s_delay_alu instid0(VALU_DEP_2) | instskip(SKIP_1) | instid1(SALU_CYCLE_1)
	v_cmp_ne_u32_e32 vcc_lo, 0x7c, v18
                                        ; implicit-def: $vgpr18
	s_and_saveexec_b32 s42, vcc_lo
	s_xor_b32 s42, exec_lo, s42
	s_cbranch_execz .LBB2_2265
; %bb.2262:                             ;   in Loop: Header=BB2_2121 Depth=3
	v_bfe_u32 v18, v13, 2, 5
	s_mov_b32 s43, exec_lo
	s_delay_alu instid0(VALU_DEP_1)
	v_cmpx_eq_u32_e32 0, v18
; %bb.2263:                             ;   in Loop: Header=BB2_2121 Depth=3
	v_clz_i32_u32_e32 v18, v19
	s_delay_alu instid0(VALU_DEP_1) | instskip(NEXT) | instid1(VALU_DEP_1)
	v_min_u32_e32 v18, 32, v18
	v_subrev_nc_u32_e32 v19, 29, v18
	s_delay_alu instid0(VALU_DEP_1) | instskip(NEXT) | instid1(VALU_DEP_1)
	v_lshlrev_b64_e32 v[60:61], v19, v[2:3]
	v_dual_sub_nc_u32 v18, 30, v18 :: v_dual_bitop2_b32 v19, 3, v60 bitop3:0x40
; %bb.2264:                             ;   in Loop: Header=BB2_2121 Depth=3
	s_or_b32 exec_lo, exec_lo, s43
	v_lshlrev_b32_e32 v20, 24, v13
	s_delay_alu instid0(VALU_DEP_1) | instskip(NEXT) | instid1(VALU_DEP_1)
	v_and_b32_e32 v20, 0x80000000, v20
	v_lshl_add_u32 v18, v18, 23, v20
	s_delay_alu instid0(VALU_DEP_1) | instskip(NEXT) | instid1(VALU_DEP_1)
	v_lshl_or_b32 v18, v19, 21, v18
                                        ; implicit-def: $vgpr19
	v_add_nc_u32_e32 v18, 0x38000000, v18
.LBB2_2265:                             ;   in Loop: Header=BB2_2121 Depth=3
	s_and_not1_saveexec_b32 s42, s42
; %bb.2266:                             ;   in Loop: Header=BB2_2121 Depth=3
	v_bfe_i32 v18, v13, 0, 8
	s_delay_alu instid0(VALU_DEP_1) | instskip(SKIP_2) | instid1(VALU_DEP_2)
	v_cmp_lt_i16_e32 vcc_lo, -1, v18
	v_cndmask_b32_e32 v18, 0xff800000, v109, vcc_lo
	v_cmp_eq_u32_e32 vcc_lo, 0, v19
	v_cndmask_b32_e32 v18, 0x7f800001, v18, vcc_lo
; %bb.2267:                             ;   in Loop: Header=BB2_2121 Depth=3
	s_or_b32 exec_lo, exec_lo, s42
.LBB2_2268:                             ;   in Loop: Header=BB2_2121 Depth=3
	s_delay_alu instid0(SALU_CYCLE_1)
	s_or_b32 exec_lo, exec_lo, s15
.LBB2_2269:                             ;   in Loop: Header=BB2_2121 Depth=3
	s_delay_alu instid0(SALU_CYCLE_1) | instskip(SKIP_4) | instid1(VALU_DEP_2)
	s_or_b32 exec_lo, exec_lo, s14
	v_and_b32_e32 v61, 0xff, v9
	v_mov_b32_e32 v60, v9
	s_mov_b32 s15, 0
	s_mov_b32 s14, exec_lo
	v_cmpx_lt_i16_e32 0x7f, v61
	s_xor_b32 s14, exec_lo, s14
	s_cbranch_execz .LBB2_2682
; %bb.2270:                             ;   in Loop: Header=BB2_2121 Depth=3
	s_mov_b32 s15, -1
	s_mov_b32 s42, exec_lo
	v_cmpx_eq_u16_e32 0x80, v61
; %bb.2271:                             ;   in Loop: Header=BB2_2121 Depth=3
	s_xor_b32 s15, exec_lo, -1
; %bb.2272:                             ;   in Loop: Header=BB2_2121 Depth=3
	s_or_b32 exec_lo, exec_lo, s42
	s_delay_alu instid0(SALU_CYCLE_1)
	s_and_b32 s15, s15, exec_lo
                                        ; implicit-def: $vgpr61
	s_or_saveexec_b32 s14, s14
	v_bfrev_b32_e32 v19, 1
	s_xor_b32 exec_lo, exec_lo, s14
	s_cbranch_execnz .LBB2_2683
.LBB2_2273:                             ;   in Loop: Header=BB2_2121 Depth=3
	s_or_b32 exec_lo, exec_lo, s14
	v_mov_b32_e32 v61, v3
	s_and_saveexec_b32 s14, s15
	s_cbranch_execz .LBB2_2275
.LBB2_2274:                             ;   in Loop: Header=BB2_2121 Depth=3
	v_and_b32_e32 v19, 3, v9
	s_delay_alu instid0(VALU_DEP_1) | instskip(NEXT) | instid1(VALU_DEP_1)
	v_clz_i32_u32_e32 v20, v19
	v_min_u32_e32 v20, 32, v20
	s_delay_alu instid0(VALU_DEP_1) | instskip(NEXT) | instid1(VALU_DEP_1)
	v_subrev_nc_u32_e32 v21, 29, v20
	v_lshlrev_b64_e32 v[62:63], v21, v[60:61]
	v_bfe_u32 v61, v9, 2, 5
	v_dual_lshlrev_b32 v21, 24, v9 :: v_dual_sub_nc_u32 v20, 30, v20
	s_delay_alu instid0(VALU_DEP_2) | instskip(NEXT) | instid1(VALU_DEP_2)
	v_cmp_eq_u32_e32 vcc_lo, 0, v61
	v_and_b32_e32 v21, 0x80000000, v21
	s_delay_alu instid0(VALU_DEP_3) | instskip(SKIP_1) | instid1(VALU_DEP_2)
	v_dual_cndmask_b32 v20, v61, v20, vcc_lo :: v_dual_bitop2_b32 v62, 3, v62 bitop3:0x40
	v_bfe_i32 v61, v9, 0, 8
	v_cndmask_b32_e32 v62, v19, v62, vcc_lo
	s_delay_alu instid0(VALU_DEP_3) | instskip(NEXT) | instid1(VALU_DEP_3)
	v_lshl_add_u32 v20, v20, 23, v21
	v_cmp_lt_i16_e32 vcc_lo, -1, v61
	v_and_b32_e32 v61, 0x7c, v9
	s_delay_alu instid0(VALU_DEP_3) | instskip(SKIP_2) | instid1(VALU_DEP_3)
	v_lshl_or_b32 v20, v62, 21, v20
	v_cndmask_b32_e32 v21, 0xff800000, v109, vcc_lo
	v_cmp_eq_u32_e32 vcc_lo, 0, v19
	v_add_nc_u32_e32 v20, 0x38000000, v20
	s_delay_alu instid0(VALU_DEP_3) | instskip(SKIP_1) | instid1(VALU_DEP_2)
	v_cndmask_b32_e32 v19, 0x7f800001, v21, vcc_lo
	v_cmp_eq_u32_e32 vcc_lo, 0x7c, v61
	v_cndmask_b32_e32 v19, v20, v19, vcc_lo
.LBB2_2275:                             ;   in Loop: Header=BB2_2121 Depth=3
	s_or_b32 exec_lo, exec_lo, s14
	s_delay_alu instid0(VALU_DEP_1) | instskip(NEXT) | instid1(VALU_DEP_1)
	v_dual_mul_f32 v19, v18, v19 :: v_dual_mov_b32 v73, v3
	v_dual_mov_b32 v63, v3 :: v_dual_lshrrev_b32 v18, 24, v19
	v_and_b32_e32 v72, 0x7f800000, v19
	v_and_b32_e32 v62, 0x7fffff, v19
	s_delay_alu instid0(VALU_DEP_2) | instskip(SKIP_1) | instid1(SALU_CYCLE_1)
	v_cmp_ne_u64_e32 vcc_lo, 0x7f800000, v[72:73]
                                        ; implicit-def: $vgpr72
	s_and_saveexec_b32 s14, vcc_lo
	s_xor_b32 s15, exec_lo, s14
	s_cbranch_execz .LBB2_2289
; %bb.2276:                             ;   in Loop: Header=BB2_2121 Depth=3
	v_and_b32_e32 v72, 0x7fffffff, v19
	v_mov_b32_e32 v73, v3
	v_and_b32_e32 v18, 0x80, v18
	s_delay_alu instid0(VALU_DEP_2) | instskip(SKIP_1) | instid1(SALU_CYCLE_1)
	v_cmp_gt_u64_e32 vcc_lo, 0x47600001, v[72:73]
                                        ; implicit-def: $vgpr72
	s_and_saveexec_b32 s14, vcc_lo
	s_xor_b32 s42, exec_lo, s14
	s_cbranch_execz .LBB2_2286
; %bb.2277:                             ;   in Loop: Header=BB2_2121 Depth=3
	v_mov_b32_e32 v72, 0
	s_mov_b32 s43, exec_lo
	v_cmpx_ne_u32_e32 0, v19
	s_cbranch_execz .LBB2_2285
; %bb.2278:                             ;   in Loop: Header=BB2_2121 Depth=3
	v_bfe_u32 v19, v19, 23, 8
	v_or_b32_e32 v21, 0x800000, v62
	s_delay_alu instid0(VALU_DEP_2) | instskip(SKIP_1) | instid1(VALU_DEP_2)
	v_sub_nc_u32_e32 v20, 0x71, v19
	v_cmp_gt_u32_e32 vcc_lo, 0x72, v19
	v_cndmask_b32_e32 v20, 0, v20, vcc_lo
	v_cmp_eq_u32_e32 vcc_lo, 0, v19
	v_cndmask_b32_e32 v62, v21, v62, vcc_lo
	s_delay_alu instid0(VALU_DEP_3) | instskip(NEXT) | instid1(VALU_DEP_1)
	v_cndmask_b32_e64 v61, v20, 0x70, vcc_lo
	v_add_nc_u32_e32 v20, 21, v61
	s_delay_alu instid0(VALU_DEP_1) | instskip(SKIP_1) | instid1(VALU_DEP_1)
	v_lshlrev_b64_e64 v[72:73], v20, -1
	v_add_nc_u32_e32 v20, 20, v61
	v_lshlrev_b64_e64 v[90:91], v20, 1
	s_delay_alu instid0(VALU_DEP_3) | instskip(SKIP_2) | instid1(VALU_DEP_1)
	v_bfi_b32 v72, v72, 0, v62
	v_lshrrev_b64 v[62:63], v61, v[62:63]
	v_bfi_b32 v73, v73, 0, 0
	v_cmp_eq_u64_e64 s14, v[72:73], v[90:91]
	s_delay_alu instid0(VALU_DEP_3)
	v_mov_b64_e32 v[72:73], v[62:63]
	s_and_saveexec_b32 s74, s14
; %bb.2279:                             ;   in Loop: Header=BB2_2121 Depth=3
	v_bfe_u32 v72, v62, 21, 1
	v_mov_b32_e32 v73, v3
	s_delay_alu instid0(VALU_DEP_1) | instskip(NEXT) | instid1(VALU_DEP_1)
	v_add_nc_u64_e32 v[72:73], v[62:63], v[72:73]
	v_add_nc_u64_e32 v[72:73], -1, v[72:73]
; %bb.2280:                             ;   in Loop: Header=BB2_2121 Depth=3
	s_or_b32 exec_lo, exec_lo, s74
	v_add_nc_u32_e32 v19, 0xffffff81, v19
	v_dual_mov_b32 v63, v3 :: v_dual_lshrrev_b32 v20, 23, v62
	s_mov_b32 s14, exec_lo
	s_delay_alu instid0(VALU_DEP_2) | instskip(NEXT) | instid1(VALU_DEP_1)
	v_cndmask_b32_e64 v19, v19, 0xffffff82, vcc_lo
	v_add3_u32 v61, v61, v19, v20
	v_and_b32_e32 v19, 0x1fffff, v72
	s_delay_alu instid0(VALU_DEP_1) | instskip(NEXT) | instid1(VALU_DEP_1)
	v_dual_add_nc_u32 v72, 14, v61 :: v_dual_add_nc_u32 v62, v19, v62
                                        ; implicit-def: $vgpr19
	v_cmpx_ne_u32_e32 0, v72
	s_xor_b32 s14, exec_lo, s14
; %bb.2281:                             ;   in Loop: Header=BB2_2121 Depth=3
	s_delay_alu instid0(VALU_DEP_2) | instskip(SKIP_2) | instid1(VALU_DEP_2)
	v_cmp_lt_u64_e32 vcc_lo, 0xffffff, v[62:63]
	v_add_nc_u32_e32 v19, 15, v61
	v_cndmask_b32_e64 v20, 0, 1, vcc_lo
	v_cndmask_b32_e32 v19, v72, v19, vcc_lo
	s_delay_alu instid0(VALU_DEP_2)
	v_lshrrev_b64 v[62:63], v20, v[62:63]
; %bb.2282:                             ;   in Loop: Header=BB2_2121 Depth=3
	s_and_not1_saveexec_b32 s14, s14
; %bb.2283:                             ;   in Loop: Header=BB2_2121 Depth=3
	s_delay_alu instid0(VALU_DEP_1)
	v_bfe_u32 v19, v62, 23, 1
; %bb.2284:                             ;   in Loop: Header=BB2_2121 Depth=3
	s_or_b32 exec_lo, exec_lo, s14
	s_delay_alu instid0(VALU_DEP_2) | instskip(NEXT) | instid1(VALU_DEP_2)
	v_lshrrev_b64 v[62:63], 21, v[62:63]
	v_cmp_gt_i32_e32 vcc_lo, 32, v19
	v_min_i32_e32 v20, 31, v19
	v_cmp_eq_u32_e64 s14, 0, v19
	s_delay_alu instid0(VALU_DEP_2) | instskip(SKIP_1) | instid1(VALU_DEP_2)
	v_dual_cndmask_b32 v62, 3, v62, vcc_lo :: v_dual_lshlrev_b32 v20, 2, v20
	v_cndmask_b32_e32 v63, 0, v63, vcc_lo
	v_and_b32_e32 v20, 0xfc, v20
	s_delay_alu instid0(VALU_DEP_2) | instskip(NEXT) | instid1(VALU_DEP_2)
	v_cmp_eq_u64_e32 vcc_lo, 0, v[62:63]
	v_and_or_b32 v19, v62, 3, v20
	s_and_b32 s14, s14, vcc_lo
	s_delay_alu instid0(VALU_DEP_1) | instid1(SALU_CYCLE_1)
	v_cndmask_b32_e64 v19, v19, 0, s14
	s_delay_alu instid0(VALU_DEP_1)
	v_or_b32_e32 v72, v19, v18
.LBB2_2285:                             ;   in Loop: Header=BB2_2121 Depth=3
	s_or_b32 exec_lo, exec_lo, s43
                                        ; implicit-def: $vgpr18
.LBB2_2286:                             ;   in Loop: Header=BB2_2121 Depth=3
	s_and_not1_saveexec_b32 s14, s42
; %bb.2287:                             ;   in Loop: Header=BB2_2121 Depth=3
	v_or_b32_e32 v72, 0x7b, v18
; %bb.2288:                             ;   in Loop: Header=BB2_2121 Depth=3
	s_or_b32 exec_lo, exec_lo, s14
                                        ; implicit-def: $vgpr19
                                        ; implicit-def: $vgpr62_vgpr63
                                        ; implicit-def: $vgpr18
.LBB2_2289:                             ;   in Loop: Header=BB2_2121 Depth=3
	s_and_not1_saveexec_b32 s14, s15
	s_cbranch_execz .LBB2_2295
; %bb.2290:                             ;   in Loop: Header=BB2_2121 Depth=3
	s_mov_b32 s15, exec_lo
                                        ; implicit-def: $vgpr72
	v_cmpx_ne_u64_e32 0, v[62:63]
	s_xor_b32 s15, exec_lo, s15
; %bb.2291:                             ;   in Loop: Header=BB2_2121 Depth=3
	v_or_b32_e32 v72, 0x7f, v18
                                        ; implicit-def: $vgpr19
; %bb.2292:                             ;   in Loop: Header=BB2_2121 Depth=3
	s_and_not1_saveexec_b32 s15, s15
; %bb.2293:                             ;   in Loop: Header=BB2_2121 Depth=3
	v_cmp_lt_i32_e32 vcc_lo, -1, v19
	v_cndmask_b32_e32 v72, 0xfc, v110, vcc_lo
; %bb.2294:                             ;   in Loop: Header=BB2_2121 Depth=3
	s_or_b32 exec_lo, exec_lo, s15
.LBB2_2295:                             ;   in Loop: Header=BB2_2121 Depth=3
	s_delay_alu instid0(SALU_CYCLE_1) | instskip(SKIP_3) | instid1(VALU_DEP_2)
	s_or_b32 exec_lo, exec_lo, s14
	v_lshrrev_b16 v62, 8, v2
	v_mov_b32_e32 v18, 0
	s_mov_b32 s14, exec_lo
	v_cmpx_ne_u16_e32 0, v62
	s_cbranch_execz .LBB2_2305
; %bb.2296:                             ;   in Loop: Header=BB2_2121 Depth=3
	v_bfrev_b32_e32 v18, 1
	s_mov_b32 s15, exec_lo
	v_cmpx_ne_u16_e32 0x80, v62
	s_cbranch_execz .LBB2_2304
; %bb.2297:                             ;   in Loop: Header=BB2_2121 Depth=3
	v_and_b32_e32 v61, 0xffff, v62
	s_delay_alu instid0(VALU_DEP_1) | instskip(SKIP_1) | instid1(VALU_DEP_2)
	v_and_b32_e32 v18, 0x7c, v61
	v_and_b32_e32 v19, 3, v61
	v_cmp_ne_u32_e32 vcc_lo, 0x7c, v18
                                        ; implicit-def: $vgpr18
	s_and_saveexec_b32 s42, vcc_lo
	s_delay_alu instid0(SALU_CYCLE_1)
	s_xor_b32 s42, exec_lo, s42
	s_cbranch_execz .LBB2_2301
; %bb.2298:                             ;   in Loop: Header=BB2_2121 Depth=3
	v_bfe_u32 v18, v61, 2, 5
	s_mov_b32 s43, exec_lo
	s_delay_alu instid0(VALU_DEP_1)
	v_cmpx_eq_u32_e32 0, v18
	s_cbranch_execz .LBB2_2300
; %bb.2299:                             ;   in Loop: Header=BB2_2121 Depth=3
	v_clz_i32_u32_e32 v18, v19
	s_delay_alu instid0(VALU_DEP_1) | instskip(SKIP_1) | instid1(VALU_DEP_2)
	v_min_u32_e32 v18, 32, v18
	v_mov_b32_e32 v63, v3
	v_subrev_nc_u32_e32 v19, 29, v18
	v_sub_nc_u32_e32 v18, 30, v18
	s_delay_alu instid0(VALU_DEP_2) | instskip(NEXT) | instid1(VALU_DEP_1)
	v_lshlrev_b64_e32 v[62:63], v19, v[62:63]
	v_and_b32_e32 v19, 3, v62
.LBB2_2300:                             ;   in Loop: Header=BB2_2121 Depth=3
	s_or_b32 exec_lo, exec_lo, s43
	v_lshlrev_b32_e32 v2, 16, v2
	s_delay_alu instid0(VALU_DEP_1) | instskip(NEXT) | instid1(VALU_DEP_1)
	v_and_b32_e32 v2, 0x80000000, v2
	v_lshl_add_u32 v2, v18, 23, v2
	s_delay_alu instid0(VALU_DEP_1) | instskip(NEXT) | instid1(VALU_DEP_1)
	v_lshl_or_b32 v2, v19, 21, v2
                                        ; implicit-def: $vgpr19
	v_add_nc_u32_e32 v18, 0x38000000, v2
.LBB2_2301:                             ;   in Loop: Header=BB2_2121 Depth=3
	s_and_not1_saveexec_b32 s42, s42
; %bb.2302:                             ;   in Loop: Header=BB2_2121 Depth=3
	v_cmp_lt_i16_e32 vcc_lo, -1, v2
	v_cndmask_b32_e32 v2, 0xff800000, v109, vcc_lo
	v_cmp_eq_u32_e32 vcc_lo, 0, v19
	s_delay_alu instid0(VALU_DEP_2)
	v_cndmask_b32_e32 v18, 0x7f800001, v2, vcc_lo
; %bb.2303:                             ;   in Loop: Header=BB2_2121 Depth=3
	s_or_b32 exec_lo, exec_lo, s42
.LBB2_2304:                             ;   in Loop: Header=BB2_2121 Depth=3
	s_delay_alu instid0(SALU_CYCLE_1)
	s_or_b32 exec_lo, exec_lo, s15
.LBB2_2305:                             ;   in Loop: Header=BB2_2121 Depth=3
	s_delay_alu instid0(SALU_CYCLE_1) | instskip(SKIP_3) | instid1(VALU_DEP_1)
	s_or_b32 exec_lo, exec_lo, s14
	v_lshrrev_b16 v2, 8, v60
	s_mov_b32 s15, 0
	s_mov_b32 s14, exec_lo
	v_cmpx_lt_i16_e32 0x7f, v2
	s_xor_b32 s14, exec_lo, s14
	s_cbranch_execz .LBB2_2684
; %bb.2306:                             ;   in Loop: Header=BB2_2121 Depth=3
	s_mov_b32 s15, -1
	s_mov_b32 s42, exec_lo
	v_cmpx_eq_u16_e32 0x80, v2
; %bb.2307:                             ;   in Loop: Header=BB2_2121 Depth=3
	s_xor_b32 s15, exec_lo, -1
; %bb.2308:                             ;   in Loop: Header=BB2_2121 Depth=3
	s_or_b32 exec_lo, exec_lo, s42
	s_delay_alu instid0(SALU_CYCLE_1)
	s_and_b32 s15, s15, exec_lo
	s_or_saveexec_b32 s14, s14
	v_bfrev_b32_e32 v19, 1
	s_xor_b32 exec_lo, exec_lo, s14
	s_cbranch_execnz .LBB2_2685
.LBB2_2309:                             ;   in Loop: Header=BB2_2121 Depth=3
	s_or_b32 exec_lo, exec_lo, s14
	s_and_saveexec_b32 s14, s15
	s_cbranch_execz .LBB2_2311
.LBB2_2310:                             ;   in Loop: Header=BB2_2121 Depth=3
	v_and_b32_e32 v19, 0xffff, v2
	s_delay_alu instid0(VALU_DEP_1) | instskip(NEXT) | instid1(VALU_DEP_1)
	v_and_b32_e32 v20, 3, v19
	v_clz_i32_u32_e32 v21, v20
	s_delay_alu instid0(VALU_DEP_1) | instskip(NEXT) | instid1(VALU_DEP_1)
	v_min_u32_e32 v21, 32, v21
	v_subrev_nc_u32_e32 v61, 29, v21
	s_delay_alu instid0(VALU_DEP_1) | instskip(SKIP_3) | instid1(VALU_DEP_3)
	v_lshlrev_b64_e32 v[62:63], v61, v[2:3]
	v_bfe_u32 v61, v19, 2, 5
	v_dual_lshlrev_b32 v2, 24, v2 :: v_dual_sub_nc_u32 v21, 30, v21
	v_and_b32_e32 v19, 0x7c, v19
	v_cmp_eq_u32_e32 vcc_lo, 0, v61
	s_delay_alu instid0(VALU_DEP_3) | instskip(NEXT) | instid1(VALU_DEP_4)
	v_and_b32_e32 v2, 0x80000000, v2
	v_dual_cndmask_b32 v21, v61, v21, vcc_lo :: v_dual_bitop2_b32 v62, 3, v62 bitop3:0x40
	s_delay_alu instid0(VALU_DEP_1) | instskip(SKIP_1) | instid1(VALU_DEP_3)
	v_cndmask_b32_e32 v61, v20, v62, vcc_lo
	v_cmp_lt_i16_e32 vcc_lo, -1, v60
	v_lshl_add_u32 v2, v21, 23, v2
	v_cndmask_b32_e32 v21, 0xff800000, v109, vcc_lo
	v_cmp_eq_u32_e32 vcc_lo, 0, v20
	s_delay_alu instid0(VALU_DEP_3) | instskip(NEXT) | instid1(VALU_DEP_3)
	v_lshl_or_b32 v2, v61, 21, v2
	v_cndmask_b32_e32 v20, 0x7f800001, v21, vcc_lo
	s_delay_alu instid0(VALU_DEP_2) | instskip(SKIP_1) | instid1(VALU_DEP_2)
	v_add_nc_u32_e32 v2, 0x38000000, v2
	v_cmp_eq_u32_e32 vcc_lo, 0x7c, v19
	v_cndmask_b32_e32 v19, v2, v20, vcc_lo
.LBB2_2311:                             ;   in Loop: Header=BB2_2121 Depth=3
	s_or_b32 exec_lo, exec_lo, s14
	s_delay_alu instid0(VALU_DEP_1) | instskip(SKIP_1) | instid1(VALU_DEP_1)
	v_dual_mul_f32 v19, v18, v19 :: v_dual_mov_b32 v61, v3
                                        ; implicit-def: $vgpr73
	s_mov_b32 s14, exec_lo
	v_and_b32_e32 v60, 0x7f800000, v19
	v_and_b32_e32 v2, 0x7fffff, v19
	v_lshrrev_b32_e32 v18, 24, v19
	s_delay_alu instid0(VALU_DEP_3)
	v_cmpx_ne_u64_e32 0x7f800000, v[60:61]
	s_xor_b32 s15, exec_lo, s14
	s_cbranch_execz .LBB2_2325
; %bb.2312:                             ;   in Loop: Header=BB2_2121 Depth=3
	v_and_b32_e32 v60, 0x7fffffff, v19
	v_mov_b32_e32 v61, v3
	v_and_b32_e32 v18, 0x80, v18
                                        ; implicit-def: $vgpr73
	s_mov_b32 s14, exec_lo
	s_delay_alu instid0(VALU_DEP_2)
	v_cmpx_gt_u64_e32 0x47600001, v[60:61]
	s_xor_b32 s42, exec_lo, s14
	s_cbranch_execz .LBB2_2322
; %bb.2313:                             ;   in Loop: Header=BB2_2121 Depth=3
	v_mov_b32_e32 v73, 0
	s_mov_b32 s43, exec_lo
	v_cmpx_ne_u32_e32 0, v19
	s_cbranch_execz .LBB2_2321
; %bb.2314:                             ;   in Loop: Header=BB2_2121 Depth=3
	v_bfe_u32 v19, v19, 23, 8
	v_or_b32_e32 v21, 0x800000, v2
	s_delay_alu instid0(VALU_DEP_2) | instskip(SKIP_1) | instid1(VALU_DEP_2)
	v_sub_nc_u32_e32 v20, 0x71, v19
	v_cmp_gt_u32_e32 vcc_lo, 0x72, v19
	v_cndmask_b32_e32 v20, 0, v20, vcc_lo
	v_cmp_eq_u32_e32 vcc_lo, 0, v19
	v_cndmask_b32_e32 v2, v21, v2, vcc_lo
	s_delay_alu instid0(VALU_DEP_3) | instskip(NEXT) | instid1(VALU_DEP_1)
	v_cndmask_b32_e64 v73, v20, 0x70, vcc_lo
	v_add_nc_u32_e32 v20, 21, v73
	s_delay_alu instid0(VALU_DEP_1) | instskip(SKIP_1) | instid1(VALU_DEP_1)
	v_lshlrev_b64_e64 v[60:61], v20, -1
	v_add_nc_u32_e32 v20, 20, v73
	v_lshlrev_b64_e64 v[62:63], v20, 1
	s_delay_alu instid0(VALU_DEP_3) | instskip(NEXT) | instid1(VALU_DEP_4)
	v_bfi_b32 v91, v61, 0, 0
	v_bfi_b32 v90, v60, 0, v2
	v_lshrrev_b64 v[60:61], v73, v[2:3]
	s_delay_alu instid0(VALU_DEP_2) | instskip(NEXT) | instid1(VALU_DEP_2)
	v_cmp_eq_u64_e64 s14, v[90:91], v[62:63]
	v_mov_b64_e32 v[62:63], v[60:61]
	s_and_saveexec_b32 s74, s14
; %bb.2315:                             ;   in Loop: Header=BB2_2121 Depth=3
	v_bfe_u32 v2, v60, 21, 1
	s_delay_alu instid0(VALU_DEP_1) | instskip(NEXT) | instid1(VALU_DEP_1)
	v_add_nc_u64_e32 v[62:63], v[60:61], v[2:3]
	v_add_nc_u64_e32 v[62:63], -1, v[62:63]
; %bb.2316:                             ;   in Loop: Header=BB2_2121 Depth=3
	s_or_b32 exec_lo, exec_lo, s74
	v_add_nc_u32_e32 v2, 0xffffff81, v19
	v_lshrrev_b32_e32 v19, 23, v60
	s_mov_b32 s14, exec_lo
	s_delay_alu instid0(VALU_DEP_2) | instskip(NEXT) | instid1(VALU_DEP_1)
	v_cndmask_b32_e64 v2, v2, 0xffffff82, vcc_lo
	v_add3_u32 v63, v73, v2, v19
	v_and_b32_e32 v2, 0x1fffff, v62
                                        ; implicit-def: $vgpr19
	s_delay_alu instid0(VALU_DEP_1) | instskip(NEXT) | instid1(VALU_DEP_1)
	v_dual_add_nc_u32 v62, 14, v63 :: v_dual_add_nc_u32 v2, v2, v60
                                        ; implicit-def: $vgpr60_vgpr61
	v_cmpx_ne_u32_e32 0, v62
	s_xor_b32 s14, exec_lo, s14
; %bb.2317:                             ;   in Loop: Header=BB2_2121 Depth=3
	s_delay_alu instid0(VALU_DEP_2) | instskip(SKIP_2) | instid1(VALU_DEP_2)
	v_cmp_lt_u64_e32 vcc_lo, 0xffffff, v[2:3]
	v_add_nc_u32_e32 v19, 15, v63
	v_cndmask_b32_e64 v20, 0, 1, vcc_lo
	v_cndmask_b32_e32 v19, v62, v19, vcc_lo
	s_delay_alu instid0(VALU_DEP_2)
	v_lshrrev_b64 v[60:61], v20, v[2:3]
; %bb.2318:                             ;   in Loop: Header=BB2_2121 Depth=3
	s_and_not1_saveexec_b32 s14, s14
; %bb.2319:                             ;   in Loop: Header=BB2_2121 Depth=3
	v_mov_b64_e32 v[60:61], v[2:3]
	v_bfe_u32 v19, v2, 23, 1
; %bb.2320:                             ;   in Loop: Header=BB2_2121 Depth=3
	s_or_b32 exec_lo, exec_lo, s14
	s_delay_alu instid0(VALU_DEP_2) | instskip(NEXT) | instid1(VALU_DEP_2)
	v_lshrrev_b64 v[60:61], 21, v[60:61]
	v_cmp_gt_i32_e32 vcc_lo, 32, v19
	v_min_i32_e32 v2, 31, v19
	v_cmp_eq_u32_e64 s14, 0, v19
	s_delay_alu instid0(VALU_DEP_2) | instskip(SKIP_1) | instid1(VALU_DEP_2)
	v_dual_cndmask_b32 v61, 0, v61 :: v_dual_lshlrev_b32 v2, 2, v2
	v_cndmask_b32_e32 v60, 3, v60, vcc_lo
	v_and_b32_e32 v2, 0xfc, v2
	s_delay_alu instid0(VALU_DEP_2) | instskip(NEXT) | instid1(VALU_DEP_2)
	v_cmp_eq_u64_e32 vcc_lo, 0, v[60:61]
	v_and_or_b32 v2, v60, 3, v2
	s_and_b32 s14, s14, vcc_lo
	s_delay_alu instid0(VALU_DEP_1) | instid1(SALU_CYCLE_1)
	v_cndmask_b32_e64 v2, v2, 0, s14
	s_delay_alu instid0(VALU_DEP_1)
	v_or_b32_e32 v73, v2, v18
.LBB2_2321:                             ;   in Loop: Header=BB2_2121 Depth=3
	s_or_b32 exec_lo, exec_lo, s43
                                        ; implicit-def: $vgpr18
.LBB2_2322:                             ;   in Loop: Header=BB2_2121 Depth=3
	s_and_not1_saveexec_b32 s14, s42
; %bb.2323:                             ;   in Loop: Header=BB2_2121 Depth=3
	v_or_b32_e32 v73, 0x7b, v18
; %bb.2324:                             ;   in Loop: Header=BB2_2121 Depth=3
	s_or_b32 exec_lo, exec_lo, s14
                                        ; implicit-def: $vgpr19
                                        ; implicit-def: $vgpr18
.LBB2_2325:                             ;   in Loop: Header=BB2_2121 Depth=3
	s_and_not1_saveexec_b32 s14, s15
	s_cbranch_execz .LBB2_2331
; %bb.2326:                             ;   in Loop: Header=BB2_2121 Depth=3
	s_mov_b32 s15, exec_lo
                                        ; implicit-def: $vgpr73
	v_cmpx_ne_u64_e32 0, v[2:3]
	s_xor_b32 s15, exec_lo, s15
; %bb.2327:                             ;   in Loop: Header=BB2_2121 Depth=3
	v_or_b32_e32 v73, 0x7f, v18
                                        ; implicit-def: $vgpr19
; %bb.2328:                             ;   in Loop: Header=BB2_2121 Depth=3
	s_and_not1_saveexec_b32 s15, s15
; %bb.2329:                             ;   in Loop: Header=BB2_2121 Depth=3
	v_cmp_lt_i32_e32 vcc_lo, -1, v19
	v_cndmask_b32_e32 v73, 0xfc, v110, vcc_lo
; %bb.2330:                             ;   in Loop: Header=BB2_2121 Depth=3
	s_or_b32 exec_lo, exec_lo, s15
.LBB2_2331:                             ;   in Loop: Header=BB2_2121 Depth=3
	s_delay_alu instid0(SALU_CYCLE_1) | instskip(SKIP_2) | instid1(VALU_DEP_1)
	s_or_b32 exec_lo, exec_lo, s14
	v_dual_lshrrev_b32 v2, 16, v13 :: v_dual_mov_b32 v18, 0
	s_mov_b32 s14, exec_lo
	v_and_b32_e32 v19, 0xff, v2
	s_delay_alu instid0(VALU_DEP_1)
	v_cmpx_ne_u16_e32 0, v19
	s_cbranch_execz .LBB2_2341
; %bb.2332:                             ;   in Loop: Header=BB2_2121 Depth=3
	v_bfrev_b32_e32 v18, 1
	s_mov_b32 s15, exec_lo
	v_cmpx_ne_u16_e32 0x80, v19
	s_cbranch_execz .LBB2_2340
; %bb.2333:                             ;   in Loop: Header=BB2_2121 Depth=3
	v_and_b32_e32 v18, 0x7c0000, v13
	v_bfe_u32 v19, v13, 16, 2
	s_delay_alu instid0(VALU_DEP_2) | instskip(SKIP_1) | instid1(SALU_CYCLE_1)
	v_cmp_ne_u32_e32 vcc_lo, 0x7c0000, v18
                                        ; implicit-def: $vgpr18
	s_and_saveexec_b32 s42, vcc_lo
	s_xor_b32 s42, exec_lo, s42
	s_cbranch_execz .LBB2_2337
; %bb.2334:                             ;   in Loop: Header=BB2_2121 Depth=3
	v_bfe_u32 v18, v13, 18, 5
	s_mov_b32 s43, exec_lo
	s_delay_alu instid0(VALU_DEP_1)
	v_cmpx_eq_u32_e32 0, v18
; %bb.2335:                             ;   in Loop: Header=BB2_2121 Depth=3
	v_clz_i32_u32_e32 v18, v19
	s_delay_alu instid0(VALU_DEP_1) | instskip(NEXT) | instid1(VALU_DEP_1)
	v_min_u32_e32 v18, 32, v18
	v_subrev_nc_u32_e32 v19, 29, v18
	s_delay_alu instid0(VALU_DEP_1) | instskip(NEXT) | instid1(VALU_DEP_1)
	v_lshlrev_b64_e32 v[60:61], v19, v[2:3]
	v_dual_sub_nc_u32 v18, 30, v18 :: v_dual_bitop2_b32 v19, 3, v60 bitop3:0x40
; %bb.2336:                             ;   in Loop: Header=BB2_2121 Depth=3
	s_or_b32 exec_lo, exec_lo, s43
	v_lshlrev_b32_e32 v2, 24, v2
	s_delay_alu instid0(VALU_DEP_1) | instskip(NEXT) | instid1(VALU_DEP_1)
	v_and_b32_e32 v2, 0x80000000, v2
	v_lshl_add_u32 v2, v18, 23, v2
	s_delay_alu instid0(VALU_DEP_1) | instskip(NEXT) | instid1(VALU_DEP_1)
	v_lshl_or_b32 v2, v19, 21, v2
                                        ; implicit-def: $vgpr19
	v_add_nc_u32_e32 v18, 0x38000000, v2
                                        ; implicit-def: $vgpr2
.LBB2_2337:                             ;   in Loop: Header=BB2_2121 Depth=3
	s_and_not1_saveexec_b32 s42, s42
; %bb.2338:                             ;   in Loop: Header=BB2_2121 Depth=3
	v_bfe_i32 v2, v2, 0, 8
	s_delay_alu instid0(VALU_DEP_1) | instskip(SKIP_2) | instid1(VALU_DEP_2)
	v_cmp_lt_i16_e32 vcc_lo, -1, v2
	v_cndmask_b32_e32 v2, 0xff800000, v109, vcc_lo
	v_cmp_eq_u32_e32 vcc_lo, 0, v19
	v_cndmask_b32_e32 v18, 0x7f800001, v2, vcc_lo
; %bb.2339:                             ;   in Loop: Header=BB2_2121 Depth=3
	s_or_b32 exec_lo, exec_lo, s42
.LBB2_2340:                             ;   in Loop: Header=BB2_2121 Depth=3
	s_delay_alu instid0(SALU_CYCLE_1)
	s_or_b32 exec_lo, exec_lo, s15
.LBB2_2341:                             ;   in Loop: Header=BB2_2121 Depth=3
	s_delay_alu instid0(SALU_CYCLE_1) | instskip(SKIP_3) | instid1(VALU_DEP_1)
	s_or_b32 exec_lo, exec_lo, s14
	v_lshrrev_b32_e32 v2, 16, v9
	s_mov_b32 s15, 0
	s_mov_b32 s14, exec_lo
	v_and_b32_e32 v60, 0xff, v2
	s_delay_alu instid0(VALU_DEP_1)
	v_cmpx_lt_i16_e32 0x7f, v60
	s_xor_b32 s14, exec_lo, s14
	s_cbranch_execz .LBB2_2686
; %bb.2342:                             ;   in Loop: Header=BB2_2121 Depth=3
	s_mov_b32 s15, -1
	s_mov_b32 s42, exec_lo
	v_cmpx_eq_u16_e32 0x80, v60
; %bb.2343:                             ;   in Loop: Header=BB2_2121 Depth=3
	s_xor_b32 s15, exec_lo, -1
; %bb.2344:                             ;   in Loop: Header=BB2_2121 Depth=3
	s_or_b32 exec_lo, exec_lo, s42
	s_delay_alu instid0(SALU_CYCLE_1)
	s_and_b32 s15, s15, exec_lo
                                        ; implicit-def: $vgpr60
	s_or_saveexec_b32 s14, s14
	v_bfrev_b32_e32 v19, 1
	s_xor_b32 exec_lo, exec_lo, s14
	s_cbranch_execnz .LBB2_2687
.LBB2_2345:                             ;   in Loop: Header=BB2_2121 Depth=3
	s_or_b32 exec_lo, exec_lo, s14
	s_and_saveexec_b32 s14, s15
	s_cbranch_execz .LBB2_2347
.LBB2_2346:                             ;   in Loop: Header=BB2_2121 Depth=3
	v_and_b32_e32 v19, 3, v2
	s_delay_alu instid0(VALU_DEP_1) | instskip(NEXT) | instid1(VALU_DEP_1)
	v_clz_i32_u32_e32 v20, v19
	v_min_u32_e32 v20, 32, v20
	s_delay_alu instid0(VALU_DEP_1) | instskip(SKIP_1) | instid1(VALU_DEP_2)
	v_subrev_nc_u32_e32 v21, 29, v20
	v_sub_nc_u32_e32 v20, 30, v20
	v_lshlrev_b64_e32 v[60:61], v21, v[2:3]
	v_bfe_u32 v61, v9, 18, 5
	v_lshlrev_b32_e32 v21, 24, v2
	v_bfe_i32 v2, v2, 0, 8
	s_delay_alu instid0(VALU_DEP_3) | instskip(NEXT) | instid1(VALU_DEP_3)
	v_cmp_eq_u32_e32 vcc_lo, 0, v61
	v_and_b32_e32 v21, 0x80000000, v21
	v_and_b32_e32 v60, 3, v60
	v_cndmask_b32_e32 v20, v61, v20, vcc_lo
	s_delay_alu instid0(VALU_DEP_2) | instskip(SKIP_1) | instid1(VALU_DEP_3)
	v_cndmask_b32_e32 v60, v19, v60, vcc_lo
	v_cmp_lt_i16_e32 vcc_lo, -1, v2
	v_lshl_add_u32 v20, v20, 23, v21
	v_and_b32_e32 v21, 0x7c0000, v9
	v_cndmask_b32_e32 v2, 0xff800000, v109, vcc_lo
	v_cmp_eq_u32_e32 vcc_lo, 0, v19
	s_delay_alu instid0(VALU_DEP_4) | instskip(NEXT) | instid1(VALU_DEP_3)
	v_lshl_or_b32 v20, v60, 21, v20
	v_cndmask_b32_e32 v2, 0x7f800001, v2, vcc_lo
	s_delay_alu instid0(VALU_DEP_2) | instskip(SKIP_1) | instid1(VALU_DEP_2)
	v_add_nc_u32_e32 v19, 0x38000000, v20
	v_cmp_eq_u32_e32 vcc_lo, 0x7c0000, v21
	v_cndmask_b32_e32 v19, v19, v2, vcc_lo
.LBB2_2347:                             ;   in Loop: Header=BB2_2121 Depth=3
	s_or_b32 exec_lo, exec_lo, s14
	s_delay_alu instid0(VALU_DEP_1) | instskip(SKIP_1) | instid1(VALU_DEP_1)
	v_dual_mul_f32 v19, v18, v19 :: v_dual_mov_b32 v61, v3
                                        ; implicit-def: $vgpr62
	s_mov_b32 s14, exec_lo
	v_and_b32_e32 v60, 0x7f800000, v19
	v_and_b32_e32 v2, 0x7fffff, v19
	v_lshrrev_b32_e32 v18, 24, v19
	s_delay_alu instid0(VALU_DEP_3)
	v_cmpx_ne_u64_e32 0x7f800000, v[60:61]
	s_xor_b32 s15, exec_lo, s14
	s_cbranch_execz .LBB2_2361
; %bb.2348:                             ;   in Loop: Header=BB2_2121 Depth=3
	v_and_b32_e32 v60, 0x7fffffff, v19
	v_mov_b32_e32 v61, v3
	v_and_b32_e32 v18, 0x80, v18
                                        ; implicit-def: $vgpr62
	s_mov_b32 s14, exec_lo
	s_delay_alu instid0(VALU_DEP_2)
	v_cmpx_gt_u64_e32 0x47600001, v[60:61]
	s_xor_b32 s42, exec_lo, s14
	s_cbranch_execz .LBB2_2358
; %bb.2349:                             ;   in Loop: Header=BB2_2121 Depth=3
	v_mov_b32_e32 v62, 0
	s_mov_b32 s43, exec_lo
	v_cmpx_ne_u32_e32 0, v19
	s_cbranch_execz .LBB2_2357
; %bb.2350:                             ;   in Loop: Header=BB2_2121 Depth=3
	v_bfe_u32 v19, v19, 23, 8
	v_or_b32_e32 v21, 0x800000, v2
	s_delay_alu instid0(VALU_DEP_2) | instskip(SKIP_1) | instid1(VALU_DEP_2)
	v_sub_nc_u32_e32 v20, 0x71, v19
	v_cmp_gt_u32_e32 vcc_lo, 0x72, v19
	v_cndmask_b32_e32 v20, 0, v20, vcc_lo
	v_cmp_eq_u32_e32 vcc_lo, 0, v19
	v_cndmask_b32_e32 v2, v21, v2, vcc_lo
	s_delay_alu instid0(VALU_DEP_3) | instskip(NEXT) | instid1(VALU_DEP_1)
	v_cndmask_b32_e64 v89, v20, 0x70, vcc_lo
	v_add_nc_u32_e32 v20, 21, v89
	s_delay_alu instid0(VALU_DEP_1) | instskip(SKIP_1) | instid1(VALU_DEP_1)
	v_lshlrev_b64_e64 v[60:61], v20, -1
	v_add_nc_u32_e32 v20, 20, v89
	v_lshlrev_b64_e64 v[62:63], v20, 1
	s_delay_alu instid0(VALU_DEP_3) | instskip(NEXT) | instid1(VALU_DEP_4)
	v_bfi_b32 v91, v61, 0, 0
	v_bfi_b32 v90, v60, 0, v2
	v_lshrrev_b64 v[60:61], v89, v[2:3]
	s_delay_alu instid0(VALU_DEP_2) | instskip(NEXT) | instid1(VALU_DEP_2)
	v_cmp_eq_u64_e64 s14, v[90:91], v[62:63]
	v_mov_b64_e32 v[62:63], v[60:61]
	s_and_saveexec_b32 s74, s14
; %bb.2351:                             ;   in Loop: Header=BB2_2121 Depth=3
	v_bfe_u32 v2, v60, 21, 1
	s_delay_alu instid0(VALU_DEP_1) | instskip(NEXT) | instid1(VALU_DEP_1)
	v_add_nc_u64_e32 v[62:63], v[60:61], v[2:3]
	v_add_nc_u64_e32 v[62:63], -1, v[62:63]
; %bb.2352:                             ;   in Loop: Header=BB2_2121 Depth=3
	s_or_b32 exec_lo, exec_lo, s74
	v_add_nc_u32_e32 v2, 0xffffff81, v19
	v_lshrrev_b32_e32 v19, 23, v60
	s_mov_b32 s14, exec_lo
	s_delay_alu instid0(VALU_DEP_2) | instskip(NEXT) | instid1(VALU_DEP_1)
	v_cndmask_b32_e64 v2, v2, 0xffffff82, vcc_lo
	v_add3_u32 v63, v89, v2, v19
	v_and_b32_e32 v2, 0x1fffff, v62
                                        ; implicit-def: $vgpr19
	s_delay_alu instid0(VALU_DEP_1) | instskip(NEXT) | instid1(VALU_DEP_1)
	v_dual_add_nc_u32 v62, 14, v63 :: v_dual_add_nc_u32 v2, v2, v60
                                        ; implicit-def: $vgpr60_vgpr61
	v_cmpx_ne_u32_e32 0, v62
	s_xor_b32 s14, exec_lo, s14
; %bb.2353:                             ;   in Loop: Header=BB2_2121 Depth=3
	s_delay_alu instid0(VALU_DEP_2) | instskip(SKIP_2) | instid1(VALU_DEP_2)
	v_cmp_lt_u64_e32 vcc_lo, 0xffffff, v[2:3]
	v_add_nc_u32_e32 v19, 15, v63
	v_cndmask_b32_e64 v20, 0, 1, vcc_lo
	v_cndmask_b32_e32 v19, v62, v19, vcc_lo
	s_delay_alu instid0(VALU_DEP_2)
	v_lshrrev_b64 v[60:61], v20, v[2:3]
; %bb.2354:                             ;   in Loop: Header=BB2_2121 Depth=3
	s_and_not1_saveexec_b32 s14, s14
; %bb.2355:                             ;   in Loop: Header=BB2_2121 Depth=3
	v_mov_b64_e32 v[60:61], v[2:3]
	v_bfe_u32 v19, v2, 23, 1
; %bb.2356:                             ;   in Loop: Header=BB2_2121 Depth=3
	s_or_b32 exec_lo, exec_lo, s14
	s_delay_alu instid0(VALU_DEP_2) | instskip(NEXT) | instid1(VALU_DEP_2)
	v_lshrrev_b64 v[60:61], 21, v[60:61]
	v_cmp_gt_i32_e32 vcc_lo, 32, v19
	v_min_i32_e32 v2, 31, v19
	v_cmp_eq_u32_e64 s14, 0, v19
	s_delay_alu instid0(VALU_DEP_2) | instskip(SKIP_1) | instid1(VALU_DEP_2)
	v_dual_cndmask_b32 v61, 0, v61 :: v_dual_lshlrev_b32 v2, 2, v2
	v_cndmask_b32_e32 v60, 3, v60, vcc_lo
	v_and_b32_e32 v2, 0xfc, v2
	s_delay_alu instid0(VALU_DEP_2) | instskip(NEXT) | instid1(VALU_DEP_2)
	v_cmp_eq_u64_e32 vcc_lo, 0, v[60:61]
	v_and_or_b32 v2, v60, 3, v2
	s_and_b32 s14, s14, vcc_lo
	s_delay_alu instid0(VALU_DEP_1) | instid1(SALU_CYCLE_1)
	v_cndmask_b32_e64 v2, v2, 0, s14
	s_delay_alu instid0(VALU_DEP_1)
	v_or_b32_e32 v62, v2, v18
.LBB2_2357:                             ;   in Loop: Header=BB2_2121 Depth=3
	s_or_b32 exec_lo, exec_lo, s43
                                        ; implicit-def: $vgpr18
.LBB2_2358:                             ;   in Loop: Header=BB2_2121 Depth=3
	s_and_not1_saveexec_b32 s14, s42
; %bb.2359:                             ;   in Loop: Header=BB2_2121 Depth=3
	v_or_b32_e32 v62, 0x7b, v18
; %bb.2360:                             ;   in Loop: Header=BB2_2121 Depth=3
	s_or_b32 exec_lo, exec_lo, s14
                                        ; implicit-def: $vgpr19
                                        ; implicit-def: $vgpr18
.LBB2_2361:                             ;   in Loop: Header=BB2_2121 Depth=3
	s_and_not1_saveexec_b32 s14, s15
	s_cbranch_execz .LBB2_2367
; %bb.2362:                             ;   in Loop: Header=BB2_2121 Depth=3
	s_mov_b32 s15, exec_lo
                                        ; implicit-def: $vgpr62
	v_cmpx_ne_u64_e32 0, v[2:3]
	s_xor_b32 s15, exec_lo, s15
; %bb.2363:                             ;   in Loop: Header=BB2_2121 Depth=3
	v_or_b32_e32 v62, 0x7f, v18
                                        ; implicit-def: $vgpr19
; %bb.2364:                             ;   in Loop: Header=BB2_2121 Depth=3
	s_and_not1_saveexec_b32 s15, s15
; %bb.2365:                             ;   in Loop: Header=BB2_2121 Depth=3
	v_cmp_lt_i32_e32 vcc_lo, -1, v19
	v_cndmask_b32_e32 v62, 0xfc, v110, vcc_lo
; %bb.2366:                             ;   in Loop: Header=BB2_2121 Depth=3
	s_or_b32 exec_lo, exec_lo, s15
.LBB2_2367:                             ;   in Loop: Header=BB2_2121 Depth=3
	s_delay_alu instid0(SALU_CYCLE_1)
	s_or_b32 exec_lo, exec_lo, s14
	v_mov_b32_e32 v18, 0
	s_mov_b32 s14, exec_lo
	v_cmpx_lt_u64_e64 s[22:23], v[12:13]
	s_cbranch_execz .LBB2_2377
; %bb.2368:                             ;   in Loop: Header=BB2_2121 Depth=3
	v_lshrrev_b32_e32 v2, 24, v13
	v_bfrev_b32_e32 v18, 1
	s_mov_b32 s15, exec_lo
	s_delay_alu instid0(VALU_DEP_2)
	v_cmpx_ne_u32_e32 0x80, v2
	s_cbranch_execz .LBB2_2376
; %bb.2369:                             ;   in Loop: Header=BB2_2121 Depth=3
	v_and_b32_e32 v18, 0x7c000000, v13
	v_bfe_u32 v19, v13, 24, 2
	s_delay_alu instid0(VALU_DEP_2) | instskip(SKIP_1) | instid1(SALU_CYCLE_1)
	v_cmp_ne_u32_e32 vcc_lo, 0x7c000000, v18
                                        ; implicit-def: $vgpr18
	s_and_saveexec_b32 s42, vcc_lo
	s_xor_b32 s42, exec_lo, s42
	s_cbranch_execz .LBB2_2373
; %bb.2370:                             ;   in Loop: Header=BB2_2121 Depth=3
	v_bfe_u32 v18, v13, 26, 5
	s_mov_b32 s43, exec_lo
	s_delay_alu instid0(VALU_DEP_1)
	v_cmpx_eq_u32_e32 0, v18
; %bb.2371:                             ;   in Loop: Header=BB2_2121 Depth=3
	v_clz_i32_u32_e32 v18, v19
	s_delay_alu instid0(VALU_DEP_1) | instskip(NEXT) | instid1(VALU_DEP_1)
	v_min_u32_e32 v18, 32, v18
	v_subrev_nc_u32_e32 v19, 29, v18
	s_delay_alu instid0(VALU_DEP_1) | instskip(NEXT) | instid1(VALU_DEP_1)
	v_lshlrev_b64_e32 v[60:61], v19, v[2:3]
	v_dual_sub_nc_u32 v18, 30, v18 :: v_dual_bitop2_b32 v19, 3, v60 bitop3:0x40
; %bb.2372:                             ;   in Loop: Header=BB2_2121 Depth=3
	s_or_b32 exec_lo, exec_lo, s43
	v_and_b32_e32 v2, 0x80000000, v13
	s_delay_alu instid0(VALU_DEP_1) | instskip(NEXT) | instid1(VALU_DEP_1)
	v_lshl_add_u32 v2, v18, 23, v2
	v_lshl_or_b32 v2, v19, 21, v2
                                        ; implicit-def: $vgpr19
	s_delay_alu instid0(VALU_DEP_1)
	v_add_nc_u32_e32 v18, 0x38000000, v2
.LBB2_2373:                             ;   in Loop: Header=BB2_2121 Depth=3
	s_and_not1_saveexec_b32 s42, s42
; %bb.2374:                             ;   in Loop: Header=BB2_2121 Depth=3
	v_cmp_lt_i64_e32 vcc_lo, -1, v[12:13]
	v_cndmask_b32_e32 v2, 0xff800000, v109, vcc_lo
	v_cmp_eq_u32_e32 vcc_lo, 0, v19
	s_delay_alu instid0(VALU_DEP_2)
	v_cndmask_b32_e32 v18, 0x7f800001, v2, vcc_lo
; %bb.2375:                             ;   in Loop: Header=BB2_2121 Depth=3
	s_or_b32 exec_lo, exec_lo, s42
.LBB2_2376:                             ;   in Loop: Header=BB2_2121 Depth=3
	s_delay_alu instid0(SALU_CYCLE_1)
	s_or_b32 exec_lo, exec_lo, s15
.LBB2_2377:                             ;   in Loop: Header=BB2_2121 Depth=3
	s_delay_alu instid0(SALU_CYCLE_1) | instskip(SKIP_3) | instid1(VALU_DEP_2)
	s_or_b32 exec_lo, exec_lo, s14
	v_bfe_u32 v19, v9, 24, 2
	v_bfe_u32 v21, v9, 26, 5
	s_mov_b32 s14, exec_lo
	v_clz_i32_u32_e32 v2, v19
	s_delay_alu instid0(VALU_DEP_2) | instskip(NEXT) | instid1(VALU_DEP_2)
	v_cmp_eq_u32_e32 vcc_lo, 0, v21
	v_min_u32_e32 v20, 32, v2
	v_lshrrev_b32_e32 v2, 24, v9
	s_delay_alu instid0(VALU_DEP_2) | instskip(NEXT) | instid1(VALU_DEP_1)
	v_subrev_nc_u32_e32 v12, 29, v20
	v_lshlrev_b64_e32 v[12:13], v12, v[2:3]
	v_sub_nc_u32_e32 v13, 30, v20
	v_and_b32_e32 v20, 0x80000000, v9
	s_delay_alu instid0(VALU_DEP_2) | instskip(NEXT) | instid1(VALU_DEP_1)
	v_dual_cndmask_b32 v13, v21, v13, vcc_lo :: v_dual_bitop2_b32 v12, 3, v12 bitop3:0x40
	v_lshl_add_u32 v13, v13, 23, v20
	s_delay_alu instid0(VALU_DEP_2) | instskip(SKIP_1) | instid1(VALU_DEP_2)
	v_cndmask_b32_e32 v12, v19, v12, vcc_lo
	v_cmp_lt_i64_e32 vcc_lo, -1, v[8:9]
	v_lshl_or_b32 v12, v12, 21, v13
	v_and_b32_e32 v13, 0x7c000000, v9
	v_cndmask_b32_e32 v20, 0xff800000, v109, vcc_lo
	v_cmp_eq_u32_e32 vcc_lo, 0, v19
	s_delay_alu instid0(VALU_DEP_4) | instskip(NEXT) | instid1(VALU_DEP_3)
	v_add_nc_u32_e32 v12, 0x38000000, v12
	v_cndmask_b32_e32 v19, 0x7f800001, v20, vcc_lo
	v_cmp_eq_u32_e32 vcc_lo, 0x7c000000, v13
	s_delay_alu instid0(VALU_DEP_2) | instskip(SKIP_1) | instid1(VALU_DEP_2)
	v_dual_mov_b32 v13, v3 :: v_dual_cndmask_b32 v12, v12, v19
	v_cmp_ne_u32_e32 vcc_lo, 0x80, v2
	v_cndmask_b32_e32 v2, 0x80000000, v12, vcc_lo
	v_cmp_lt_u64_e32 vcc_lo, s[22:23], v[8:9]
	s_delay_alu instid0(VALU_DEP_2) | instskip(NEXT) | instid1(VALU_DEP_1)
	v_cndmask_b32_e32 v2, 0, v2, vcc_lo
	v_mul_f32_e32 v8, v2, v18
                                        ; implicit-def: $vgpr18
	s_delay_alu instid0(VALU_DEP_1) | instskip(SKIP_2) | instid1(VALU_DEP_3)
	v_and_b32_e32 v12, 0x7f800000, v8
	v_and_b32_e32 v2, 0x7fffff, v8
	v_lshrrev_b32_e32 v9, 24, v8
	v_cmpx_ne_u64_e32 0x7f800000, v[12:13]
	s_xor_b32 s15, exec_lo, s14
	s_cbranch_execz .LBB2_2391
; %bb.2378:                             ;   in Loop: Header=BB2_2121 Depth=3
	v_and_b32_e32 v12, 0x7fffffff, v8
	v_mov_b32_e32 v13, v3
	v_and_b32_e32 v19, 0x80, v9
                                        ; implicit-def: $vgpr18
	s_mov_b32 s14, exec_lo
	s_delay_alu instid0(VALU_DEP_2)
	v_cmpx_gt_u64_e32 0x47600001, v[12:13]
	s_xor_b32 s42, exec_lo, s14
	s_cbranch_execz .LBB2_2388
; %bb.2379:                             ;   in Loop: Header=BB2_2121 Depth=3
	v_mov_b32_e32 v18, 0
	s_mov_b32 s43, exec_lo
	v_cmpx_ne_u32_e32 0, v8
	s_cbranch_execz .LBB2_2387
; %bb.2380:                             ;   in Loop: Header=BB2_2121 Depth=3
	v_bfe_u32 v18, v8, 23, 8
	v_or_b32_e32 v12, 0x800000, v2
	s_delay_alu instid0(VALU_DEP_2) | instskip(SKIP_1) | instid1(VALU_DEP_2)
	v_sub_nc_u32_e32 v8, 0x71, v18
	v_cmp_gt_u32_e32 vcc_lo, 0x72, v18
	v_cndmask_b32_e32 v8, 0, v8, vcc_lo
	v_cmp_eq_u32_e32 vcc_lo, 0, v18
	v_cndmask_b32_e32 v2, v12, v2, vcc_lo
	s_delay_alu instid0(VALU_DEP_3) | instskip(NEXT) | instid1(VALU_DEP_1)
	v_cndmask_b32_e64 v60, v8, 0x70, vcc_lo
	v_dual_add_nc_u32 v8, 21, v60 :: v_dual_add_nc_u32 v13, 20, v60
	s_delay_alu instid0(VALU_DEP_1) | instskip(NEXT) | instid1(VALU_DEP_2)
	v_lshlrev_b64_e64 v[8:9], v8, -1
	v_lshlrev_b64_e64 v[12:13], v13, 1
	s_delay_alu instid0(VALU_DEP_2) | instskip(NEXT) | instid1(VALU_DEP_3)
	v_bfi_b32 v91, v9, 0, 0
	v_bfi_b32 v90, v8, 0, v2
	v_lshrrev_b64 v[8:9], v60, v[2:3]
	s_delay_alu instid0(VALU_DEP_2) | instskip(NEXT) | instid1(VALU_DEP_2)
	v_cmp_eq_u64_e64 s14, v[90:91], v[12:13]
	v_mov_b64_e32 v[12:13], v[8:9]
	s_and_saveexec_b32 s74, s14
; %bb.2381:                             ;   in Loop: Header=BB2_2121 Depth=3
	v_bfe_u32 v2, v8, 21, 1
	s_delay_alu instid0(VALU_DEP_1) | instskip(NEXT) | instid1(VALU_DEP_1)
	v_add_nc_u64_e32 v[12:13], v[8:9], v[2:3]
	v_add_nc_u64_e32 v[12:13], -1, v[12:13]
; %bb.2382:                             ;   in Loop: Header=BB2_2121 Depth=3
	s_or_b32 exec_lo, exec_lo, s74
	v_add_nc_u32_e32 v2, 0xffffff81, v18
	v_lshrrev_b32_e32 v9, 23, v8
	s_mov_b32 s14, exec_lo
	s_delay_alu instid0(VALU_DEP_2) | instskip(NEXT) | instid1(VALU_DEP_1)
	v_cndmask_b32_e64 v2, v2, 0xffffff82, vcc_lo
	v_add3_u32 v13, v60, v2, v9
	v_and_b32_e32 v2, 0x1fffff, v12
                                        ; implicit-def: $vgpr12
	s_delay_alu instid0(VALU_DEP_1) | instskip(NEXT) | instid1(VALU_DEP_1)
	v_dual_add_nc_u32 v18, 14, v13 :: v_dual_add_nc_u32 v2, v2, v8
                                        ; implicit-def: $vgpr8_vgpr9
	v_cmpx_ne_u32_e32 0, v18
	s_xor_b32 s14, exec_lo, s14
; %bb.2383:                             ;   in Loop: Header=BB2_2121 Depth=3
	s_delay_alu instid0(VALU_DEP_2) | instskip(SKIP_1) | instid1(VALU_DEP_1)
	v_cmp_lt_u64_e32 vcc_lo, 0xffffff, v[2:3]
	v_add_nc_u32_e32 v8, 15, v13
	v_cndmask_b32_e32 v12, v18, v8, vcc_lo
	v_cndmask_b32_e64 v8, 0, 1, vcc_lo
	s_delay_alu instid0(VALU_DEP_1)
	v_lshrrev_b64 v[8:9], v8, v[2:3]
; %bb.2384:                             ;   in Loop: Header=BB2_2121 Depth=3
	s_and_not1_saveexec_b32 s14, s14
; %bb.2385:                             ;   in Loop: Header=BB2_2121 Depth=3
	v_mov_b64_e32 v[8:9], v[2:3]
	v_bfe_u32 v12, v2, 23, 1
; %bb.2386:                             ;   in Loop: Header=BB2_2121 Depth=3
	s_or_b32 exec_lo, exec_lo, s14
	s_delay_alu instid0(VALU_DEP_2) | instskip(NEXT) | instid1(VALU_DEP_2)
	v_lshrrev_b64 v[8:9], 21, v[8:9]
	v_cmp_gt_i32_e32 vcc_lo, 32, v12
	v_min_i32_e32 v2, 31, v12
	v_cmp_eq_u32_e64 s14, 0, v12
	s_delay_alu instid0(VALU_DEP_2) | instskip(SKIP_1) | instid1(VALU_DEP_2)
	v_dual_cndmask_b32 v9, 0, v9 :: v_dual_lshlrev_b32 v2, 2, v2
	v_cndmask_b32_e32 v8, 3, v8, vcc_lo
	v_and_b32_e32 v2, 0xfc, v2
	s_delay_alu instid0(VALU_DEP_2) | instskip(NEXT) | instid1(VALU_DEP_2)
	v_cmp_eq_u64_e32 vcc_lo, 0, v[8:9]
	v_and_or_b32 v2, v8, 3, v2
	s_and_b32 s14, s14, vcc_lo
	s_delay_alu instid0(VALU_DEP_1) | instid1(SALU_CYCLE_1)
	v_cndmask_b32_e64 v2, v2, 0, s14
	s_delay_alu instid0(VALU_DEP_1)
	v_or_b32_e32 v18, v2, v19
.LBB2_2387:                             ;   in Loop: Header=BB2_2121 Depth=3
	s_or_b32 exec_lo, exec_lo, s43
                                        ; implicit-def: $vgpr19
.LBB2_2388:                             ;   in Loop: Header=BB2_2121 Depth=3
	s_and_not1_saveexec_b32 s14, s42
; %bb.2389:                             ;   in Loop: Header=BB2_2121 Depth=3
	v_or_b32_e32 v18, 0x7b, v19
; %bb.2390:                             ;   in Loop: Header=BB2_2121 Depth=3
	s_or_b32 exec_lo, exec_lo, s14
                                        ; implicit-def: $vgpr8
                                        ; implicit-def: $vgpr9
.LBB2_2391:                             ;   in Loop: Header=BB2_2121 Depth=3
	s_and_not1_saveexec_b32 s14, s15
	s_cbranch_execz .LBB2_2397
; %bb.2392:                             ;   in Loop: Header=BB2_2121 Depth=3
	s_mov_b32 s15, exec_lo
                                        ; implicit-def: $vgpr18
	v_cmpx_ne_u64_e32 0, v[2:3]
	s_xor_b32 s15, exec_lo, s15
; %bb.2393:                             ;   in Loop: Header=BB2_2121 Depth=3
	v_or_b32_e32 v18, 0x7f, v9
                                        ; implicit-def: $vgpr8
; %bb.2394:                             ;   in Loop: Header=BB2_2121 Depth=3
	s_and_not1_saveexec_b32 s15, s15
; %bb.2395:                             ;   in Loop: Header=BB2_2121 Depth=3
	v_cmp_lt_i32_e32 vcc_lo, -1, v8
	v_cndmask_b32_e32 v18, 0xfc, v110, vcc_lo
; %bb.2396:                             ;   in Loop: Header=BB2_2121 Depth=3
	s_or_b32 exec_lo, exec_lo, s15
.LBB2_2397:                             ;   in Loop: Header=BB2_2121 Depth=3
	s_delay_alu instid0(SALU_CYCLE_1) | instskip(SKIP_1) | instid1(VALU_DEP_1)
	s_or_b32 exec_lo, exec_lo, s14
	v_and_b32_e32 v2, 0xff, v14
	v_cmp_ne_u16_e32 vcc_lo, 0, v2
	v_mov_b32_e32 v2, 0
	s_and_saveexec_b32 s14, vcc_lo
	s_cbranch_execz .LBB2_2407
; %bb.2398:                             ;   in Loop: Header=BB2_2121 Depth=3
	v_bfe_i32 v9, v14, 0, 8
	v_bfrev_b32_e32 v2, 1
	s_mov_b32 s15, exec_lo
	s_delay_alu instid0(VALU_DEP_2)
	v_cmpx_ne_u16_e32 0xff80, v9
	s_cbranch_execz .LBB2_2406
; %bb.2399:                             ;   in Loop: Header=BB2_2121 Depth=3
	v_and_b32_e32 v2, 0x7c, v14
	v_and_b32_e32 v8, 3, v14
	s_delay_alu instid0(VALU_DEP_2) | instskip(SKIP_1) | instid1(SALU_CYCLE_1)
	v_cmp_ne_u32_e32 vcc_lo, 0x7c, v2
                                        ; implicit-def: $vgpr2
	s_and_saveexec_b32 s42, vcc_lo
	s_xor_b32 s42, exec_lo, s42
	s_cbranch_execz .LBB2_2403
; %bb.2400:                             ;   in Loop: Header=BB2_2121 Depth=3
	v_bfe_u32 v2, v14, 2, 5
	s_mov_b32 s43, exec_lo
	s_delay_alu instid0(VALU_DEP_1)
	v_cmpx_eq_u32_e32 0, v2
; %bb.2401:                             ;   in Loop: Header=BB2_2121 Depth=3
	v_clz_i32_u32_e32 v2, v8
	s_delay_alu instid0(VALU_DEP_1) | instskip(NEXT) | instid1(VALU_DEP_1)
	v_min_u32_e32 v2, 32, v2
	v_subrev_nc_u32_e32 v8, 29, v2
	s_delay_alu instid0(VALU_DEP_1) | instskip(NEXT) | instid1(VALU_DEP_1)
	v_lshlrev_b64_e32 v[8:9], v8, v[14:15]
	v_dual_sub_nc_u32 v2, 30, v2 :: v_dual_bitop2_b32 v8, 3, v8 bitop3:0x40
; %bb.2402:                             ;   in Loop: Header=BB2_2121 Depth=3
	s_or_b32 exec_lo, exec_lo, s43
	v_lshlrev_b32_e32 v9, 24, v14
	s_delay_alu instid0(VALU_DEP_1) | instskip(NEXT) | instid1(VALU_DEP_1)
	v_and_b32_e32 v9, 0x80000000, v9
	v_lshl_add_u32 v2, v2, 23, v9
                                        ; implicit-def: $vgpr9
	s_delay_alu instid0(VALU_DEP_1) | instskip(NEXT) | instid1(VALU_DEP_1)
	v_lshl_or_b32 v2, v8, 21, v2
                                        ; implicit-def: $vgpr8
	v_add_nc_u32_e32 v2, 0x38000000, v2
.LBB2_2403:                             ;   in Loop: Header=BB2_2121 Depth=3
	s_and_not1_saveexec_b32 s42, s42
; %bb.2404:                             ;   in Loop: Header=BB2_2121 Depth=3
	v_cmp_lt_i16_e32 vcc_lo, -1, v9
	v_cndmask_b32_e32 v2, 0xff800000, v109, vcc_lo
	v_cmp_eq_u32_e32 vcc_lo, 0, v8
	s_delay_alu instid0(VALU_DEP_2)
	v_cndmask_b32_e32 v2, 0x7f800001, v2, vcc_lo
; %bb.2405:                             ;   in Loop: Header=BB2_2121 Depth=3
	s_or_b32 exec_lo, exec_lo, s42
.LBB2_2406:                             ;   in Loop: Header=BB2_2121 Depth=3
	s_delay_alu instid0(SALU_CYCLE_1)
	s_or_b32 exec_lo, exec_lo, s15
.LBB2_2407:                             ;   in Loop: Header=BB2_2121 Depth=3
	s_delay_alu instid0(SALU_CYCLE_1) | instskip(SKIP_3) | instid1(VALU_DEP_1)
	s_or_b32 exec_lo, exec_lo, s14
	v_and_b32_e32 v9, 0xff, v10
	s_mov_b32 s15, 0
	s_mov_b32 s14, exec_lo
	v_cmpx_lt_i16_e32 0x7f, v9
	s_xor_b32 s14, exec_lo, s14
	s_cbranch_execz .LBB2_2688
; %bb.2408:                             ;   in Loop: Header=BB2_2121 Depth=3
	s_mov_b32 s15, -1
	s_mov_b32 s42, exec_lo
	v_cmpx_eq_u16_e32 0x80, v9
; %bb.2409:                             ;   in Loop: Header=BB2_2121 Depth=3
	s_xor_b32 s15, exec_lo, -1
; %bb.2410:                             ;   in Loop: Header=BB2_2121 Depth=3
	s_or_b32 exec_lo, exec_lo, s42
	s_delay_alu instid0(SALU_CYCLE_1)
	s_and_b32 s15, s15, exec_lo
                                        ; implicit-def: $vgpr9
	s_or_saveexec_b32 s14, s14
	v_bfrev_b32_e32 v8, 1
	s_xor_b32 exec_lo, exec_lo, s14
	s_cbranch_execnz .LBB2_2689
.LBB2_2411:                             ;   in Loop: Header=BB2_2121 Depth=3
	s_or_b32 exec_lo, exec_lo, s14
	s_and_saveexec_b32 s14, s15
	s_cbranch_execz .LBB2_2413
.LBB2_2412:                             ;   in Loop: Header=BB2_2121 Depth=3
	v_and_b32_e32 v12, 3, v10
	v_bfe_u32 v19, v10, 2, 5
	s_delay_alu instid0(VALU_DEP_2) | instskip(NEXT) | instid1(VALU_DEP_2)
	v_clz_i32_u32_e32 v8, v12
	v_cmp_eq_u32_e32 vcc_lo, 0, v19
	s_delay_alu instid0(VALU_DEP_2) | instskip(NEXT) | instid1(VALU_DEP_1)
	v_min_u32_e32 v13, 32, v8
	v_subrev_nc_u32_e32 v8, 29, v13
	s_delay_alu instid0(VALU_DEP_1) | instskip(SKIP_1) | instid1(VALU_DEP_1)
	v_lshlrev_b64_e32 v[8:9], v8, v[10:11]
	v_dual_lshlrev_b32 v9, 24, v10 :: v_dual_sub_nc_u32 v13, 30, v13
	v_and_b32_e32 v9, 0x80000000, v9
	s_delay_alu instid0(VALU_DEP_2) | instskip(SKIP_1) | instid1(VALU_DEP_2)
	v_dual_cndmask_b32 v13, v19, v13, vcc_lo :: v_dual_bitop2_b32 v8, 3, v8 bitop3:0x40
	v_bfe_i32 v19, v10, 0, 8
	v_cndmask_b32_e32 v8, v12, v8, vcc_lo
	s_delay_alu instid0(VALU_DEP_3) | instskip(NEXT) | instid1(VALU_DEP_3)
	v_lshl_add_u32 v9, v13, 23, v9
	v_cmp_lt_i16_e32 vcc_lo, -1, v19
	s_delay_alu instid0(VALU_DEP_2) | instskip(SKIP_3) | instid1(VALU_DEP_4)
	v_lshl_or_b32 v8, v8, 21, v9
	v_cndmask_b32_e32 v13, 0xff800000, v109, vcc_lo
	v_and_b32_e32 v9, 0x7c, v10
	v_cmp_eq_u32_e32 vcc_lo, 0, v12
	v_add_nc_u32_e32 v8, 0x38000000, v8
	s_delay_alu instid0(VALU_DEP_4) | instskip(NEXT) | instid1(VALU_DEP_4)
	v_cndmask_b32_e32 v12, 0x7f800001, v13, vcc_lo
	v_cmp_eq_u32_e32 vcc_lo, 0x7c, v9
	s_delay_alu instid0(VALU_DEP_2)
	v_cndmask_b32_e32 v8, v8, v12, vcc_lo
.LBB2_2413:                             ;   in Loop: Header=BB2_2121 Depth=3
	s_or_b32 exec_lo, exec_lo, s14
	s_delay_alu instid0(VALU_DEP_1) | instskip(SKIP_1) | instid1(VALU_DEP_1)
	v_dual_mul_f32 v8, v2, v8 :: v_dual_mov_b32 v13, v3
                                        ; implicit-def: $vgpr19
	s_mov_b32 s14, exec_lo
	v_and_b32_e32 v12, 0x7f800000, v8
	v_and_b32_e32 v2, 0x7fffff, v8
	v_lshrrev_b32_e32 v9, 24, v8
	s_delay_alu instid0(VALU_DEP_3)
	v_cmpx_ne_u64_e32 0x7f800000, v[12:13]
	s_xor_b32 s15, exec_lo, s14
	s_cbranch_execz .LBB2_2427
; %bb.2414:                             ;   in Loop: Header=BB2_2121 Depth=3
	v_and_b32_e32 v12, 0x7fffffff, v8
	v_mov_b32_e32 v13, v3
	v_and_b32_e32 v60, 0x80, v9
                                        ; implicit-def: $vgpr19
	s_mov_b32 s14, exec_lo
	s_delay_alu instid0(VALU_DEP_2)
	v_cmpx_gt_u64_e32 0x47600001, v[12:13]
	s_xor_b32 s42, exec_lo, s14
	s_cbranch_execz .LBB2_2424
; %bb.2415:                             ;   in Loop: Header=BB2_2121 Depth=3
	v_mov_b32_e32 v19, 0
	s_mov_b32 s43, exec_lo
	v_cmpx_ne_u32_e32 0, v8
	s_cbranch_execz .LBB2_2423
; %bb.2416:                             ;   in Loop: Header=BB2_2121 Depth=3
	v_bfe_u32 v19, v8, 23, 8
	v_or_b32_e32 v12, 0x800000, v2
	s_delay_alu instid0(VALU_DEP_2) | instskip(SKIP_1) | instid1(VALU_DEP_2)
	v_sub_nc_u32_e32 v8, 0x71, v19
	v_cmp_gt_u32_e32 vcc_lo, 0x72, v19
	v_cndmask_b32_e32 v8, 0, v8, vcc_lo
	v_cmp_eq_u32_e32 vcc_lo, 0, v19
	s_delay_alu instid0(VALU_DEP_2) | instskip(NEXT) | instid1(VALU_DEP_1)
	v_cndmask_b32_e64 v61, v8, 0x70, vcc_lo
	v_dual_cndmask_b32 v2, v12, v2, vcc_lo :: v_dual_add_nc_u32 v8, 21, v61
	v_add_nc_u32_e32 v13, 20, v61
	s_delay_alu instid0(VALU_DEP_2) | instskip(NEXT) | instid1(VALU_DEP_2)
	v_lshlrev_b64_e64 v[8:9], v8, -1
	v_lshlrev_b64_e64 v[12:13], v13, 1
	s_delay_alu instid0(VALU_DEP_2) | instskip(NEXT) | instid1(VALU_DEP_3)
	v_bfi_b32 v91, v9, 0, 0
	v_bfi_b32 v90, v8, 0, v2
	v_lshrrev_b64 v[8:9], v61, v[2:3]
	s_delay_alu instid0(VALU_DEP_2) | instskip(NEXT) | instid1(VALU_DEP_2)
	v_cmp_eq_u64_e64 s14, v[90:91], v[12:13]
	v_mov_b64_e32 v[12:13], v[8:9]
	s_and_saveexec_b32 s74, s14
; %bb.2417:                             ;   in Loop: Header=BB2_2121 Depth=3
	v_bfe_u32 v2, v8, 21, 1
	s_delay_alu instid0(VALU_DEP_1) | instskip(NEXT) | instid1(VALU_DEP_1)
	v_add_nc_u64_e32 v[12:13], v[8:9], v[2:3]
	v_add_nc_u64_e32 v[12:13], -1, v[12:13]
; %bb.2418:                             ;   in Loop: Header=BB2_2121 Depth=3
	s_or_b32 exec_lo, exec_lo, s74
	v_add_nc_u32_e32 v2, 0xffffff81, v19
	v_lshrrev_b32_e32 v9, 23, v8
	s_mov_b32 s14, exec_lo
	s_delay_alu instid0(VALU_DEP_2) | instskip(NEXT) | instid1(VALU_DEP_1)
	v_cndmask_b32_e64 v2, v2, 0xffffff82, vcc_lo
	v_add3_u32 v13, v61, v2, v9
	v_and_b32_e32 v2, 0x1fffff, v12
                                        ; implicit-def: $vgpr12
	s_delay_alu instid0(VALU_DEP_1) | instskip(NEXT) | instid1(VALU_DEP_1)
	v_dual_add_nc_u32 v19, 14, v13 :: v_dual_add_nc_u32 v2, v2, v8
                                        ; implicit-def: $vgpr8_vgpr9
	v_cmpx_ne_u32_e32 0, v19
	s_xor_b32 s14, exec_lo, s14
; %bb.2419:                             ;   in Loop: Header=BB2_2121 Depth=3
	s_delay_alu instid0(VALU_DEP_2) | instskip(SKIP_1) | instid1(VALU_DEP_1)
	v_cmp_lt_u64_e32 vcc_lo, 0xffffff, v[2:3]
	v_add_nc_u32_e32 v8, 15, v13
	v_cndmask_b32_e32 v12, v19, v8, vcc_lo
	v_cndmask_b32_e64 v8, 0, 1, vcc_lo
	s_delay_alu instid0(VALU_DEP_1)
	v_lshrrev_b64 v[8:9], v8, v[2:3]
; %bb.2420:                             ;   in Loop: Header=BB2_2121 Depth=3
	s_and_not1_saveexec_b32 s14, s14
; %bb.2421:                             ;   in Loop: Header=BB2_2121 Depth=3
	v_mov_b64_e32 v[8:9], v[2:3]
	v_bfe_u32 v12, v2, 23, 1
; %bb.2422:                             ;   in Loop: Header=BB2_2121 Depth=3
	s_or_b32 exec_lo, exec_lo, s14
	s_delay_alu instid0(VALU_DEP_2) | instskip(NEXT) | instid1(VALU_DEP_2)
	v_lshrrev_b64 v[8:9], 21, v[8:9]
	v_cmp_gt_i32_e32 vcc_lo, 32, v12
	v_min_i32_e32 v2, 31, v12
	v_cmp_eq_u32_e64 s14, 0, v12
	s_delay_alu instid0(VALU_DEP_2) | instskip(SKIP_1) | instid1(VALU_DEP_2)
	v_dual_cndmask_b32 v9, 0, v9 :: v_dual_lshlrev_b32 v2, 2, v2
	v_cndmask_b32_e32 v8, 3, v8, vcc_lo
	v_and_b32_e32 v2, 0xfc, v2
	s_delay_alu instid0(VALU_DEP_2) | instskip(NEXT) | instid1(VALU_DEP_2)
	v_cmp_eq_u64_e32 vcc_lo, 0, v[8:9]
	v_and_or_b32 v2, v8, 3, v2
	s_and_b32 s14, s14, vcc_lo
	s_delay_alu instid0(VALU_DEP_1) | instid1(SALU_CYCLE_1)
	v_cndmask_b32_e64 v2, v2, 0, s14
	s_delay_alu instid0(VALU_DEP_1)
	v_or_b32_e32 v19, v2, v60
.LBB2_2423:                             ;   in Loop: Header=BB2_2121 Depth=3
	s_or_b32 exec_lo, exec_lo, s43
                                        ; implicit-def: $vgpr60
.LBB2_2424:                             ;   in Loop: Header=BB2_2121 Depth=3
	s_and_not1_saveexec_b32 s14, s42
; %bb.2425:                             ;   in Loop: Header=BB2_2121 Depth=3
	v_or_b32_e32 v19, 0x7b, v60
; %bb.2426:                             ;   in Loop: Header=BB2_2121 Depth=3
	s_or_b32 exec_lo, exec_lo, s14
                                        ; implicit-def: $vgpr8
                                        ; implicit-def: $vgpr9
.LBB2_2427:                             ;   in Loop: Header=BB2_2121 Depth=3
	s_and_not1_saveexec_b32 s14, s15
	s_cbranch_execz .LBB2_2433
; %bb.2428:                             ;   in Loop: Header=BB2_2121 Depth=3
	s_mov_b32 s15, exec_lo
                                        ; implicit-def: $vgpr19
	v_cmpx_ne_u64_e32 0, v[2:3]
	s_xor_b32 s15, exec_lo, s15
; %bb.2429:                             ;   in Loop: Header=BB2_2121 Depth=3
	v_or_b32_e32 v19, 0x7f, v9
                                        ; implicit-def: $vgpr8
; %bb.2430:                             ;   in Loop: Header=BB2_2121 Depth=3
	s_and_not1_saveexec_b32 s15, s15
; %bb.2431:                             ;   in Loop: Header=BB2_2121 Depth=3
	v_cmp_lt_i32_e32 vcc_lo, -1, v8
	v_cndmask_b32_e32 v19, 0xfc, v110, vcc_lo
; %bb.2432:                             ;   in Loop: Header=BB2_2121 Depth=3
	s_or_b32 exec_lo, exec_lo, s15
.LBB2_2433:                             ;   in Loop: Header=BB2_2121 Depth=3
	s_delay_alu instid0(SALU_CYCLE_1) | instskip(SKIP_3) | instid1(VALU_DEP_2)
	s_or_b32 exec_lo, exec_lo, s14
	v_lshrrev_b16 v2, 8, v14
	v_mov_b32_e32 v8, 0
	s_mov_b32 s14, exec_lo
	v_cmpx_ne_u16_e32 0, v2
	s_cbranch_execz .LBB2_2443
; %bb.2434:                             ;   in Loop: Header=BB2_2121 Depth=3
	v_bfrev_b32_e32 v8, 1
	s_mov_b32 s15, exec_lo
	v_cmpx_ne_u16_e32 0x80, v2
	s_cbranch_execz .LBB2_2442
; %bb.2435:                             ;   in Loop: Header=BB2_2121 Depth=3
	v_and_b32_e32 v12, 0xffff, v2
	s_delay_alu instid0(VALU_DEP_1) | instskip(SKIP_1) | instid1(VALU_DEP_2)
	v_and_b32_e32 v8, 0x7c, v12
	v_and_b32_e32 v9, 3, v12
	v_cmp_ne_u32_e32 vcc_lo, 0x7c, v8
                                        ; implicit-def: $vgpr8
	s_and_saveexec_b32 s42, vcc_lo
	s_delay_alu instid0(SALU_CYCLE_1)
	s_xor_b32 s42, exec_lo, s42
	s_cbranch_execz .LBB2_2439
; %bb.2436:                             ;   in Loop: Header=BB2_2121 Depth=3
	v_bfe_u32 v8, v12, 2, 5
	s_mov_b32 s43, exec_lo
	s_delay_alu instid0(VALU_DEP_1)
	v_cmpx_eq_u32_e32 0, v8
; %bb.2437:                             ;   in Loop: Header=BB2_2121 Depth=3
	v_clz_i32_u32_e32 v8, v9
	s_delay_alu instid0(VALU_DEP_1) | instskip(NEXT) | instid1(VALU_DEP_1)
	v_min_u32_e32 v8, 32, v8
	v_subrev_nc_u32_e32 v9, 29, v8
	v_sub_nc_u32_e32 v8, 30, v8
	s_delay_alu instid0(VALU_DEP_2) | instskip(NEXT) | instid1(VALU_DEP_1)
	v_lshlrev_b64_e32 v[12:13], v9, v[2:3]
	v_and_b32_e32 v9, 3, v12
; %bb.2438:                             ;   in Loop: Header=BB2_2121 Depth=3
	s_or_b32 exec_lo, exec_lo, s43
	v_lshlrev_b32_e32 v2, 16, v14
	s_delay_alu instid0(VALU_DEP_1) | instskip(NEXT) | instid1(VALU_DEP_1)
	v_and_b32_e32 v2, 0x80000000, v2
	v_lshl_add_u32 v2, v8, 23, v2
	s_delay_alu instid0(VALU_DEP_1) | instskip(NEXT) | instid1(VALU_DEP_1)
	v_lshl_or_b32 v2, v9, 21, v2
                                        ; implicit-def: $vgpr9
	v_add_nc_u32_e32 v8, 0x38000000, v2
.LBB2_2439:                             ;   in Loop: Header=BB2_2121 Depth=3
	s_and_not1_saveexec_b32 s42, s42
; %bb.2440:                             ;   in Loop: Header=BB2_2121 Depth=3
	v_cmp_lt_i16_e32 vcc_lo, -1, v14
	v_cndmask_b32_e32 v2, 0xff800000, v109, vcc_lo
	v_cmp_eq_u32_e32 vcc_lo, 0, v9
	s_delay_alu instid0(VALU_DEP_2)
	v_cndmask_b32_e32 v8, 0x7f800001, v2, vcc_lo
; %bb.2441:                             ;   in Loop: Header=BB2_2121 Depth=3
	s_or_b32 exec_lo, exec_lo, s42
.LBB2_2442:                             ;   in Loop: Header=BB2_2121 Depth=3
	s_delay_alu instid0(SALU_CYCLE_1)
	s_or_b32 exec_lo, exec_lo, s15
.LBB2_2443:                             ;   in Loop: Header=BB2_2121 Depth=3
	s_delay_alu instid0(SALU_CYCLE_1) | instskip(SKIP_3) | instid1(VALU_DEP_1)
	s_or_b32 exec_lo, exec_lo, s14
	v_lshrrev_b16 v2, 8, v10
	s_mov_b32 s15, 0
	s_mov_b32 s14, exec_lo
	v_cmpx_lt_i16_e32 0x7f, v2
	s_xor_b32 s14, exec_lo, s14
	s_cbranch_execz .LBB2_2690
; %bb.2444:                             ;   in Loop: Header=BB2_2121 Depth=3
	s_mov_b32 s15, -1
	s_mov_b32 s42, exec_lo
	v_cmpx_eq_u16_e32 0x80, v2
; %bb.2445:                             ;   in Loop: Header=BB2_2121 Depth=3
	s_xor_b32 s15, exec_lo, -1
; %bb.2446:                             ;   in Loop: Header=BB2_2121 Depth=3
	s_or_b32 exec_lo, exec_lo, s42
	s_delay_alu instid0(SALU_CYCLE_1)
	s_and_b32 s15, s15, exec_lo
	s_or_saveexec_b32 s14, s14
	v_bfrev_b32_e32 v9, 1
	s_xor_b32 exec_lo, exec_lo, s14
	s_cbranch_execnz .LBB2_2691
.LBB2_2447:                             ;   in Loop: Header=BB2_2121 Depth=3
	s_or_b32 exec_lo, exec_lo, s14
	s_and_saveexec_b32 s14, s15
	s_cbranch_execz .LBB2_2449
.LBB2_2448:                             ;   in Loop: Header=BB2_2121 Depth=3
	v_and_b32_e32 v9, 0xffff, v2
	s_delay_alu instid0(VALU_DEP_1) | instskip(NEXT) | instid1(VALU_DEP_1)
	v_and_b32_e32 v20, 3, v9
	v_clz_i32_u32_e32 v12, v20
	s_delay_alu instid0(VALU_DEP_1) | instskip(NEXT) | instid1(VALU_DEP_1)
	v_min_u32_e32 v21, 32, v12
	v_subrev_nc_u32_e32 v12, 29, v21
	s_delay_alu instid0(VALU_DEP_1) | instskip(SKIP_3) | instid1(VALU_DEP_3)
	v_lshlrev_b64_e32 v[12:13], v12, v[2:3]
	v_bfe_u32 v13, v9, 2, 5
	v_dual_lshlrev_b32 v2, 24, v2 :: v_dual_sub_nc_u32 v21, 30, v21
	v_and_b32_e32 v9, 0x7c, v9
	v_cmp_eq_u32_e32 vcc_lo, 0, v13
	s_delay_alu instid0(VALU_DEP_3) | instskip(NEXT) | instid1(VALU_DEP_4)
	v_and_b32_e32 v2, 0x80000000, v2
	v_dual_cndmask_b32 v13, v13, v21, vcc_lo :: v_dual_bitop2_b32 v12, 3, v12 bitop3:0x40
	s_delay_alu instid0(VALU_DEP_1) | instskip(SKIP_1) | instid1(VALU_DEP_3)
	v_cndmask_b32_e32 v12, v20, v12, vcc_lo
	v_cmp_lt_i16_e32 vcc_lo, -1, v10
	v_lshl_add_u32 v2, v13, 23, v2
	v_cndmask_b32_e32 v13, 0xff800000, v109, vcc_lo
	v_cmp_eq_u32_e32 vcc_lo, 0, v20
	s_delay_alu instid0(VALU_DEP_3) | instskip(NEXT) | instid1(VALU_DEP_3)
	v_lshl_or_b32 v2, v12, 21, v2
	v_cndmask_b32_e32 v12, 0x7f800001, v13, vcc_lo
	s_delay_alu instid0(VALU_DEP_2) | instskip(SKIP_1) | instid1(VALU_DEP_2)
	v_add_nc_u32_e32 v2, 0x38000000, v2
	v_cmp_eq_u32_e32 vcc_lo, 0x7c, v9
	v_cndmask_b32_e32 v9, v2, v12, vcc_lo
.LBB2_2449:                             ;   in Loop: Header=BB2_2121 Depth=3
	s_or_b32 exec_lo, exec_lo, s14
	s_delay_alu instid0(VALU_DEP_1) | instskip(SKIP_1) | instid1(VALU_DEP_1)
	v_dual_mul_f32 v8, v8, v9 :: v_dual_mov_b32 v13, v3
                                        ; implicit-def: $vgpr63
	s_mov_b32 s14, exec_lo
	v_and_b32_e32 v12, 0x7f800000, v8
	v_and_b32_e32 v2, 0x7fffff, v8
	v_lshrrev_b32_e32 v9, 24, v8
	s_delay_alu instid0(VALU_DEP_3)
	v_cmpx_ne_u64_e32 0x7f800000, v[12:13]
	s_xor_b32 s15, exec_lo, s14
	s_cbranch_execz .LBB2_2463
; %bb.2450:                             ;   in Loop: Header=BB2_2121 Depth=3
	v_and_b32_e32 v12, 0x7fffffff, v8
	v_mov_b32_e32 v13, v3
	v_and_b32_e32 v60, 0x80, v9
                                        ; implicit-def: $vgpr63
	s_mov_b32 s14, exec_lo
	s_delay_alu instid0(VALU_DEP_2)
	v_cmpx_gt_u64_e32 0x47600001, v[12:13]
	s_xor_b32 s42, exec_lo, s14
	s_cbranch_execz .LBB2_2460
; %bb.2451:                             ;   in Loop: Header=BB2_2121 Depth=3
	v_mov_b32_e32 v63, 0
	s_mov_b32 s43, exec_lo
	v_cmpx_ne_u32_e32 0, v8
	s_cbranch_execz .LBB2_2459
; %bb.2452:                             ;   in Loop: Header=BB2_2121 Depth=3
	v_bfe_u32 v61, v8, 23, 8
	v_or_b32_e32 v12, 0x800000, v2
	s_delay_alu instid0(VALU_DEP_2) | instskip(SKIP_1) | instid1(VALU_DEP_2)
	v_sub_nc_u32_e32 v8, 0x71, v61
	v_cmp_gt_u32_e32 vcc_lo, 0x72, v61
	v_cndmask_b32_e32 v8, 0, v8, vcc_lo
	v_cmp_eq_u32_e32 vcc_lo, 0, v61
	s_delay_alu instid0(VALU_DEP_2) | instskip(NEXT) | instid1(VALU_DEP_1)
	v_cndmask_b32_e64 v63, v8, 0x70, vcc_lo
	v_dual_cndmask_b32 v2, v12, v2, vcc_lo :: v_dual_add_nc_u32 v8, 21, v63
	v_add_nc_u32_e32 v13, 20, v63
	s_delay_alu instid0(VALU_DEP_2) | instskip(NEXT) | instid1(VALU_DEP_2)
	v_lshlrev_b64_e64 v[8:9], v8, -1
	v_lshlrev_b64_e64 v[12:13], v13, 1
	s_delay_alu instid0(VALU_DEP_2) | instskip(NEXT) | instid1(VALU_DEP_3)
	v_bfi_b32 v91, v9, 0, 0
	v_bfi_b32 v90, v8, 0, v2
	v_lshrrev_b64 v[8:9], v63, v[2:3]
	s_delay_alu instid0(VALU_DEP_2) | instskip(NEXT) | instid1(VALU_DEP_2)
	v_cmp_eq_u64_e64 s14, v[90:91], v[12:13]
	v_mov_b64_e32 v[12:13], v[8:9]
	s_and_saveexec_b32 s74, s14
; %bb.2453:                             ;   in Loop: Header=BB2_2121 Depth=3
	v_bfe_u32 v2, v8, 21, 1
	s_delay_alu instid0(VALU_DEP_1) | instskip(NEXT) | instid1(VALU_DEP_1)
	v_add_nc_u64_e32 v[12:13], v[8:9], v[2:3]
	v_add_nc_u64_e32 v[12:13], -1, v[12:13]
; %bb.2454:                             ;   in Loop: Header=BB2_2121 Depth=3
	s_or_b32 exec_lo, exec_lo, s74
	v_add_nc_u32_e32 v2, 0xffffff81, v61
	v_lshrrev_b32_e32 v9, 23, v8
	s_mov_b32 s14, exec_lo
	s_delay_alu instid0(VALU_DEP_2) | instskip(NEXT) | instid1(VALU_DEP_1)
	v_cndmask_b32_e64 v2, v2, 0xffffff82, vcc_lo
	v_add3_u32 v13, v63, v2, v9
	v_and_b32_e32 v2, 0x1fffff, v12
                                        ; implicit-def: $vgpr12
	s_delay_alu instid0(VALU_DEP_1) | instskip(NEXT) | instid1(VALU_DEP_1)
	v_dual_add_nc_u32 v61, 14, v13 :: v_dual_add_nc_u32 v2, v2, v8
                                        ; implicit-def: $vgpr8_vgpr9
	v_cmpx_ne_u32_e32 0, v61
	s_xor_b32 s14, exec_lo, s14
; %bb.2455:                             ;   in Loop: Header=BB2_2121 Depth=3
	s_delay_alu instid0(VALU_DEP_2) | instskip(SKIP_1) | instid1(VALU_DEP_1)
	v_cmp_lt_u64_e32 vcc_lo, 0xffffff, v[2:3]
	v_add_nc_u32_e32 v8, 15, v13
	v_cndmask_b32_e32 v12, v61, v8, vcc_lo
	v_cndmask_b32_e64 v8, 0, 1, vcc_lo
	s_delay_alu instid0(VALU_DEP_1)
	v_lshrrev_b64 v[8:9], v8, v[2:3]
; %bb.2456:                             ;   in Loop: Header=BB2_2121 Depth=3
	s_and_not1_saveexec_b32 s14, s14
; %bb.2457:                             ;   in Loop: Header=BB2_2121 Depth=3
	v_mov_b64_e32 v[8:9], v[2:3]
	v_bfe_u32 v12, v2, 23, 1
; %bb.2458:                             ;   in Loop: Header=BB2_2121 Depth=3
	s_or_b32 exec_lo, exec_lo, s14
	s_delay_alu instid0(VALU_DEP_2) | instskip(NEXT) | instid1(VALU_DEP_2)
	v_lshrrev_b64 v[8:9], 21, v[8:9]
	v_cmp_gt_i32_e32 vcc_lo, 32, v12
	v_min_i32_e32 v2, 31, v12
	v_cmp_eq_u32_e64 s14, 0, v12
	s_delay_alu instid0(VALU_DEP_2) | instskip(SKIP_1) | instid1(VALU_DEP_2)
	v_dual_cndmask_b32 v9, 0, v9 :: v_dual_lshlrev_b32 v2, 2, v2
	v_cndmask_b32_e32 v8, 3, v8, vcc_lo
	v_and_b32_e32 v2, 0xfc, v2
	s_delay_alu instid0(VALU_DEP_2) | instskip(NEXT) | instid1(VALU_DEP_2)
	v_cmp_eq_u64_e32 vcc_lo, 0, v[8:9]
	v_and_or_b32 v2, v8, 3, v2
	s_and_b32 s14, s14, vcc_lo
	s_delay_alu instid0(VALU_DEP_1) | instid1(SALU_CYCLE_1)
	v_cndmask_b32_e64 v2, v2, 0, s14
	s_delay_alu instid0(VALU_DEP_1)
	v_or_b32_e32 v63, v2, v60
.LBB2_2459:                             ;   in Loop: Header=BB2_2121 Depth=3
	s_or_b32 exec_lo, exec_lo, s43
                                        ; implicit-def: $vgpr60
.LBB2_2460:                             ;   in Loop: Header=BB2_2121 Depth=3
	s_and_not1_saveexec_b32 s14, s42
; %bb.2461:                             ;   in Loop: Header=BB2_2121 Depth=3
	v_or_b32_e32 v63, 0x7b, v60
; %bb.2462:                             ;   in Loop: Header=BB2_2121 Depth=3
	s_or_b32 exec_lo, exec_lo, s14
                                        ; implicit-def: $vgpr8
                                        ; implicit-def: $vgpr9
.LBB2_2463:                             ;   in Loop: Header=BB2_2121 Depth=3
	s_and_not1_saveexec_b32 s14, s15
	s_cbranch_execz .LBB2_2469
; %bb.2464:                             ;   in Loop: Header=BB2_2121 Depth=3
	s_mov_b32 s15, exec_lo
                                        ; implicit-def: $vgpr63
	v_cmpx_ne_u64_e32 0, v[2:3]
	s_xor_b32 s15, exec_lo, s15
; %bb.2465:                             ;   in Loop: Header=BB2_2121 Depth=3
	v_or_b32_e32 v63, 0x7f, v9
                                        ; implicit-def: $vgpr8
; %bb.2466:                             ;   in Loop: Header=BB2_2121 Depth=3
	s_and_not1_saveexec_b32 s15, s15
; %bb.2467:                             ;   in Loop: Header=BB2_2121 Depth=3
	v_cmp_lt_i32_e32 vcc_lo, -1, v8
	v_cndmask_b32_e32 v63, 0xfc, v110, vcc_lo
; %bb.2468:                             ;   in Loop: Header=BB2_2121 Depth=3
	s_or_b32 exec_lo, exec_lo, s15
.LBB2_2469:                             ;   in Loop: Header=BB2_2121 Depth=3
	s_delay_alu instid0(SALU_CYCLE_1) | instskip(SKIP_2) | instid1(VALU_DEP_1)
	s_or_b32 exec_lo, exec_lo, s14
	v_dual_lshrrev_b32 v2, 16, v14 :: v_dual_mov_b32 v8, 0
	s_mov_b32 s14, exec_lo
	v_and_b32_e32 v9, 0xff, v2
	s_delay_alu instid0(VALU_DEP_1)
	v_cmpx_ne_u16_e32 0, v9
	s_cbranch_execz .LBB2_2479
; %bb.2470:                             ;   in Loop: Header=BB2_2121 Depth=3
	v_bfrev_b32_e32 v8, 1
	s_mov_b32 s15, exec_lo
	v_cmpx_ne_u16_e32 0x80, v9
	s_cbranch_execz .LBB2_2478
; %bb.2471:                             ;   in Loop: Header=BB2_2121 Depth=3
	v_and_b32_e32 v8, 0x7c0000, v14
	v_bfe_u32 v9, v14, 16, 2
	s_delay_alu instid0(VALU_DEP_2) | instskip(SKIP_1) | instid1(SALU_CYCLE_1)
	v_cmp_ne_u32_e32 vcc_lo, 0x7c0000, v8
                                        ; implicit-def: $vgpr8
	s_and_saveexec_b32 s42, vcc_lo
	s_xor_b32 s42, exec_lo, s42
	s_cbranch_execz .LBB2_2475
; %bb.2472:                             ;   in Loop: Header=BB2_2121 Depth=3
	v_bfe_u32 v8, v14, 18, 5
	s_mov_b32 s43, exec_lo
	s_delay_alu instid0(VALU_DEP_1)
	v_cmpx_eq_u32_e32 0, v8
; %bb.2473:                             ;   in Loop: Header=BB2_2121 Depth=3
	v_clz_i32_u32_e32 v8, v9
	s_delay_alu instid0(VALU_DEP_1) | instskip(NEXT) | instid1(VALU_DEP_1)
	v_min_u32_e32 v8, 32, v8
	v_subrev_nc_u32_e32 v9, 29, v8
	v_sub_nc_u32_e32 v8, 30, v8
	s_delay_alu instid0(VALU_DEP_2) | instskip(NEXT) | instid1(VALU_DEP_1)
	v_lshlrev_b64_e32 v[12:13], v9, v[2:3]
	v_and_b32_e32 v9, 3, v12
; %bb.2474:                             ;   in Loop: Header=BB2_2121 Depth=3
	s_or_b32 exec_lo, exec_lo, s43
	v_lshlrev_b32_e32 v2, 24, v2
	s_delay_alu instid0(VALU_DEP_1) | instskip(NEXT) | instid1(VALU_DEP_1)
	v_and_b32_e32 v2, 0x80000000, v2
	v_lshl_add_u32 v2, v8, 23, v2
	s_delay_alu instid0(VALU_DEP_1) | instskip(NEXT) | instid1(VALU_DEP_1)
	v_lshl_or_b32 v2, v9, 21, v2
                                        ; implicit-def: $vgpr9
	v_add_nc_u32_e32 v8, 0x38000000, v2
                                        ; implicit-def: $vgpr2
.LBB2_2475:                             ;   in Loop: Header=BB2_2121 Depth=3
	s_and_not1_saveexec_b32 s42, s42
; %bb.2476:                             ;   in Loop: Header=BB2_2121 Depth=3
	v_bfe_i32 v2, v2, 0, 8
	s_delay_alu instid0(VALU_DEP_1) | instskip(SKIP_2) | instid1(VALU_DEP_2)
	v_cmp_lt_i16_e32 vcc_lo, -1, v2
	v_cndmask_b32_e32 v2, 0xff800000, v109, vcc_lo
	v_cmp_eq_u32_e32 vcc_lo, 0, v9
	v_cndmask_b32_e32 v8, 0x7f800001, v2, vcc_lo
; %bb.2477:                             ;   in Loop: Header=BB2_2121 Depth=3
	s_or_b32 exec_lo, exec_lo, s42
.LBB2_2478:                             ;   in Loop: Header=BB2_2121 Depth=3
	s_delay_alu instid0(SALU_CYCLE_1)
	s_or_b32 exec_lo, exec_lo, s15
.LBB2_2479:                             ;   in Loop: Header=BB2_2121 Depth=3
	s_delay_alu instid0(SALU_CYCLE_1) | instskip(SKIP_3) | instid1(VALU_DEP_1)
	s_or_b32 exec_lo, exec_lo, s14
	v_lshrrev_b32_e32 v2, 16, v10
	s_mov_b32 s15, 0
	s_mov_b32 s14, exec_lo
	v_and_b32_e32 v12, 0xff, v2
	s_delay_alu instid0(VALU_DEP_1)
	v_cmpx_lt_i16_e32 0x7f, v12
	s_xor_b32 s14, exec_lo, s14
	s_cbranch_execz .LBB2_2692
; %bb.2480:                             ;   in Loop: Header=BB2_2121 Depth=3
	s_mov_b32 s15, -1
	s_mov_b32 s42, exec_lo
	v_cmpx_eq_u16_e32 0x80, v12
; %bb.2481:                             ;   in Loop: Header=BB2_2121 Depth=3
	s_xor_b32 s15, exec_lo, -1
; %bb.2482:                             ;   in Loop: Header=BB2_2121 Depth=3
	s_or_b32 exec_lo, exec_lo, s42
	s_delay_alu instid0(SALU_CYCLE_1)
	s_and_b32 s15, s15, exec_lo
                                        ; implicit-def: $vgpr12
	s_or_saveexec_b32 s14, s14
	v_bfrev_b32_e32 v9, 1
	s_xor_b32 exec_lo, exec_lo, s14
	s_cbranch_execnz .LBB2_2693
.LBB2_2483:                             ;   in Loop: Header=BB2_2121 Depth=3
	s_or_b32 exec_lo, exec_lo, s14
	s_and_saveexec_b32 s14, s15
	s_cbranch_execz .LBB2_2485
.LBB2_2484:                             ;   in Loop: Header=BB2_2121 Depth=3
	v_and_b32_e32 v9, 3, v2
	v_bfe_u32 v21, v10, 18, 5
	s_delay_alu instid0(VALU_DEP_2) | instskip(NEXT) | instid1(VALU_DEP_2)
	v_clz_i32_u32_e32 v12, v9
	v_cmp_eq_u32_e32 vcc_lo, 0, v21
	s_delay_alu instid0(VALU_DEP_2) | instskip(NEXT) | instid1(VALU_DEP_1)
	v_min_u32_e32 v20, 32, v12
	v_subrev_nc_u32_e32 v12, 29, v20
	v_sub_nc_u32_e32 v20, 30, v20
	s_delay_alu instid0(VALU_DEP_2) | instskip(NEXT) | instid1(VALU_DEP_2)
	v_lshlrev_b64_e32 v[12:13], v12, v[2:3]
	v_dual_cndmask_b32 v20, v21, v20 :: v_dual_lshlrev_b32 v13, 24, v2
	v_bfe_i32 v2, v2, 0, 8
	s_delay_alu instid0(VALU_DEP_2) | instskip(NEXT) | instid1(VALU_DEP_4)
	v_and_b32_e32 v13, 0x80000000, v13
	v_and_b32_e32 v12, 3, v12
	s_delay_alu instid0(VALU_DEP_2) | instskip(NEXT) | instid1(VALU_DEP_2)
	v_lshl_add_u32 v13, v20, 23, v13
	v_cndmask_b32_e32 v12, v9, v12, vcc_lo
	v_cmp_lt_i16_e32 vcc_lo, -1, v2
	s_delay_alu instid0(VALU_DEP_2) | instskip(SKIP_3) | instid1(VALU_DEP_4)
	v_lshl_or_b32 v12, v12, 21, v13
	v_cndmask_b32_e32 v2, 0xff800000, v109, vcc_lo
	v_and_b32_e32 v13, 0x7c0000, v10
	v_cmp_eq_u32_e32 vcc_lo, 0, v9
	v_add_nc_u32_e32 v9, 0x38000000, v12
	s_delay_alu instid0(VALU_DEP_4) | instskip(NEXT) | instid1(VALU_DEP_4)
	v_cndmask_b32_e32 v2, 0x7f800001, v2, vcc_lo
	v_cmp_eq_u32_e32 vcc_lo, 0x7c0000, v13
	s_delay_alu instid0(VALU_DEP_2)
	v_cndmask_b32_e32 v9, v9, v2, vcc_lo
.LBB2_2485:                             ;   in Loop: Header=BB2_2121 Depth=3
	s_or_b32 exec_lo, exec_lo, s14
	s_delay_alu instid0(VALU_DEP_1) | instskip(SKIP_1) | instid1(VALU_DEP_1)
	v_dual_mul_f32 v8, v8, v9 :: v_dual_mov_b32 v13, v3
                                        ; implicit-def: $vgpr89
	s_mov_b32 s14, exec_lo
	v_and_b32_e32 v12, 0x7f800000, v8
	v_and_b32_e32 v2, 0x7fffff, v8
	v_lshrrev_b32_e32 v9, 24, v8
	s_delay_alu instid0(VALU_DEP_3)
	v_cmpx_ne_u64_e32 0x7f800000, v[12:13]
	s_xor_b32 s15, exec_lo, s14
	s_cbranch_execz .LBB2_2499
; %bb.2486:                             ;   in Loop: Header=BB2_2121 Depth=3
	v_and_b32_e32 v12, 0x7fffffff, v8
	v_mov_b32_e32 v13, v3
	v_and_b32_e32 v60, 0x80, v9
                                        ; implicit-def: $vgpr89
	s_mov_b32 s14, exec_lo
	s_delay_alu instid0(VALU_DEP_2)
	v_cmpx_gt_u64_e32 0x47600001, v[12:13]
	s_xor_b32 s42, exec_lo, s14
	s_cbranch_execz .LBB2_2496
; %bb.2487:                             ;   in Loop: Header=BB2_2121 Depth=3
	v_mov_b32_e32 v89, 0
	s_mov_b32 s43, exec_lo
	v_cmpx_ne_u32_e32 0, v8
	s_cbranch_execz .LBB2_2495
; %bb.2488:                             ;   in Loop: Header=BB2_2121 Depth=3
	v_bfe_u32 v61, v8, 23, 8
	v_or_b32_e32 v12, 0x800000, v2
	s_delay_alu instid0(VALU_DEP_2) | instskip(SKIP_1) | instid1(VALU_DEP_2)
	v_sub_nc_u32_e32 v8, 0x71, v61
	v_cmp_gt_u32_e32 vcc_lo, 0x72, v61
	v_cndmask_b32_e32 v8, 0, v8, vcc_lo
	v_cmp_eq_u32_e32 vcc_lo, 0, v61
	s_delay_alu instid0(VALU_DEP_2) | instskip(NEXT) | instid1(VALU_DEP_1)
	v_cndmask_b32_e64 v89, v8, 0x70, vcc_lo
	v_dual_cndmask_b32 v2, v12, v2, vcc_lo :: v_dual_add_nc_u32 v8, 21, v89
	v_add_nc_u32_e32 v13, 20, v89
	s_delay_alu instid0(VALU_DEP_2) | instskip(NEXT) | instid1(VALU_DEP_2)
	v_lshlrev_b64_e64 v[8:9], v8, -1
	v_lshlrev_b64_e64 v[12:13], v13, 1
	s_delay_alu instid0(VALU_DEP_2) | instskip(NEXT) | instid1(VALU_DEP_3)
	v_bfi_b32 v91, v9, 0, 0
	v_bfi_b32 v90, v8, 0, v2
	v_lshrrev_b64 v[8:9], v89, v[2:3]
	s_delay_alu instid0(VALU_DEP_2) | instskip(NEXT) | instid1(VALU_DEP_2)
	v_cmp_eq_u64_e64 s14, v[90:91], v[12:13]
	v_mov_b64_e32 v[12:13], v[8:9]
	s_and_saveexec_b32 s74, s14
; %bb.2489:                             ;   in Loop: Header=BB2_2121 Depth=3
	v_bfe_u32 v2, v8, 21, 1
	s_delay_alu instid0(VALU_DEP_1) | instskip(NEXT) | instid1(VALU_DEP_1)
	v_add_nc_u64_e32 v[12:13], v[8:9], v[2:3]
	v_add_nc_u64_e32 v[12:13], -1, v[12:13]
; %bb.2490:                             ;   in Loop: Header=BB2_2121 Depth=3
	s_or_b32 exec_lo, exec_lo, s74
	v_add_nc_u32_e32 v2, 0xffffff81, v61
	v_lshrrev_b32_e32 v9, 23, v8
	s_mov_b32 s14, exec_lo
	s_delay_alu instid0(VALU_DEP_2) | instskip(NEXT) | instid1(VALU_DEP_1)
	v_cndmask_b32_e64 v2, v2, 0xffffff82, vcc_lo
	v_add3_u32 v13, v89, v2, v9
	v_and_b32_e32 v2, 0x1fffff, v12
                                        ; implicit-def: $vgpr12
	s_delay_alu instid0(VALU_DEP_1) | instskip(NEXT) | instid1(VALU_DEP_1)
	v_dual_add_nc_u32 v61, 14, v13 :: v_dual_add_nc_u32 v2, v2, v8
                                        ; implicit-def: $vgpr8_vgpr9
	v_cmpx_ne_u32_e32 0, v61
	s_xor_b32 s14, exec_lo, s14
; %bb.2491:                             ;   in Loop: Header=BB2_2121 Depth=3
	s_delay_alu instid0(VALU_DEP_2) | instskip(SKIP_1) | instid1(VALU_DEP_1)
	v_cmp_lt_u64_e32 vcc_lo, 0xffffff, v[2:3]
	v_add_nc_u32_e32 v8, 15, v13
	v_cndmask_b32_e32 v12, v61, v8, vcc_lo
	v_cndmask_b32_e64 v8, 0, 1, vcc_lo
	s_delay_alu instid0(VALU_DEP_1)
	v_lshrrev_b64 v[8:9], v8, v[2:3]
; %bb.2492:                             ;   in Loop: Header=BB2_2121 Depth=3
	s_and_not1_saveexec_b32 s14, s14
; %bb.2493:                             ;   in Loop: Header=BB2_2121 Depth=3
	v_mov_b64_e32 v[8:9], v[2:3]
	v_bfe_u32 v12, v2, 23, 1
; %bb.2494:                             ;   in Loop: Header=BB2_2121 Depth=3
	s_or_b32 exec_lo, exec_lo, s14
	s_delay_alu instid0(VALU_DEP_2) | instskip(NEXT) | instid1(VALU_DEP_2)
	v_lshrrev_b64 v[8:9], 21, v[8:9]
	v_cmp_gt_i32_e32 vcc_lo, 32, v12
	v_min_i32_e32 v2, 31, v12
	v_cmp_eq_u32_e64 s14, 0, v12
	s_delay_alu instid0(VALU_DEP_2) | instskip(SKIP_1) | instid1(VALU_DEP_2)
	v_dual_cndmask_b32 v9, 0, v9 :: v_dual_lshlrev_b32 v2, 2, v2
	v_cndmask_b32_e32 v8, 3, v8, vcc_lo
	v_and_b32_e32 v2, 0xfc, v2
	s_delay_alu instid0(VALU_DEP_2) | instskip(NEXT) | instid1(VALU_DEP_2)
	v_cmp_eq_u64_e32 vcc_lo, 0, v[8:9]
	v_and_or_b32 v2, v8, 3, v2
	s_and_b32 s14, s14, vcc_lo
	s_delay_alu instid0(VALU_DEP_1) | instid1(SALU_CYCLE_1)
	v_cndmask_b32_e64 v2, v2, 0, s14
	s_delay_alu instid0(VALU_DEP_1)
	v_or_b32_e32 v89, v2, v60
.LBB2_2495:                             ;   in Loop: Header=BB2_2121 Depth=3
	s_or_b32 exec_lo, exec_lo, s43
                                        ; implicit-def: $vgpr60
.LBB2_2496:                             ;   in Loop: Header=BB2_2121 Depth=3
	s_and_not1_saveexec_b32 s14, s42
; %bb.2497:                             ;   in Loop: Header=BB2_2121 Depth=3
	v_or_b32_e32 v89, 0x7b, v60
; %bb.2498:                             ;   in Loop: Header=BB2_2121 Depth=3
	s_or_b32 exec_lo, exec_lo, s14
                                        ; implicit-def: $vgpr8
                                        ; implicit-def: $vgpr9
.LBB2_2499:                             ;   in Loop: Header=BB2_2121 Depth=3
	s_and_not1_saveexec_b32 s14, s15
	s_cbranch_execz .LBB2_2505
; %bb.2500:                             ;   in Loop: Header=BB2_2121 Depth=3
	s_mov_b32 s15, exec_lo
                                        ; implicit-def: $vgpr89
	v_cmpx_ne_u64_e32 0, v[2:3]
	s_xor_b32 s15, exec_lo, s15
; %bb.2501:                             ;   in Loop: Header=BB2_2121 Depth=3
	v_or_b32_e32 v89, 0x7f, v9
                                        ; implicit-def: $vgpr8
; %bb.2502:                             ;   in Loop: Header=BB2_2121 Depth=3
	s_and_not1_saveexec_b32 s15, s15
; %bb.2503:                             ;   in Loop: Header=BB2_2121 Depth=3
	v_cmp_lt_i32_e32 vcc_lo, -1, v8
	v_cndmask_b32_e32 v89, 0xfc, v110, vcc_lo
; %bb.2504:                             ;   in Loop: Header=BB2_2121 Depth=3
	s_or_b32 exec_lo, exec_lo, s15
.LBB2_2505:                             ;   in Loop: Header=BB2_2121 Depth=3
	s_delay_alu instid0(SALU_CYCLE_1)
	s_or_b32 exec_lo, exec_lo, s14
	v_mov_b32_e32 v8, 0
	s_mov_b32 s14, exec_lo
	v_cmpx_lt_u32_e32 0xffffff, v14
	s_cbranch_execz .LBB2_2515
; %bb.2506:                             ;   in Loop: Header=BB2_2121 Depth=3
	v_lshrrev_b32_e32 v2, 24, v14
	v_bfrev_b32_e32 v8, 1
	s_mov_b32 s15, exec_lo
	s_delay_alu instid0(VALU_DEP_2)
	v_cmpx_ne_u32_e32 0x80, v2
	s_cbranch_execz .LBB2_2514
; %bb.2507:                             ;   in Loop: Header=BB2_2121 Depth=3
	v_and_b32_e32 v8, 0x7c000000, v14
	v_bfe_u32 v9, v14, 24, 2
	s_delay_alu instid0(VALU_DEP_2) | instskip(SKIP_1) | instid1(SALU_CYCLE_1)
	v_cmp_ne_u32_e32 vcc_lo, 0x7c000000, v8
                                        ; implicit-def: $vgpr8
	s_and_saveexec_b32 s42, vcc_lo
	s_xor_b32 s42, exec_lo, s42
	s_cbranch_execz .LBB2_2511
; %bb.2508:                             ;   in Loop: Header=BB2_2121 Depth=3
	v_bfe_u32 v8, v14, 26, 5
	s_mov_b32 s43, exec_lo
	s_delay_alu instid0(VALU_DEP_1)
	v_cmpx_eq_u32_e32 0, v8
; %bb.2509:                             ;   in Loop: Header=BB2_2121 Depth=3
	v_clz_i32_u32_e32 v8, v9
	s_delay_alu instid0(VALU_DEP_1) | instskip(NEXT) | instid1(VALU_DEP_1)
	v_min_u32_e32 v8, 32, v8
	v_subrev_nc_u32_e32 v9, 29, v8
	v_sub_nc_u32_e32 v8, 30, v8
	s_delay_alu instid0(VALU_DEP_2) | instskip(NEXT) | instid1(VALU_DEP_1)
	v_lshlrev_b64_e32 v[12:13], v9, v[2:3]
	v_and_b32_e32 v9, 3, v12
; %bb.2510:                             ;   in Loop: Header=BB2_2121 Depth=3
	s_or_b32 exec_lo, exec_lo, s43
	v_and_b32_e32 v2, 0x80000000, v14
	s_delay_alu instid0(VALU_DEP_1) | instskip(NEXT) | instid1(VALU_DEP_1)
	v_lshl_add_u32 v2, v8, 23, v2
	v_lshl_or_b32 v2, v9, 21, v2
                                        ; implicit-def: $vgpr9
	s_delay_alu instid0(VALU_DEP_1)
	v_add_nc_u32_e32 v8, 0x38000000, v2
.LBB2_2511:                             ;   in Loop: Header=BB2_2121 Depth=3
	s_and_not1_saveexec_b32 s42, s42
; %bb.2512:                             ;   in Loop: Header=BB2_2121 Depth=3
	v_cmp_lt_i32_e32 vcc_lo, -1, v14
	v_cndmask_b32_e32 v2, 0xff800000, v109, vcc_lo
	v_cmp_eq_u32_e32 vcc_lo, 0, v9
	s_delay_alu instid0(VALU_DEP_2)
	v_cndmask_b32_e32 v8, 0x7f800001, v2, vcc_lo
; %bb.2513:                             ;   in Loop: Header=BB2_2121 Depth=3
	s_or_b32 exec_lo, exec_lo, s42
.LBB2_2514:                             ;   in Loop: Header=BB2_2121 Depth=3
	s_delay_alu instid0(SALU_CYCLE_1)
	s_or_b32 exec_lo, exec_lo, s15
.LBB2_2515:                             ;   in Loop: Header=BB2_2121 Depth=3
	s_delay_alu instid0(SALU_CYCLE_1) | instskip(SKIP_3) | instid1(VALU_DEP_2)
	s_or_b32 exec_lo, exec_lo, s14
	v_bfe_u32 v9, v10, 24, 2
	v_bfe_u32 v21, v10, 26, 5
                                        ; implicit-def: $vgpr90
	s_mov_b32 s14, exec_lo
	v_clz_i32_u32_e32 v2, v9
	s_delay_alu instid0(VALU_DEP_2) | instskip(NEXT) | instid1(VALU_DEP_2)
	v_cmp_eq_u32_e32 vcc_lo, 0, v21
	v_min_u32_e32 v20, 32, v2
	v_lshrrev_b32_e32 v2, 24, v10
	s_delay_alu instid0(VALU_DEP_2) | instskip(NEXT) | instid1(VALU_DEP_1)
	v_subrev_nc_u32_e32 v12, 29, v20
	v_lshlrev_b64_e32 v[12:13], v12, v[2:3]
	v_sub_nc_u32_e32 v13, 30, v20
	v_and_b32_e32 v20, 0x80000000, v10
	s_delay_alu instid0(VALU_DEP_2) | instskip(NEXT) | instid1(VALU_DEP_1)
	v_dual_cndmask_b32 v13, v21, v13, vcc_lo :: v_dual_bitop2_b32 v12, 3, v12 bitop3:0x40
	v_lshl_add_u32 v13, v13, 23, v20
	s_delay_alu instid0(VALU_DEP_2) | instskip(SKIP_1) | instid1(VALU_DEP_2)
	v_cndmask_b32_e32 v12, v9, v12, vcc_lo
	v_cmp_lt_i32_e32 vcc_lo, -1, v10
	v_lshl_or_b32 v12, v12, 21, v13
	v_cndmask_b32_e32 v20, 0xff800000, v109, vcc_lo
	v_and_b32_e32 v13, 0x7c000000, v10
	v_cmp_eq_u32_e32 vcc_lo, 0, v9
	s_delay_alu instid0(VALU_DEP_4) | instskip(NEXT) | instid1(VALU_DEP_4)
	v_add_nc_u32_e32 v12, 0x38000000, v12
	v_cndmask_b32_e32 v9, 0x7f800001, v20, vcc_lo
	s_delay_alu instid0(VALU_DEP_4) | instskip(NEXT) | instid1(VALU_DEP_2)
	v_cmp_eq_u32_e32 vcc_lo, 0x7c000000, v13
	v_dual_mov_b32 v13, v3 :: v_dual_cndmask_b32 v9, v12, v9, vcc_lo
	v_cmp_ne_u32_e32 vcc_lo, 0x80, v2
	s_delay_alu instid0(VALU_DEP_2) | instskip(SKIP_1) | instid1(VALU_DEP_2)
	v_cndmask_b32_e32 v2, 0x80000000, v9, vcc_lo
	v_cmp_lt_u32_e32 vcc_lo, 0xffffff, v10
	v_cndmask_b32_e32 v2, 0, v2, vcc_lo
	s_delay_alu instid0(VALU_DEP_1) | instskip(NEXT) | instid1(VALU_DEP_1)
	v_mul_f32_e32 v8, v2, v8
	v_and_b32_e32 v12, 0x7f800000, v8
	v_and_b32_e32 v2, 0x7fffff, v8
	v_lshrrev_b32_e32 v9, 24, v8
	s_delay_alu instid0(VALU_DEP_3)
	v_cmpx_ne_u64_e32 0x7f800000, v[12:13]
	s_xor_b32 s15, exec_lo, s14
	s_cbranch_execz .LBB2_2529
; %bb.2516:                             ;   in Loop: Header=BB2_2121 Depth=3
	v_and_b32_e32 v12, 0x7fffffff, v8
	v_mov_b32_e32 v13, v3
	v_and_b32_e32 v60, 0x80, v9
                                        ; implicit-def: $vgpr90
	s_mov_b32 s14, exec_lo
	s_delay_alu instid0(VALU_DEP_2)
	v_cmpx_gt_u64_e32 0x47600001, v[12:13]
	s_xor_b32 s42, exec_lo, s14
	s_cbranch_execz .LBB2_2526
; %bb.2517:                             ;   in Loop: Header=BB2_2121 Depth=3
	v_mov_b32_e32 v90, 0
	s_mov_b32 s43, exec_lo
	v_cmpx_ne_u32_e32 0, v8
	s_cbranch_execz .LBB2_2525
; %bb.2518:                             ;   in Loop: Header=BB2_2121 Depth=3
	v_bfe_u32 v61, v8, 23, 8
	v_or_b32_e32 v12, 0x800000, v2
	s_delay_alu instid0(VALU_DEP_2) | instskip(SKIP_1) | instid1(VALU_DEP_2)
	v_sub_nc_u32_e32 v8, 0x71, v61
	v_cmp_gt_u32_e32 vcc_lo, 0x72, v61
	v_cndmask_b32_e32 v8, 0, v8, vcc_lo
	v_cmp_eq_u32_e32 vcc_lo, 0, v61
	s_delay_alu instid0(VALU_DEP_2) | instskip(SKIP_1) | instid1(VALU_DEP_2)
	v_cndmask_b32_e64 v90, v8, 0x70, vcc_lo
	v_cndmask_b32_e32 v2, v12, v2, vcc_lo
	v_dual_add_nc_u32 v8, 21, v90 :: v_dual_add_nc_u32 v13, 20, v90
	s_delay_alu instid0(VALU_DEP_1) | instskip(NEXT) | instid1(VALU_DEP_2)
	v_lshlrev_b64_e64 v[8:9], v8, -1
	v_lshlrev_b64_e64 v[12:13], v13, 1
	s_delay_alu instid0(VALU_DEP_2) | instskip(NEXT) | instid1(VALU_DEP_3)
	v_bfi_b32 v93, v9, 0, 0
	v_bfi_b32 v92, v8, 0, v2
	v_lshrrev_b64 v[8:9], v90, v[2:3]
	s_delay_alu instid0(VALU_DEP_2) | instskip(NEXT) | instid1(VALU_DEP_2)
	v_cmp_eq_u64_e64 s14, v[92:93], v[12:13]
	v_mov_b64_e32 v[12:13], v[8:9]
	s_and_saveexec_b32 s74, s14
; %bb.2519:                             ;   in Loop: Header=BB2_2121 Depth=3
	v_bfe_u32 v2, v8, 21, 1
	s_delay_alu instid0(VALU_DEP_1) | instskip(NEXT) | instid1(VALU_DEP_1)
	v_add_nc_u64_e32 v[12:13], v[8:9], v[2:3]
	v_add_nc_u64_e32 v[12:13], -1, v[12:13]
; %bb.2520:                             ;   in Loop: Header=BB2_2121 Depth=3
	s_or_b32 exec_lo, exec_lo, s74
	v_add_nc_u32_e32 v2, 0xffffff81, v61
	v_lshrrev_b32_e32 v9, 23, v8
	s_mov_b32 s14, exec_lo
	s_delay_alu instid0(VALU_DEP_2) | instskip(NEXT) | instid1(VALU_DEP_1)
	v_cndmask_b32_e64 v2, v2, 0xffffff82, vcc_lo
	v_add3_u32 v13, v90, v2, v9
	v_and_b32_e32 v2, 0x1fffff, v12
                                        ; implicit-def: $vgpr12
	s_delay_alu instid0(VALU_DEP_1) | instskip(NEXT) | instid1(VALU_DEP_1)
	v_dual_add_nc_u32 v61, 14, v13 :: v_dual_add_nc_u32 v2, v2, v8
                                        ; implicit-def: $vgpr8_vgpr9
	v_cmpx_ne_u32_e32 0, v61
	s_xor_b32 s14, exec_lo, s14
; %bb.2521:                             ;   in Loop: Header=BB2_2121 Depth=3
	s_delay_alu instid0(VALU_DEP_2) | instskip(SKIP_1) | instid1(VALU_DEP_1)
	v_cmp_lt_u64_e32 vcc_lo, 0xffffff, v[2:3]
	v_add_nc_u32_e32 v8, 15, v13
	v_cndmask_b32_e32 v12, v61, v8, vcc_lo
	v_cndmask_b32_e64 v8, 0, 1, vcc_lo
	s_delay_alu instid0(VALU_DEP_1)
	v_lshrrev_b64 v[8:9], v8, v[2:3]
; %bb.2522:                             ;   in Loop: Header=BB2_2121 Depth=3
	s_and_not1_saveexec_b32 s14, s14
; %bb.2523:                             ;   in Loop: Header=BB2_2121 Depth=3
	v_mov_b64_e32 v[8:9], v[2:3]
	v_bfe_u32 v12, v2, 23, 1
; %bb.2524:                             ;   in Loop: Header=BB2_2121 Depth=3
	s_or_b32 exec_lo, exec_lo, s14
	s_delay_alu instid0(VALU_DEP_2) | instskip(NEXT) | instid1(VALU_DEP_2)
	v_lshrrev_b64 v[8:9], 21, v[8:9]
	v_cmp_gt_i32_e32 vcc_lo, 32, v12
	v_min_i32_e32 v2, 31, v12
	v_cmp_eq_u32_e64 s14, 0, v12
	s_delay_alu instid0(VALU_DEP_2) | instskip(SKIP_1) | instid1(VALU_DEP_2)
	v_dual_cndmask_b32 v9, 0, v9 :: v_dual_lshlrev_b32 v2, 2, v2
	v_cndmask_b32_e32 v8, 3, v8, vcc_lo
	v_and_b32_e32 v2, 0xfc, v2
	s_delay_alu instid0(VALU_DEP_2) | instskip(NEXT) | instid1(VALU_DEP_2)
	v_cmp_eq_u64_e32 vcc_lo, 0, v[8:9]
	v_and_or_b32 v2, v8, 3, v2
	s_and_b32 s14, s14, vcc_lo
	s_delay_alu instid0(VALU_DEP_1) | instid1(SALU_CYCLE_1)
	v_cndmask_b32_e64 v2, v2, 0, s14
	s_delay_alu instid0(VALU_DEP_1)
	v_or_b32_e32 v90, v2, v60
.LBB2_2525:                             ;   in Loop: Header=BB2_2121 Depth=3
	s_or_b32 exec_lo, exec_lo, s43
                                        ; implicit-def: $vgpr60
.LBB2_2526:                             ;   in Loop: Header=BB2_2121 Depth=3
	s_and_not1_saveexec_b32 s14, s42
; %bb.2527:                             ;   in Loop: Header=BB2_2121 Depth=3
	v_or_b32_e32 v90, 0x7b, v60
; %bb.2528:                             ;   in Loop: Header=BB2_2121 Depth=3
	s_or_b32 exec_lo, exec_lo, s14
                                        ; implicit-def: $vgpr8
                                        ; implicit-def: $vgpr9
.LBB2_2529:                             ;   in Loop: Header=BB2_2121 Depth=3
	s_and_not1_saveexec_b32 s14, s15
	s_cbranch_execz .LBB2_2535
; %bb.2530:                             ;   in Loop: Header=BB2_2121 Depth=3
	s_mov_b32 s15, exec_lo
                                        ; implicit-def: $vgpr90
	v_cmpx_ne_u64_e32 0, v[2:3]
	s_xor_b32 s15, exec_lo, s15
; %bb.2531:                             ;   in Loop: Header=BB2_2121 Depth=3
	v_or_b32_e32 v90, 0x7f, v9
                                        ; implicit-def: $vgpr8
; %bb.2532:                             ;   in Loop: Header=BB2_2121 Depth=3
	s_and_not1_saveexec_b32 s15, s15
; %bb.2533:                             ;   in Loop: Header=BB2_2121 Depth=3
	v_cmp_lt_i32_e32 vcc_lo, -1, v8
	v_cndmask_b32_e32 v90, 0xfc, v110, vcc_lo
; %bb.2534:                             ;   in Loop: Header=BB2_2121 Depth=3
	s_or_b32 exec_lo, exec_lo, s15
.LBB2_2535:                             ;   in Loop: Header=BB2_2121 Depth=3
	s_delay_alu instid0(SALU_CYCLE_1) | instskip(SKIP_3) | instid1(VALU_DEP_2)
	s_or_b32 exec_lo, exec_lo, s14
	v_and_b32_e32 v8, 0xff, v15
	v_dual_mov_b32 v2, v15 :: v_dual_mov_b32 v12, 0
	s_mov_b32 s14, exec_lo
	v_cmpx_ne_u16_e32 0, v8
	s_cbranch_execz .LBB2_2545
; %bb.2536:                             ;   in Loop: Header=BB2_2121 Depth=3
	v_bfrev_b32_e32 v12, 1
	s_mov_b32 s15, exec_lo
	v_cmpx_ne_u16_e32 0x80, v8
	s_cbranch_execz .LBB2_2544
; %bb.2537:                             ;   in Loop: Header=BB2_2121 Depth=3
	v_and_b32_e32 v9, 0x7c, v15
	v_and_b32_e32 v8, 3, v15
	s_mov_b32 s42, exec_lo
                                        ; implicit-def: $vgpr12
	s_delay_alu instid0(VALU_DEP_2)
	v_cmpx_ne_u32_e32 0x7c, v9
	s_xor_b32 s42, exec_lo, s42
	s_cbranch_execz .LBB2_2541
; %bb.2538:                             ;   in Loop: Header=BB2_2121 Depth=3
	v_bfe_u32 v9, v15, 2, 5
	s_mov_b32 s43, exec_lo
	s_delay_alu instid0(VALU_DEP_1)
	v_cmpx_eq_u32_e32 0, v9
; %bb.2539:                             ;   in Loop: Header=BB2_2121 Depth=3
	v_clz_i32_u32_e32 v8, v8
	s_delay_alu instid0(VALU_DEP_1) | instskip(NEXT) | instid1(VALU_DEP_1)
	v_min_u32_e32 v12, 32, v8
	v_subrev_nc_u32_e32 v8, 29, v12
	s_delay_alu instid0(VALU_DEP_1) | instskip(SKIP_1) | instid1(VALU_DEP_2)
	v_lshlrev_b64_e32 v[8:9], v8, v[2:3]
	v_sub_nc_u32_e32 v9, 30, v12
	v_and_b32_e32 v8, 3, v8
; %bb.2540:                             ;   in Loop: Header=BB2_2121 Depth=3
	s_or_b32 exec_lo, exec_lo, s43
	v_lshlrev_b32_e32 v12, 24, v15
	s_delay_alu instid0(VALU_DEP_1) | instskip(NEXT) | instid1(VALU_DEP_1)
	v_and_b32_e32 v12, 0x80000000, v12
	v_lshl_add_u32 v9, v9, 23, v12
	s_delay_alu instid0(VALU_DEP_1) | instskip(NEXT) | instid1(VALU_DEP_1)
	v_lshl_or_b32 v8, v8, 21, v9
	v_add_nc_u32_e32 v12, 0x38000000, v8
                                        ; implicit-def: $vgpr8
.LBB2_2541:                             ;   in Loop: Header=BB2_2121 Depth=3
	s_and_not1_saveexec_b32 s42, s42
; %bb.2542:                             ;   in Loop: Header=BB2_2121 Depth=3
	v_bfe_i32 v9, v15, 0, 8
	s_delay_alu instid0(VALU_DEP_1) | instskip(SKIP_2) | instid1(VALU_DEP_2)
	v_cmp_lt_i16_e32 vcc_lo, -1, v9
	v_cndmask_b32_e32 v9, 0xff800000, v109, vcc_lo
	v_cmp_eq_u32_e32 vcc_lo, 0, v8
	v_cndmask_b32_e32 v12, 0x7f800001, v9, vcc_lo
; %bb.2543:                             ;   in Loop: Header=BB2_2121 Depth=3
	s_or_b32 exec_lo, exec_lo, s42
.LBB2_2544:                             ;   in Loop: Header=BB2_2121 Depth=3
	s_delay_alu instid0(SALU_CYCLE_1)
	s_or_b32 exec_lo, exec_lo, s15
.LBB2_2545:                             ;   in Loop: Header=BB2_2121 Depth=3
	s_delay_alu instid0(SALU_CYCLE_1) | instskip(SKIP_4) | instid1(VALU_DEP_2)
	s_or_b32 exec_lo, exec_lo, s14
	v_and_b32_e32 v9, 0xff, v11
	v_mov_b32_e32 v8, v11
	s_mov_b32 s15, 0
	s_mov_b32 s14, exec_lo
	v_cmpx_lt_i16_e32 0x7f, v9
	s_xor_b32 s14, exec_lo, s14
	s_cbranch_execz .LBB2_2694
; %bb.2546:                             ;   in Loop: Header=BB2_2121 Depth=3
	s_mov_b32 s15, -1
	s_mov_b32 s42, exec_lo
	v_cmpx_eq_u16_e32 0x80, v9
; %bb.2547:                             ;   in Loop: Header=BB2_2121 Depth=3
	s_xor_b32 s15, exec_lo, -1
; %bb.2548:                             ;   in Loop: Header=BB2_2121 Depth=3
	s_or_b32 exec_lo, exec_lo, s42
	s_delay_alu instid0(SALU_CYCLE_1)
	s_and_b32 s15, s15, exec_lo
                                        ; implicit-def: $vgpr9
	s_or_saveexec_b32 s14, s14
	v_bfrev_b32_e32 v13, 1
	s_xor_b32 exec_lo, exec_lo, s14
	s_cbranch_execnz .LBB2_2695
.LBB2_2549:                             ;   in Loop: Header=BB2_2121 Depth=3
	s_or_b32 exec_lo, exec_lo, s14
	v_mov_b32_e32 v9, v3
	s_and_saveexec_b32 s14, s15
	s_cbranch_execz .LBB2_2551
.LBB2_2550:                             ;   in Loop: Header=BB2_2121 Depth=3
	v_and_b32_e32 v13, 3, v11
	s_delay_alu instid0(VALU_DEP_1) | instskip(NEXT) | instid1(VALU_DEP_1)
	v_clz_i32_u32_e32 v20, v13
	v_min_u32_e32 v20, 32, v20
	s_delay_alu instid0(VALU_DEP_1) | instskip(SKIP_1) | instid1(VALU_DEP_2)
	v_subrev_nc_u32_e32 v21, 29, v20
	v_sub_nc_u32_e32 v20, 30, v20
	v_lshlrev_b64_e32 v[60:61], v21, v[8:9]
	v_bfe_u32 v21, v11, 2, 5
	v_lshlrev_b32_e32 v9, 24, v11
	s_delay_alu instid0(VALU_DEP_2) | instskip(NEXT) | instid1(VALU_DEP_2)
	v_cmp_eq_u32_e32 vcc_lo, 0, v21
	v_and_b32_e32 v9, 0x80000000, v9
	v_and_b32_e32 v60, 3, v60
	v_cndmask_b32_e32 v20, v21, v20, vcc_lo
	v_bfe_i32 v21, v11, 0, 8
	s_delay_alu instid0(VALU_DEP_3) | instskip(NEXT) | instid1(VALU_DEP_3)
	v_cndmask_b32_e32 v60, v13, v60, vcc_lo
	v_lshl_add_u32 v9, v20, 23, v9
	s_delay_alu instid0(VALU_DEP_3) | instskip(SKIP_1) | instid1(VALU_DEP_3)
	v_cmp_lt_i16_e32 vcc_lo, -1, v21
	v_and_b32_e32 v21, 0x7c, v11
	v_lshl_or_b32 v9, v60, 21, v9
	v_cndmask_b32_e32 v20, 0xff800000, v109, vcc_lo
	v_cmp_eq_u32_e32 vcc_lo, 0, v13
	s_delay_alu instid0(VALU_DEP_3) | instskip(NEXT) | instid1(VALU_DEP_3)
	v_add_nc_u32_e32 v9, 0x38000000, v9
	v_cndmask_b32_e32 v13, 0x7f800001, v20, vcc_lo
	v_cmp_eq_u32_e32 vcc_lo, 0x7c, v21
	s_delay_alu instid0(VALU_DEP_2)
	v_cndmask_b32_e32 v13, v9, v13, vcc_lo
.LBB2_2551:                             ;   in Loop: Header=BB2_2121 Depth=3
	s_or_b32 exec_lo, exec_lo, s14
	s_delay_alu instid0(VALU_DEP_1) | instskip(SKIP_2) | instid1(VALU_DEP_2)
	v_dual_mul_f32 v61, v12, v13 :: v_dual_mov_b32 v93, v3
	v_mov_b32_e32 v13, v3
                                        ; implicit-def: $vgpr60
	s_mov_b32 s14, exec_lo
	v_and_b32_e32 v92, 0x7f800000, v61
	v_and_b32_e32 v12, 0x7fffff, v61
	v_lshrrev_b32_e32 v9, 24, v61
	s_delay_alu instid0(VALU_DEP_3)
	v_cmpx_ne_u64_e32 0x7f800000, v[92:93]
	s_xor_b32 s15, exec_lo, s14
	s_cbranch_execz .LBB2_2565
; %bb.2552:                             ;   in Loop: Header=BB2_2121 Depth=3
	v_and_b32_e32 v92, 0x7fffffff, v61
	v_mov_b32_e32 v93, v3
	v_and_b32_e32 v9, 0x80, v9
                                        ; implicit-def: $vgpr60
	s_mov_b32 s14, exec_lo
	s_delay_alu instid0(VALU_DEP_2)
	v_cmpx_gt_u64_e32 0x47600001, v[92:93]
	s_xor_b32 s42, exec_lo, s14
	s_cbranch_execz .LBB2_2562
; %bb.2553:                             ;   in Loop: Header=BB2_2121 Depth=3
	v_mov_b32_e32 v60, 0
	s_mov_b32 s43, exec_lo
	v_cmpx_ne_u32_e32 0, v61
	s_cbranch_execz .LBB2_2561
; %bb.2554:                             ;   in Loop: Header=BB2_2121 Depth=3
	v_bfe_u32 v91, v61, 23, 8
	v_or_b32_e32 v21, 0x800000, v12
	s_delay_alu instid0(VALU_DEP_2) | instskip(SKIP_1) | instid1(VALU_DEP_2)
	v_sub_nc_u32_e32 v20, 0x71, v91
	v_cmp_gt_u32_e32 vcc_lo, 0x72, v91
	v_cndmask_b32_e32 v20, 0, v20, vcc_lo
	v_cmp_eq_u32_e32 vcc_lo, 0, v91
	s_delay_alu instid0(VALU_DEP_2) | instskip(SKIP_1) | instid1(VALU_DEP_2)
	v_cndmask_b32_e64 v92, v20, 0x70, vcc_lo
	v_cndmask_b32_e32 v12, v21, v12, vcc_lo
	v_add_nc_u32_e32 v20, 21, v92
	s_delay_alu instid0(VALU_DEP_1) | instskip(SKIP_1) | instid1(VALU_DEP_1)
	v_lshlrev_b64_e64 v[60:61], v20, -1
	v_add_nc_u32_e32 v20, 20, v92
	v_lshlrev_b64_e64 v[94:95], v20, 1
	s_delay_alu instid0(VALU_DEP_3) | instskip(SKIP_2) | instid1(VALU_DEP_1)
	v_bfi_b32 v60, v60, 0, v12
	v_lshrrev_b64 v[12:13], v92, v[12:13]
	v_bfi_b32 v61, v61, 0, 0
	v_cmp_eq_u64_e64 s14, v[60:61], v[94:95]
	s_delay_alu instid0(VALU_DEP_3)
	v_mov_b64_e32 v[60:61], v[12:13]
	s_and_saveexec_b32 s74, s14
; %bb.2555:                             ;   in Loop: Header=BB2_2121 Depth=3
	v_bfe_u32 v60, v12, 21, 1
	v_mov_b32_e32 v61, v3
	s_delay_alu instid0(VALU_DEP_1) | instskip(NEXT) | instid1(VALU_DEP_1)
	v_add_nc_u64_e32 v[60:61], v[12:13], v[60:61]
	v_add_nc_u64_e32 v[60:61], -1, v[60:61]
; %bb.2556:                             ;   in Loop: Header=BB2_2121 Depth=3
	s_or_b32 exec_lo, exec_lo, s74
	v_add_nc_u32_e32 v13, 0xffffff81, v91
	v_lshrrev_b32_e32 v20, 23, v12
	s_mov_b32 s14, exec_lo
	s_delay_alu instid0(VALU_DEP_2) | instskip(NEXT) | instid1(VALU_DEP_1)
	v_cndmask_b32_e64 v13, v13, 0xffffff82, vcc_lo
	v_add3_u32 v61, v92, v13, v20
	v_and_b32_e32 v13, 0x1fffff, v60
                                        ; implicit-def: $vgpr60
	s_delay_alu instid0(VALU_DEP_1) | instskip(SKIP_1) | instid1(VALU_DEP_2)
	v_dual_add_nc_u32 v91, 14, v61 :: v_dual_add_nc_u32 v12, v13, v12
	v_mov_b32_e32 v13, v3
	v_cmpx_ne_u32_e32 0, v91
	s_xor_b32 s14, exec_lo, s14
; %bb.2557:                             ;   in Loop: Header=BB2_2121 Depth=3
	s_delay_alu instid0(VALU_DEP_2) | instskip(SKIP_1) | instid1(VALU_DEP_1)
	v_cmp_lt_u64_e32 vcc_lo, 0xffffff, v[12:13]
	v_add_nc_u32_e32 v20, 15, v61
	v_cndmask_b32_e32 v60, v91, v20, vcc_lo
	v_cndmask_b32_e64 v20, 0, 1, vcc_lo
	s_delay_alu instid0(VALU_DEP_1)
	v_lshrrev_b64 v[12:13], v20, v[12:13]
; %bb.2558:                             ;   in Loop: Header=BB2_2121 Depth=3
	s_and_not1_saveexec_b32 s14, s14
; %bb.2559:                             ;   in Loop: Header=BB2_2121 Depth=3
	s_delay_alu instid0(VALU_DEP_1)
	v_bfe_u32 v60, v12, 23, 1
; %bb.2560:                             ;   in Loop: Header=BB2_2121 Depth=3
	s_or_b32 exec_lo, exec_lo, s14
	s_delay_alu instid0(VALU_DEP_2) | instskip(NEXT) | instid1(VALU_DEP_2)
	v_lshrrev_b64 v[12:13], 21, v[12:13]
	v_cmp_gt_i32_e32 vcc_lo, 32, v60
	v_min_i32_e32 v20, 31, v60
	v_cmp_eq_u32_e64 s14, 0, v60
	s_delay_alu instid0(VALU_DEP_2) | instskip(SKIP_1) | instid1(VALU_DEP_2)
	v_dual_cndmask_b32 v13, 0, v13 :: v_dual_lshlrev_b32 v20, 2, v20
	v_cndmask_b32_e32 v12, 3, v12, vcc_lo
	v_and_b32_e32 v20, 0xfc, v20
	s_delay_alu instid0(VALU_DEP_2) | instskip(NEXT) | instid1(VALU_DEP_2)
	v_cmp_eq_u64_e32 vcc_lo, 0, v[12:13]
	v_and_or_b32 v12, v12, 3, v20
	s_and_b32 s14, s14, vcc_lo
	s_delay_alu instid0(VALU_DEP_1) | instid1(SALU_CYCLE_1)
	v_cndmask_b32_e64 v12, v12, 0, s14
	s_delay_alu instid0(VALU_DEP_1)
	v_or_b32_e32 v60, v12, v9
.LBB2_2561:                             ;   in Loop: Header=BB2_2121 Depth=3
	s_or_b32 exec_lo, exec_lo, s43
                                        ; implicit-def: $vgpr9
.LBB2_2562:                             ;   in Loop: Header=BB2_2121 Depth=3
	s_and_not1_saveexec_b32 s14, s42
; %bb.2563:                             ;   in Loop: Header=BB2_2121 Depth=3
	v_or_b32_e32 v60, 0x7b, v9
; %bb.2564:                             ;   in Loop: Header=BB2_2121 Depth=3
	s_or_b32 exec_lo, exec_lo, s14
                                        ; implicit-def: $vgpr61
                                        ; implicit-def: $vgpr12_vgpr13
                                        ; implicit-def: $vgpr9
.LBB2_2565:                             ;   in Loop: Header=BB2_2121 Depth=3
	s_and_not1_saveexec_b32 s14, s15
	s_cbranch_execz .LBB2_2571
; %bb.2566:                             ;   in Loop: Header=BB2_2121 Depth=3
	s_mov_b32 s15, exec_lo
                                        ; implicit-def: $vgpr60
	v_cmpx_ne_u64_e32 0, v[12:13]
	s_xor_b32 s15, exec_lo, s15
; %bb.2567:                             ;   in Loop: Header=BB2_2121 Depth=3
	v_or_b32_e32 v60, 0x7f, v9
                                        ; implicit-def: $vgpr61
; %bb.2568:                             ;   in Loop: Header=BB2_2121 Depth=3
	s_and_not1_saveexec_b32 s15, s15
; %bb.2569:                             ;   in Loop: Header=BB2_2121 Depth=3
	v_cmp_lt_i32_e32 vcc_lo, -1, v61
	v_cndmask_b32_e32 v60, 0xfc, v110, vcc_lo
; %bb.2570:                             ;   in Loop: Header=BB2_2121 Depth=3
	s_or_b32 exec_lo, exec_lo, s15
.LBB2_2571:                             ;   in Loop: Header=BB2_2121 Depth=3
	s_delay_alu instid0(SALU_CYCLE_1) | instskip(SKIP_3) | instid1(VALU_DEP_2)
	s_or_b32 exec_lo, exec_lo, s14
	v_lshrrev_b16 v12, 8, v2
	v_mov_b32_e32 v9, 0
	s_mov_b32 s14, exec_lo
	v_cmpx_ne_u16_e32 0, v12
	s_cbranch_execz .LBB2_2581
; %bb.2572:                             ;   in Loop: Header=BB2_2121 Depth=3
	v_bfrev_b32_e32 v9, 1
	s_mov_b32 s15, exec_lo
	v_cmpx_ne_u16_e32 0x80, v12
	s_cbranch_execz .LBB2_2580
; %bb.2573:                             ;   in Loop: Header=BB2_2121 Depth=3
	v_and_b32_e32 v61, 0xffff, v12
	s_delay_alu instid0(VALU_DEP_1) | instskip(SKIP_1) | instid1(VALU_DEP_2)
	v_and_b32_e32 v9, 0x7c, v61
	v_and_b32_e32 v13, 3, v61
	v_cmp_ne_u32_e32 vcc_lo, 0x7c, v9
                                        ; implicit-def: $vgpr9
	s_and_saveexec_b32 s42, vcc_lo
	s_delay_alu instid0(SALU_CYCLE_1)
	s_xor_b32 s42, exec_lo, s42
	s_cbranch_execz .LBB2_2577
; %bb.2574:                             ;   in Loop: Header=BB2_2121 Depth=3
	v_bfe_u32 v9, v61, 2, 5
	s_mov_b32 s43, exec_lo
	s_delay_alu instid0(VALU_DEP_1)
	v_cmpx_eq_u32_e32 0, v9
	s_cbranch_execz .LBB2_2576
; %bb.2575:                             ;   in Loop: Header=BB2_2121 Depth=3
	v_clz_i32_u32_e32 v9, v13
	s_delay_alu instid0(VALU_DEP_1) | instskip(SKIP_1) | instid1(VALU_DEP_2)
	v_min_u32_e32 v9, 32, v9
	v_mov_b32_e32 v13, v3
	v_subrev_nc_u32_e32 v20, 29, v9
	v_sub_nc_u32_e32 v9, 30, v9
	s_delay_alu instid0(VALU_DEP_2) | instskip(NEXT) | instid1(VALU_DEP_1)
	v_lshlrev_b64_e32 v[12:13], v20, v[12:13]
	v_and_b32_e32 v13, 3, v12
.LBB2_2576:                             ;   in Loop: Header=BB2_2121 Depth=3
	s_or_b32 exec_lo, exec_lo, s43
	v_lshlrev_b32_e32 v2, 16, v2
	s_delay_alu instid0(VALU_DEP_1) | instskip(NEXT) | instid1(VALU_DEP_1)
	v_and_b32_e32 v2, 0x80000000, v2
	v_lshl_add_u32 v2, v9, 23, v2
	s_delay_alu instid0(VALU_DEP_1) | instskip(NEXT) | instid1(VALU_DEP_1)
	v_lshl_or_b32 v2, v13, 21, v2
                                        ; implicit-def: $vgpr13
	v_add_nc_u32_e32 v9, 0x38000000, v2
.LBB2_2577:                             ;   in Loop: Header=BB2_2121 Depth=3
	s_and_not1_saveexec_b32 s42, s42
; %bb.2578:                             ;   in Loop: Header=BB2_2121 Depth=3
	v_cmp_lt_i16_e32 vcc_lo, -1, v2
	v_cndmask_b32_e32 v2, 0xff800000, v109, vcc_lo
	v_cmp_eq_u32_e32 vcc_lo, 0, v13
	s_delay_alu instid0(VALU_DEP_2)
	v_cndmask_b32_e32 v9, 0x7f800001, v2, vcc_lo
; %bb.2579:                             ;   in Loop: Header=BB2_2121 Depth=3
	s_or_b32 exec_lo, exec_lo, s42
.LBB2_2580:                             ;   in Loop: Header=BB2_2121 Depth=3
	s_delay_alu instid0(SALU_CYCLE_1)
	s_or_b32 exec_lo, exec_lo, s15
.LBB2_2581:                             ;   in Loop: Header=BB2_2121 Depth=3
	s_delay_alu instid0(SALU_CYCLE_1) | instskip(SKIP_3) | instid1(VALU_DEP_1)
	s_or_b32 exec_lo, exec_lo, s14
	v_lshrrev_b16 v2, 8, v8
	s_mov_b32 s15, 0
	s_mov_b32 s14, exec_lo
	v_cmpx_lt_i16_e32 0x7f, v2
	s_xor_b32 s14, exec_lo, s14
	s_cbranch_execz .LBB2_2696
; %bb.2582:                             ;   in Loop: Header=BB2_2121 Depth=3
	s_mov_b32 s15, -1
	s_mov_b32 s42, exec_lo
	v_cmpx_eq_u16_e32 0x80, v2
; %bb.2583:                             ;   in Loop: Header=BB2_2121 Depth=3
	s_xor_b32 s15, exec_lo, -1
; %bb.2584:                             ;   in Loop: Header=BB2_2121 Depth=3
	s_or_b32 exec_lo, exec_lo, s42
	s_delay_alu instid0(SALU_CYCLE_1)
	s_and_b32 s15, s15, exec_lo
	s_or_saveexec_b32 s14, s14
	v_bfrev_b32_e32 v12, 1
	s_xor_b32 exec_lo, exec_lo, s14
	s_cbranch_execnz .LBB2_2697
.LBB2_2585:                             ;   in Loop: Header=BB2_2121 Depth=3
	s_or_b32 exec_lo, exec_lo, s14
	s_and_saveexec_b32 s14, s15
	s_cbranch_execz .LBB2_2587
.LBB2_2586:                             ;   in Loop: Header=BB2_2121 Depth=3
	v_and_b32_e32 v20, 0xffff, v2
	s_delay_alu instid0(VALU_DEP_1) | instskip(NEXT) | instid1(VALU_DEP_1)
	v_and_b32_e32 v21, 3, v20
	v_clz_i32_u32_e32 v12, v21
	s_delay_alu instid0(VALU_DEP_1) | instskip(NEXT) | instid1(VALU_DEP_1)
	v_min_u32_e32 v61, 32, v12
	v_subrev_nc_u32_e32 v12, 29, v61
	s_delay_alu instid0(VALU_DEP_1) | instskip(SKIP_2) | instid1(VALU_DEP_2)
	v_lshlrev_b64_e32 v[12:13], v12, v[2:3]
	v_bfe_u32 v13, v20, 2, 5
	v_dual_lshlrev_b32 v2, 24, v2 :: v_dual_sub_nc_u32 v61, 30, v61
	v_cmp_eq_u32_e32 vcc_lo, 0, v13
	s_delay_alu instid0(VALU_DEP_2) | instskip(NEXT) | instid1(VALU_DEP_3)
	v_and_b32_e32 v2, 0x80000000, v2
	v_dual_cndmask_b32 v13, v13, v61, vcc_lo :: v_dual_bitop2_b32 v12, 3, v12 bitop3:0x40
	s_delay_alu instid0(VALU_DEP_1) | instskip(SKIP_1) | instid1(VALU_DEP_3)
	v_cndmask_b32_e32 v12, v21, v12, vcc_lo
	v_cmp_lt_i16_e32 vcc_lo, -1, v8
	v_lshl_add_u32 v2, v13, 23, v2
	v_cndmask_b32_e32 v8, 0xff800000, v109, vcc_lo
	v_cmp_eq_u32_e32 vcc_lo, 0, v21
	s_delay_alu instid0(VALU_DEP_3) | instskip(SKIP_1) | instid1(VALU_DEP_4)
	v_lshl_or_b32 v2, v12, 21, v2
	v_and_b32_e32 v12, 0x7c, v20
	v_cndmask_b32_e32 v8, 0x7f800001, v8, vcc_lo
	s_delay_alu instid0(VALU_DEP_3) | instskip(NEXT) | instid1(VALU_DEP_3)
	v_add_nc_u32_e32 v2, 0x38000000, v2
	v_cmp_eq_u32_e32 vcc_lo, 0x7c, v12
	s_delay_alu instid0(VALU_DEP_2)
	v_cndmask_b32_e32 v12, v2, v8, vcc_lo
.LBB2_2587:                             ;   in Loop: Header=BB2_2121 Depth=3
	s_or_b32 exec_lo, exec_lo, s14
	s_delay_alu instid0(VALU_DEP_1) | instskip(SKIP_1) | instid1(VALU_DEP_1)
	v_dual_mul_f32 v8, v9, v12 :: v_dual_mov_b32 v13, v3
                                        ; implicit-def: $vgpr61
	s_mov_b32 s14, exec_lo
	v_and_b32_e32 v12, 0x7f800000, v8
	v_and_b32_e32 v2, 0x7fffff, v8
	v_lshrrev_b32_e32 v9, 24, v8
	s_delay_alu instid0(VALU_DEP_3)
	v_cmpx_ne_u64_e32 0x7f800000, v[12:13]
	s_xor_b32 s15, exec_lo, s14
	s_cbranch_execz .LBB2_2601
; %bb.2588:                             ;   in Loop: Header=BB2_2121 Depth=3
	v_and_b32_e32 v12, 0x7fffffff, v8
	v_mov_b32_e32 v13, v3
	v_and_b32_e32 v91, 0x80, v9
                                        ; implicit-def: $vgpr61
	s_mov_b32 s14, exec_lo
	s_delay_alu instid0(VALU_DEP_2)
	v_cmpx_gt_u64_e32 0x47600001, v[12:13]
	s_xor_b32 s42, exec_lo, s14
	s_cbranch_execz .LBB2_2598
; %bb.2589:                             ;   in Loop: Header=BB2_2121 Depth=3
	v_mov_b32_e32 v61, 0
	s_mov_b32 s43, exec_lo
	v_cmpx_ne_u32_e32 0, v8
	s_cbranch_execz .LBB2_2597
; %bb.2590:                             ;   in Loop: Header=BB2_2121 Depth=3
	v_bfe_u32 v61, v8, 23, 8
	v_or_b32_e32 v12, 0x800000, v2
	s_delay_alu instid0(VALU_DEP_2) | instskip(SKIP_1) | instid1(VALU_DEP_2)
	v_sub_nc_u32_e32 v8, 0x71, v61
	v_cmp_gt_u32_e32 vcc_lo, 0x72, v61
	v_cndmask_b32_e32 v8, 0, v8, vcc_lo
	v_cmp_eq_u32_e32 vcc_lo, 0, v61
	v_cndmask_b32_e32 v2, v12, v2, vcc_lo
	s_delay_alu instid0(VALU_DEP_3) | instskip(NEXT) | instid1(VALU_DEP_1)
	v_cndmask_b32_e64 v92, v8, 0x70, vcc_lo
	v_dual_add_nc_u32 v8, 21, v92 :: v_dual_add_nc_u32 v13, 20, v92
	s_delay_alu instid0(VALU_DEP_1) | instskip(NEXT) | instid1(VALU_DEP_2)
	v_lshlrev_b64_e64 v[8:9], v8, -1
	v_lshlrev_b64_e64 v[12:13], v13, 1
	s_delay_alu instid0(VALU_DEP_2) | instskip(NEXT) | instid1(VALU_DEP_3)
	v_bfi_b32 v95, v9, 0, 0
	v_bfi_b32 v94, v8, 0, v2
	v_lshrrev_b64 v[8:9], v92, v[2:3]
	s_delay_alu instid0(VALU_DEP_2) | instskip(NEXT) | instid1(VALU_DEP_2)
	v_cmp_eq_u64_e64 s14, v[94:95], v[12:13]
	v_mov_b64_e32 v[12:13], v[8:9]
	s_and_saveexec_b32 s74, s14
; %bb.2591:                             ;   in Loop: Header=BB2_2121 Depth=3
	v_bfe_u32 v2, v8, 21, 1
	s_delay_alu instid0(VALU_DEP_1) | instskip(NEXT) | instid1(VALU_DEP_1)
	v_add_nc_u64_e32 v[12:13], v[8:9], v[2:3]
	v_add_nc_u64_e32 v[12:13], -1, v[12:13]
; %bb.2592:                             ;   in Loop: Header=BB2_2121 Depth=3
	s_or_b32 exec_lo, exec_lo, s74
	v_add_nc_u32_e32 v2, 0xffffff81, v61
	v_lshrrev_b32_e32 v9, 23, v8
	s_mov_b32 s14, exec_lo
	s_delay_alu instid0(VALU_DEP_2) | instskip(NEXT) | instid1(VALU_DEP_1)
	v_cndmask_b32_e64 v2, v2, 0xffffff82, vcc_lo
	v_add3_u32 v13, v92, v2, v9
	v_and_b32_e32 v2, 0x1fffff, v12
                                        ; implicit-def: $vgpr12
	s_delay_alu instid0(VALU_DEP_1) | instskip(NEXT) | instid1(VALU_DEP_1)
	v_dual_add_nc_u32 v61, 14, v13 :: v_dual_add_nc_u32 v2, v2, v8
                                        ; implicit-def: $vgpr8_vgpr9
	v_cmpx_ne_u32_e32 0, v61
	s_xor_b32 s14, exec_lo, s14
; %bb.2593:                             ;   in Loop: Header=BB2_2121 Depth=3
	s_delay_alu instid0(VALU_DEP_2) | instskip(SKIP_1) | instid1(VALU_DEP_1)
	v_cmp_lt_u64_e32 vcc_lo, 0xffffff, v[2:3]
	v_add_nc_u32_e32 v8, 15, v13
	v_cndmask_b32_e32 v12, v61, v8, vcc_lo
	v_cndmask_b32_e64 v8, 0, 1, vcc_lo
	s_delay_alu instid0(VALU_DEP_1)
	v_lshrrev_b64 v[8:9], v8, v[2:3]
; %bb.2594:                             ;   in Loop: Header=BB2_2121 Depth=3
	s_and_not1_saveexec_b32 s14, s14
; %bb.2595:                             ;   in Loop: Header=BB2_2121 Depth=3
	v_mov_b64_e32 v[8:9], v[2:3]
	v_bfe_u32 v12, v2, 23, 1
; %bb.2596:                             ;   in Loop: Header=BB2_2121 Depth=3
	s_or_b32 exec_lo, exec_lo, s14
	s_delay_alu instid0(VALU_DEP_2) | instskip(NEXT) | instid1(VALU_DEP_2)
	v_lshrrev_b64 v[8:9], 21, v[8:9]
	v_cmp_gt_i32_e32 vcc_lo, 32, v12
	v_min_i32_e32 v2, 31, v12
	v_cmp_eq_u32_e64 s14, 0, v12
	s_delay_alu instid0(VALU_DEP_2) | instskip(SKIP_1) | instid1(VALU_DEP_2)
	v_dual_cndmask_b32 v9, 0, v9 :: v_dual_lshlrev_b32 v2, 2, v2
	v_cndmask_b32_e32 v8, 3, v8, vcc_lo
	v_and_b32_e32 v2, 0xfc, v2
	s_delay_alu instid0(VALU_DEP_2) | instskip(NEXT) | instid1(VALU_DEP_2)
	v_cmp_eq_u64_e32 vcc_lo, 0, v[8:9]
	v_and_or_b32 v2, v8, 3, v2
	s_and_b32 s14, s14, vcc_lo
	s_delay_alu instid0(VALU_DEP_1) | instid1(SALU_CYCLE_1)
	v_cndmask_b32_e64 v2, v2, 0, s14
	s_delay_alu instid0(VALU_DEP_1)
	v_or_b32_e32 v61, v2, v91
.LBB2_2597:                             ;   in Loop: Header=BB2_2121 Depth=3
	s_or_b32 exec_lo, exec_lo, s43
                                        ; implicit-def: $vgpr91
.LBB2_2598:                             ;   in Loop: Header=BB2_2121 Depth=3
	s_and_not1_saveexec_b32 s14, s42
; %bb.2599:                             ;   in Loop: Header=BB2_2121 Depth=3
	v_or_b32_e32 v61, 0x7b, v91
; %bb.2600:                             ;   in Loop: Header=BB2_2121 Depth=3
	s_or_b32 exec_lo, exec_lo, s14
                                        ; implicit-def: $vgpr8
                                        ; implicit-def: $vgpr9
.LBB2_2601:                             ;   in Loop: Header=BB2_2121 Depth=3
	s_and_not1_saveexec_b32 s14, s15
	s_cbranch_execz .LBB2_2607
; %bb.2602:                             ;   in Loop: Header=BB2_2121 Depth=3
	s_mov_b32 s15, exec_lo
                                        ; implicit-def: $vgpr61
	v_cmpx_ne_u64_e32 0, v[2:3]
	s_xor_b32 s15, exec_lo, s15
; %bb.2603:                             ;   in Loop: Header=BB2_2121 Depth=3
	v_or_b32_e32 v61, 0x7f, v9
                                        ; implicit-def: $vgpr8
; %bb.2604:                             ;   in Loop: Header=BB2_2121 Depth=3
	s_and_not1_saveexec_b32 s15, s15
; %bb.2605:                             ;   in Loop: Header=BB2_2121 Depth=3
	v_cmp_lt_i32_e32 vcc_lo, -1, v8
	v_cndmask_b32_e32 v61, 0xfc, v110, vcc_lo
; %bb.2606:                             ;   in Loop: Header=BB2_2121 Depth=3
	s_or_b32 exec_lo, exec_lo, s15
.LBB2_2607:                             ;   in Loop: Header=BB2_2121 Depth=3
	s_delay_alu instid0(SALU_CYCLE_1) | instskip(SKIP_2) | instid1(VALU_DEP_1)
	s_or_b32 exec_lo, exec_lo, s14
	v_dual_lshrrev_b32 v2, 16, v15 :: v_dual_mov_b32 v8, 0
	s_mov_b32 s14, exec_lo
	v_and_b32_e32 v9, 0xff, v2
	s_delay_alu instid0(VALU_DEP_1)
	v_cmpx_ne_u16_e32 0, v9
	s_cbranch_execz .LBB2_2617
; %bb.2608:                             ;   in Loop: Header=BB2_2121 Depth=3
	v_bfrev_b32_e32 v8, 1
	s_mov_b32 s15, exec_lo
	v_cmpx_ne_u16_e32 0x80, v9
	s_cbranch_execz .LBB2_2616
; %bb.2609:                             ;   in Loop: Header=BB2_2121 Depth=3
	v_and_b32_e32 v8, 0x7c0000, v15
	v_bfe_u32 v9, v15, 16, 2
	s_delay_alu instid0(VALU_DEP_2) | instskip(SKIP_1) | instid1(SALU_CYCLE_1)
	v_cmp_ne_u32_e32 vcc_lo, 0x7c0000, v8
                                        ; implicit-def: $vgpr8
	s_and_saveexec_b32 s42, vcc_lo
	s_xor_b32 s42, exec_lo, s42
	s_cbranch_execz .LBB2_2613
; %bb.2610:                             ;   in Loop: Header=BB2_2121 Depth=3
	v_bfe_u32 v8, v15, 18, 5
	s_mov_b32 s43, exec_lo
	s_delay_alu instid0(VALU_DEP_1)
	v_cmpx_eq_u32_e32 0, v8
; %bb.2611:                             ;   in Loop: Header=BB2_2121 Depth=3
	v_clz_i32_u32_e32 v8, v9
	s_delay_alu instid0(VALU_DEP_1) | instskip(NEXT) | instid1(VALU_DEP_1)
	v_min_u32_e32 v8, 32, v8
	v_subrev_nc_u32_e32 v9, 29, v8
	v_sub_nc_u32_e32 v8, 30, v8
	s_delay_alu instid0(VALU_DEP_2) | instskip(NEXT) | instid1(VALU_DEP_1)
	v_lshlrev_b64_e32 v[12:13], v9, v[2:3]
	v_and_b32_e32 v9, 3, v12
; %bb.2612:                             ;   in Loop: Header=BB2_2121 Depth=3
	s_or_b32 exec_lo, exec_lo, s43
	v_lshlrev_b32_e32 v2, 24, v2
	s_delay_alu instid0(VALU_DEP_1) | instskip(NEXT) | instid1(VALU_DEP_1)
	v_and_b32_e32 v2, 0x80000000, v2
	v_lshl_add_u32 v2, v8, 23, v2
	s_delay_alu instid0(VALU_DEP_1) | instskip(NEXT) | instid1(VALU_DEP_1)
	v_lshl_or_b32 v2, v9, 21, v2
                                        ; implicit-def: $vgpr9
	v_add_nc_u32_e32 v8, 0x38000000, v2
                                        ; implicit-def: $vgpr2
.LBB2_2613:                             ;   in Loop: Header=BB2_2121 Depth=3
	s_and_not1_saveexec_b32 s42, s42
; %bb.2614:                             ;   in Loop: Header=BB2_2121 Depth=3
	v_bfe_i32 v2, v2, 0, 8
	s_delay_alu instid0(VALU_DEP_1) | instskip(SKIP_2) | instid1(VALU_DEP_2)
	v_cmp_lt_i16_e32 vcc_lo, -1, v2
	v_cndmask_b32_e32 v2, 0xff800000, v109, vcc_lo
	v_cmp_eq_u32_e32 vcc_lo, 0, v9
	v_cndmask_b32_e32 v8, 0x7f800001, v2, vcc_lo
; %bb.2615:                             ;   in Loop: Header=BB2_2121 Depth=3
	s_or_b32 exec_lo, exec_lo, s42
.LBB2_2616:                             ;   in Loop: Header=BB2_2121 Depth=3
	s_delay_alu instid0(SALU_CYCLE_1)
	s_or_b32 exec_lo, exec_lo, s15
.LBB2_2617:                             ;   in Loop: Header=BB2_2121 Depth=3
	s_delay_alu instid0(SALU_CYCLE_1) | instskip(SKIP_3) | instid1(VALU_DEP_1)
	s_or_b32 exec_lo, exec_lo, s14
	v_lshrrev_b32_e32 v2, 16, v11
	s_mov_b32 s15, 0
	s_mov_b32 s14, exec_lo
	v_and_b32_e32 v12, 0xff, v2
	s_delay_alu instid0(VALU_DEP_1)
	v_cmpx_lt_i16_e32 0x7f, v12
	s_xor_b32 s14, exec_lo, s14
	s_cbranch_execz .LBB2_2698
; %bb.2618:                             ;   in Loop: Header=BB2_2121 Depth=3
	s_mov_b32 s15, -1
	s_mov_b32 s42, exec_lo
	v_cmpx_eq_u16_e32 0x80, v12
; %bb.2619:                             ;   in Loop: Header=BB2_2121 Depth=3
	s_xor_b32 s15, exec_lo, -1
; %bb.2620:                             ;   in Loop: Header=BB2_2121 Depth=3
	s_or_b32 exec_lo, exec_lo, s42
	s_delay_alu instid0(SALU_CYCLE_1)
	s_and_b32 s15, s15, exec_lo
                                        ; implicit-def: $vgpr12
	s_or_saveexec_b32 s14, s14
	v_bfrev_b32_e32 v9, 1
	s_xor_b32 exec_lo, exec_lo, s14
	s_cbranch_execnz .LBB2_2699
.LBB2_2621:                             ;   in Loop: Header=BB2_2121 Depth=3
	s_or_b32 exec_lo, exec_lo, s14
	s_and_saveexec_b32 s14, s15
	s_cbranch_execz .LBB2_2623
.LBB2_2622:                             ;   in Loop: Header=BB2_2121 Depth=3
	v_and_b32_e32 v9, 3, v2
	v_bfe_u32 v21, v11, 18, 5
	s_delay_alu instid0(VALU_DEP_2) | instskip(NEXT) | instid1(VALU_DEP_2)
	v_clz_i32_u32_e32 v12, v9
	v_cmp_eq_u32_e32 vcc_lo, 0, v21
	s_delay_alu instid0(VALU_DEP_2) | instskip(NEXT) | instid1(VALU_DEP_1)
	v_min_u32_e32 v20, 32, v12
	v_subrev_nc_u32_e32 v12, 29, v20
	v_sub_nc_u32_e32 v20, 30, v20
	s_delay_alu instid0(VALU_DEP_2) | instskip(NEXT) | instid1(VALU_DEP_2)
	v_lshlrev_b64_e32 v[12:13], v12, v[2:3]
	v_dual_cndmask_b32 v20, v21, v20 :: v_dual_lshlrev_b32 v13, 24, v2
	v_bfe_i32 v2, v2, 0, 8
	s_delay_alu instid0(VALU_DEP_2) | instskip(NEXT) | instid1(VALU_DEP_4)
	v_and_b32_e32 v13, 0x80000000, v13
	v_and_b32_e32 v12, 3, v12
	s_delay_alu instid0(VALU_DEP_2) | instskip(NEXT) | instid1(VALU_DEP_2)
	v_lshl_add_u32 v13, v20, 23, v13
	v_cndmask_b32_e32 v12, v9, v12, vcc_lo
	v_cmp_lt_i16_e32 vcc_lo, -1, v2
	s_delay_alu instid0(VALU_DEP_2) | instskip(SKIP_3) | instid1(VALU_DEP_4)
	v_lshl_or_b32 v12, v12, 21, v13
	v_cndmask_b32_e32 v2, 0xff800000, v109, vcc_lo
	v_and_b32_e32 v13, 0x7c0000, v11
	v_cmp_eq_u32_e32 vcc_lo, 0, v9
	v_add_nc_u32_e32 v9, 0x38000000, v12
	s_delay_alu instid0(VALU_DEP_4) | instskip(NEXT) | instid1(VALU_DEP_4)
	v_cndmask_b32_e32 v2, 0x7f800001, v2, vcc_lo
	v_cmp_eq_u32_e32 vcc_lo, 0x7c0000, v13
	s_delay_alu instid0(VALU_DEP_2)
	v_cndmask_b32_e32 v9, v9, v2, vcc_lo
.LBB2_2623:                             ;   in Loop: Header=BB2_2121 Depth=3
	s_or_b32 exec_lo, exec_lo, s14
	s_delay_alu instid0(VALU_DEP_1) | instskip(NEXT) | instid1(VALU_DEP_1)
	v_dual_mul_f32 v8, v8, v9 :: v_dual_mov_b32 v13, v3
	v_and_b32_e32 v12, 0x7f800000, v8
	v_and_b32_e32 v2, 0x7fffff, v8
	v_lshrrev_b32_e32 v9, 24, v8
	s_delay_alu instid0(VALU_DEP_3) | instskip(SKIP_1) | instid1(SALU_CYCLE_1)
	v_cmp_ne_u64_e32 vcc_lo, 0x7f800000, v[12:13]
                                        ; implicit-def: $vgpr12
	s_and_saveexec_b32 s14, vcc_lo
	s_xor_b32 s15, exec_lo, s14
	s_cbranch_execz .LBB2_2637
; %bb.2624:                             ;   in Loop: Header=BB2_2121 Depth=3
	v_and_b32_e32 v12, 0x7fffffff, v8
	v_mov_b32_e32 v13, v3
	v_and_b32_e32 v91, 0x80, v9
	s_delay_alu instid0(VALU_DEP_2) | instskip(SKIP_1) | instid1(SALU_CYCLE_1)
	v_cmp_gt_u64_e32 vcc_lo, 0x47600001, v[12:13]
                                        ; implicit-def: $vgpr12
	s_and_saveexec_b32 s14, vcc_lo
	s_xor_b32 s42, exec_lo, s14
	s_cbranch_execz .LBB2_2634
; %bb.2625:                             ;   in Loop: Header=BB2_2121 Depth=3
	v_mov_b32_e32 v12, 0
	s_mov_b32 s43, exec_lo
	v_cmpx_ne_u32_e32 0, v8
	s_cbranch_execz .LBB2_2633
; %bb.2626:                             ;   in Loop: Header=BB2_2121 Depth=3
	v_bfe_u32 v92, v8, 23, 8
	v_or_b32_e32 v12, 0x800000, v2
	s_delay_alu instid0(VALU_DEP_2) | instskip(SKIP_1) | instid1(VALU_DEP_2)
	v_sub_nc_u32_e32 v8, 0x71, v92
	v_cmp_gt_u32_e32 vcc_lo, 0x72, v92
	v_cndmask_b32_e32 v8, 0, v8, vcc_lo
	v_cmp_eq_u32_e32 vcc_lo, 0, v92
	s_delay_alu instid0(VALU_DEP_2) | instskip(NEXT) | instid1(VALU_DEP_1)
	v_cndmask_b32_e64 v93, v8, 0x70, vcc_lo
	v_dual_cndmask_b32 v2, v12, v2, vcc_lo :: v_dual_add_nc_u32 v8, 21, v93
	v_add_nc_u32_e32 v13, 20, v93
	s_delay_alu instid0(VALU_DEP_2) | instskip(NEXT) | instid1(VALU_DEP_2)
	v_lshlrev_b64_e64 v[8:9], v8, -1
	v_lshlrev_b64_e64 v[12:13], v13, 1
	s_delay_alu instid0(VALU_DEP_2) | instskip(NEXT) | instid1(VALU_DEP_3)
	v_bfi_b32 v95, v9, 0, 0
	v_bfi_b32 v94, v8, 0, v2
	v_lshrrev_b64 v[8:9], v93, v[2:3]
	s_delay_alu instid0(VALU_DEP_2) | instskip(NEXT) | instid1(VALU_DEP_2)
	v_cmp_eq_u64_e64 s14, v[94:95], v[12:13]
	v_mov_b64_e32 v[12:13], v[8:9]
	s_and_saveexec_b32 s74, s14
; %bb.2627:                             ;   in Loop: Header=BB2_2121 Depth=3
	v_bfe_u32 v2, v8, 21, 1
	s_delay_alu instid0(VALU_DEP_1) | instskip(NEXT) | instid1(VALU_DEP_1)
	v_add_nc_u64_e32 v[12:13], v[8:9], v[2:3]
	v_add_nc_u64_e32 v[12:13], -1, v[12:13]
; %bb.2628:                             ;   in Loop: Header=BB2_2121 Depth=3
	s_or_b32 exec_lo, exec_lo, s74
	v_add_nc_u32_e32 v2, 0xffffff81, v92
	v_lshrrev_b32_e32 v9, 23, v8
	s_mov_b32 s14, exec_lo
	s_delay_alu instid0(VALU_DEP_2) | instskip(NEXT) | instid1(VALU_DEP_1)
	v_cndmask_b32_e64 v2, v2, 0xffffff82, vcc_lo
	v_add3_u32 v13, v93, v2, v9
	v_and_b32_e32 v2, 0x1fffff, v12
                                        ; implicit-def: $vgpr12
	s_delay_alu instid0(VALU_DEP_1) | instskip(NEXT) | instid1(VALU_DEP_1)
	v_dual_add_nc_u32 v92, 14, v13 :: v_dual_add_nc_u32 v2, v2, v8
                                        ; implicit-def: $vgpr8_vgpr9
	v_cmpx_ne_u32_e32 0, v92
	s_xor_b32 s14, exec_lo, s14
; %bb.2629:                             ;   in Loop: Header=BB2_2121 Depth=3
	s_delay_alu instid0(VALU_DEP_2) | instskip(SKIP_1) | instid1(VALU_DEP_1)
	v_cmp_lt_u64_e32 vcc_lo, 0xffffff, v[2:3]
	v_add_nc_u32_e32 v8, 15, v13
	v_cndmask_b32_e32 v12, v92, v8, vcc_lo
	v_cndmask_b32_e64 v8, 0, 1, vcc_lo
	s_delay_alu instid0(VALU_DEP_1)
	v_lshrrev_b64 v[8:9], v8, v[2:3]
; %bb.2630:                             ;   in Loop: Header=BB2_2121 Depth=3
	s_and_not1_saveexec_b32 s14, s14
; %bb.2631:                             ;   in Loop: Header=BB2_2121 Depth=3
	v_mov_b64_e32 v[8:9], v[2:3]
	v_bfe_u32 v12, v2, 23, 1
; %bb.2632:                             ;   in Loop: Header=BB2_2121 Depth=3
	s_or_b32 exec_lo, exec_lo, s14
	s_delay_alu instid0(VALU_DEP_2) | instskip(NEXT) | instid1(VALU_DEP_2)
	v_lshrrev_b64 v[8:9], 21, v[8:9]
	v_cmp_gt_i32_e32 vcc_lo, 32, v12
	v_min_i32_e32 v2, 31, v12
	v_cmp_eq_u32_e64 s14, 0, v12
	s_delay_alu instid0(VALU_DEP_2) | instskip(SKIP_1) | instid1(VALU_DEP_2)
	v_dual_cndmask_b32 v9, 0, v9 :: v_dual_lshlrev_b32 v2, 2, v2
	v_cndmask_b32_e32 v8, 3, v8, vcc_lo
	v_and_b32_e32 v2, 0xfc, v2
	s_delay_alu instid0(VALU_DEP_2) | instskip(NEXT) | instid1(VALU_DEP_2)
	v_cmp_eq_u64_e32 vcc_lo, 0, v[8:9]
	v_and_or_b32 v2, v8, 3, v2
	s_and_b32 s14, s14, vcc_lo
	s_delay_alu instid0(VALU_DEP_1) | instid1(SALU_CYCLE_1)
	v_cndmask_b32_e64 v2, v2, 0, s14
	s_delay_alu instid0(VALU_DEP_1)
	v_or_b32_e32 v12, v2, v91
.LBB2_2633:                             ;   in Loop: Header=BB2_2121 Depth=3
	s_or_b32 exec_lo, exec_lo, s43
                                        ; implicit-def: $vgpr91
.LBB2_2634:                             ;   in Loop: Header=BB2_2121 Depth=3
	s_and_not1_saveexec_b32 s14, s42
; %bb.2635:                             ;   in Loop: Header=BB2_2121 Depth=3
	v_or_b32_e32 v12, 0x7b, v91
; %bb.2636:                             ;   in Loop: Header=BB2_2121 Depth=3
	s_or_b32 exec_lo, exec_lo, s14
                                        ; implicit-def: $vgpr8
                                        ; implicit-def: $vgpr9
.LBB2_2637:                             ;   in Loop: Header=BB2_2121 Depth=3
	s_and_not1_saveexec_b32 s14, s15
	s_cbranch_execz .LBB2_2643
; %bb.2638:                             ;   in Loop: Header=BB2_2121 Depth=3
	s_mov_b32 s15, exec_lo
                                        ; implicit-def: $vgpr12
	v_cmpx_ne_u64_e32 0, v[2:3]
	s_xor_b32 s15, exec_lo, s15
; %bb.2639:                             ;   in Loop: Header=BB2_2121 Depth=3
	v_or_b32_e32 v12, 0x7f, v9
                                        ; implicit-def: $vgpr8
; %bb.2640:                             ;   in Loop: Header=BB2_2121 Depth=3
	s_and_not1_saveexec_b32 s15, s15
; %bb.2641:                             ;   in Loop: Header=BB2_2121 Depth=3
	v_cmp_lt_i32_e32 vcc_lo, -1, v8
	v_cndmask_b32_e32 v12, 0xfc, v110, vcc_lo
; %bb.2642:                             ;   in Loop: Header=BB2_2121 Depth=3
	s_or_b32 exec_lo, exec_lo, s15
.LBB2_2643:                             ;   in Loop: Header=BB2_2121 Depth=3
	s_delay_alu instid0(SALU_CYCLE_1)
	s_or_b32 exec_lo, exec_lo, s14
	v_mov_b32_e32 v8, 0
	s_mov_b32 s14, exec_lo
	v_cmpx_lt_u64_e64 s[22:23], v[14:15]
	s_cbranch_execz .LBB2_2653
; %bb.2644:                             ;   in Loop: Header=BB2_2121 Depth=3
	v_lshrrev_b32_e32 v2, 24, v15
	v_bfrev_b32_e32 v8, 1
	s_mov_b32 s15, exec_lo
	s_delay_alu instid0(VALU_DEP_2)
	v_cmpx_ne_u32_e32 0x80, v2
	s_cbranch_execz .LBB2_2652
; %bb.2645:                             ;   in Loop: Header=BB2_2121 Depth=3
	v_and_b32_e32 v8, 0x7c000000, v15
	v_bfe_u32 v9, v15, 24, 2
	s_delay_alu instid0(VALU_DEP_2) | instskip(SKIP_1) | instid1(SALU_CYCLE_1)
	v_cmp_ne_u32_e32 vcc_lo, 0x7c000000, v8
                                        ; implicit-def: $vgpr8
	s_and_saveexec_b32 s42, vcc_lo
	s_xor_b32 s42, exec_lo, s42
	s_cbranch_execz .LBB2_2649
; %bb.2646:                             ;   in Loop: Header=BB2_2121 Depth=3
	v_bfe_u32 v8, v15, 26, 5
	s_mov_b32 s43, exec_lo
	s_delay_alu instid0(VALU_DEP_1)
	v_cmpx_eq_u32_e32 0, v8
; %bb.2647:                             ;   in Loop: Header=BB2_2121 Depth=3
	v_clz_i32_u32_e32 v8, v9
	s_delay_alu instid0(VALU_DEP_1) | instskip(NEXT) | instid1(VALU_DEP_1)
	v_min_u32_e32 v8, 32, v8
	v_subrev_nc_u32_e32 v9, 29, v8
	v_sub_nc_u32_e32 v8, 30, v8
	s_delay_alu instid0(VALU_DEP_2) | instskip(NEXT) | instid1(VALU_DEP_1)
	v_lshlrev_b64_e32 v[92:93], v9, v[2:3]
	v_and_b32_e32 v9, 3, v92
; %bb.2648:                             ;   in Loop: Header=BB2_2121 Depth=3
	s_or_b32 exec_lo, exec_lo, s43
	v_and_b32_e32 v2, 0x80000000, v15
                                        ; implicit-def: $vgpr14_vgpr15
	s_delay_alu instid0(VALU_DEP_1) | instskip(NEXT) | instid1(VALU_DEP_1)
	v_lshl_add_u32 v2, v8, 23, v2
	v_lshl_or_b32 v2, v9, 21, v2
                                        ; implicit-def: $vgpr9
	s_delay_alu instid0(VALU_DEP_1)
	v_add_nc_u32_e32 v8, 0x38000000, v2
.LBB2_2649:                             ;   in Loop: Header=BB2_2121 Depth=3
	s_and_not1_saveexec_b32 s42, s42
; %bb.2650:                             ;   in Loop: Header=BB2_2121 Depth=3
	v_cmp_lt_i64_e32 vcc_lo, -1, v[14:15]
	v_cndmask_b32_e32 v2, 0xff800000, v109, vcc_lo
	v_cmp_eq_u32_e32 vcc_lo, 0, v9
	s_delay_alu instid0(VALU_DEP_2)
	v_cndmask_b32_e32 v8, 0x7f800001, v2, vcc_lo
; %bb.2651:                             ;   in Loop: Header=BB2_2121 Depth=3
	s_or_b32 exec_lo, exec_lo, s42
.LBB2_2652:                             ;   in Loop: Header=BB2_2121 Depth=3
	s_delay_alu instid0(SALU_CYCLE_1)
	s_or_b32 exec_lo, exec_lo, s15
.LBB2_2653:                             ;   in Loop: Header=BB2_2121 Depth=3
	s_delay_alu instid0(SALU_CYCLE_1) | instskip(SKIP_2) | instid1(VALU_DEP_2)
	s_or_b32 exec_lo, exec_lo, s14
	v_bfe_u32 v9, v11, 24, 2
	v_bfe_u32 v20, v11, 26, 5
	v_clz_i32_u32_e32 v2, v9
	s_delay_alu instid0(VALU_DEP_2) | instskip(NEXT) | instid1(VALU_DEP_2)
	v_cmp_eq_u32_e32 vcc_lo, 0, v20
	v_min_u32_e32 v13, 32, v2
	v_lshrrev_b32_e32 v2, 24, v11
	s_delay_alu instid0(VALU_DEP_2) | instskip(SKIP_1) | instid1(VALU_DEP_2)
	v_subrev_nc_u32_e32 v14, 29, v13
	v_sub_nc_u32_e32 v13, 30, v13
	v_lshlrev_b64_e32 v[14:15], v14, v[2:3]
	s_delay_alu instid0(VALU_DEP_2) | instskip(SKIP_1) | instid1(VALU_DEP_3)
	v_cndmask_b32_e32 v13, v20, v13, vcc_lo
	v_and_b32_e32 v15, 0x80000000, v11
	v_and_b32_e32 v14, 3, v14
	s_delay_alu instid0(VALU_DEP_2) | instskip(NEXT) | instid1(VALU_DEP_2)
	v_lshl_add_u32 v13, v13, 23, v15
	v_cndmask_b32_e32 v14, v9, v14, vcc_lo
	v_cmp_lt_i64_e32 vcc_lo, -1, v[10:11]
	s_delay_alu instid0(VALU_DEP_2) | instskip(SKIP_3) | instid1(VALU_DEP_4)
	v_lshl_or_b32 v13, v14, 21, v13
	v_and_b32_e32 v14, 0x7c000000, v11
	v_cndmask_b32_e32 v15, 0xff800000, v109, vcc_lo
	v_cmp_eq_u32_e32 vcc_lo, 0, v9
	v_add_nc_u32_e32 v13, 0x38000000, v13
	s_delay_alu instid0(VALU_DEP_3) | instskip(SKIP_1) | instid1(VALU_DEP_2)
	v_cndmask_b32_e32 v9, 0x7f800001, v15, vcc_lo
	v_cmp_eq_u32_e32 vcc_lo, 0x7c000000, v14
	v_cndmask_b32_e32 v9, v13, v9, vcc_lo
	v_cmp_ne_u32_e32 vcc_lo, 0x80, v2
	s_delay_alu instid0(VALU_DEP_2) | instskip(SKIP_1) | instid1(VALU_DEP_2)
	v_cndmask_b32_e32 v2, 0x80000000, v9, vcc_lo
	v_cmp_lt_u64_e32 vcc_lo, s[22:23], v[10:11]
	v_dual_mov_b32 v11, v3 :: v_dual_cndmask_b32 v2, 0, v2
	s_delay_alu instid0(VALU_DEP_1) | instskip(NEXT) | instid1(VALU_DEP_1)
	v_mul_f32_e32 v9, v2, v8
                                        ; implicit-def: $vgpr8
	v_and_b32_e32 v10, 0x7f800000, v9
	v_and_b32_e32 v2, 0x7fffff, v9
	s_delay_alu instid0(VALU_DEP_2) | instskip(SKIP_2) | instid1(SALU_CYCLE_1)
	v_cmp_ne_u64_e32 vcc_lo, 0x7f800000, v[10:11]
	v_lshrrev_b32_e32 v10, 24, v9
	s_and_saveexec_b32 s14, vcc_lo
	s_xor_b32 s15, exec_lo, s14
	s_cbranch_execz .LBB2_2667
; %bb.2654:                             ;   in Loop: Header=BB2_2121 Depth=3
	v_and_b32_e32 v14, 0x7fffffff, v9
	v_mov_b32_e32 v15, v3
	v_and_b32_e32 v13, 0x80, v10
                                        ; implicit-def: $vgpr8
	s_mov_b32 s14, exec_lo
	s_delay_alu instid0(VALU_DEP_2)
	v_cmpx_gt_u64_e32 0x47600001, v[14:15]
	s_xor_b32 s42, exec_lo, s14
	s_cbranch_execz .LBB2_2664
; %bb.2655:                             ;   in Loop: Header=BB2_2121 Depth=3
	v_mov_b32_e32 v8, 0
	s_mov_b32 s43, exec_lo
	v_cmpx_ne_u32_e32 0, v9
	s_cbranch_execz .LBB2_2663
; %bb.2656:                             ;   in Loop: Header=BB2_2121 Depth=3
	v_bfe_u32 v14, v9, 23, 8
	v_or_b32_e32 v10, 0x800000, v2
	s_delay_alu instid0(VALU_DEP_2) | instskip(SKIP_1) | instid1(VALU_DEP_2)
	v_sub_nc_u32_e32 v8, 0x71, v14
	v_cmp_gt_u32_e32 vcc_lo, 0x72, v14
	v_cndmask_b32_e32 v8, 0, v8, vcc_lo
	v_cmp_eq_u32_e32 vcc_lo, 0, v14
	s_delay_alu instid0(VALU_DEP_2) | instskip(NEXT) | instid1(VALU_DEP_1)
	v_cndmask_b32_e64 v15, v8, 0x70, vcc_lo
	v_dual_cndmask_b32 v2, v10, v2, vcc_lo :: v_dual_add_nc_u32 v8, 21, v15
	v_add_nc_u32_e32 v11, 20, v15
	s_delay_alu instid0(VALU_DEP_2) | instskip(NEXT) | instid1(VALU_DEP_2)
	v_lshlrev_b64_e64 v[8:9], v8, -1
	v_lshlrev_b64_e64 v[10:11], v11, 1
	s_delay_alu instid0(VALU_DEP_2) | instskip(NEXT) | instid1(VALU_DEP_3)
	v_bfi_b32 v93, v9, 0, 0
	v_bfi_b32 v92, v8, 0, v2
	v_lshrrev_b64 v[8:9], v15, v[2:3]
	s_delay_alu instid0(VALU_DEP_2) | instskip(NEXT) | instid1(VALU_DEP_2)
	v_cmp_eq_u64_e64 s14, v[92:93], v[10:11]
	v_mov_b64_e32 v[10:11], v[8:9]
	s_and_saveexec_b32 s74, s14
; %bb.2657:                             ;   in Loop: Header=BB2_2121 Depth=3
	v_bfe_u32 v2, v8, 21, 1
	s_delay_alu instid0(VALU_DEP_1) | instskip(NEXT) | instid1(VALU_DEP_1)
	v_add_nc_u64_e32 v[10:11], v[8:9], v[2:3]
	v_add_nc_u64_e32 v[10:11], -1, v[10:11]
; %bb.2658:                             ;   in Loop: Header=BB2_2121 Depth=3
	s_or_b32 exec_lo, exec_lo, s74
	v_add_nc_u32_e32 v2, 0xffffff81, v14
	v_lshrrev_b32_e32 v9, 23, v8
	s_mov_b32 s14, exec_lo
	s_delay_alu instid0(VALU_DEP_2) | instskip(NEXT) | instid1(VALU_DEP_1)
	v_cndmask_b32_e64 v2, v2, 0xffffff82, vcc_lo
	v_add3_u32 v11, v15, v2, v9
	v_and_b32_e32 v2, 0x1fffff, v10
                                        ; implicit-def: $vgpr10
	s_delay_alu instid0(VALU_DEP_1) | instskip(NEXT) | instid1(VALU_DEP_1)
	v_dual_add_nc_u32 v14, 14, v11 :: v_dual_add_nc_u32 v2, v2, v8
                                        ; implicit-def: $vgpr8_vgpr9
	v_cmpx_ne_u32_e32 0, v14
	s_xor_b32 s14, exec_lo, s14
; %bb.2659:                             ;   in Loop: Header=BB2_2121 Depth=3
	s_delay_alu instid0(VALU_DEP_2) | instskip(SKIP_1) | instid1(VALU_DEP_1)
	v_cmp_lt_u64_e32 vcc_lo, 0xffffff, v[2:3]
	v_add_nc_u32_e32 v8, 15, v11
	v_cndmask_b32_e32 v10, v14, v8, vcc_lo
	v_cndmask_b32_e64 v8, 0, 1, vcc_lo
	s_delay_alu instid0(VALU_DEP_1)
	v_lshrrev_b64 v[8:9], v8, v[2:3]
; %bb.2660:                             ;   in Loop: Header=BB2_2121 Depth=3
	s_and_not1_saveexec_b32 s14, s14
; %bb.2661:                             ;   in Loop: Header=BB2_2121 Depth=3
	v_mov_b64_e32 v[8:9], v[2:3]
	v_bfe_u32 v10, v2, 23, 1
; %bb.2662:                             ;   in Loop: Header=BB2_2121 Depth=3
	s_or_b32 exec_lo, exec_lo, s14
	s_delay_alu instid0(VALU_DEP_2) | instskip(NEXT) | instid1(VALU_DEP_2)
	v_lshrrev_b64 v[8:9], 21, v[8:9]
	v_cmp_gt_i32_e32 vcc_lo, 32, v10
	v_min_i32_e32 v2, 31, v10
	v_cmp_eq_u32_e64 s14, 0, v10
	s_delay_alu instid0(VALU_DEP_2) | instskip(SKIP_1) | instid1(VALU_DEP_2)
	v_dual_cndmask_b32 v9, 0, v9 :: v_dual_lshlrev_b32 v2, 2, v2
	v_cndmask_b32_e32 v8, 3, v8, vcc_lo
	v_and_b32_e32 v2, 0xfc, v2
	s_delay_alu instid0(VALU_DEP_2) | instskip(NEXT) | instid1(VALU_DEP_2)
	v_cmp_eq_u64_e32 vcc_lo, 0, v[8:9]
	v_and_or_b32 v2, v8, 3, v2
	s_and_b32 s14, s14, vcc_lo
	s_delay_alu instid0(VALU_DEP_1) | instid1(SALU_CYCLE_1)
	v_cndmask_b32_e64 v2, v2, 0, s14
	s_delay_alu instid0(VALU_DEP_1)
	v_or_b32_e32 v8, v2, v13
.LBB2_2663:                             ;   in Loop: Header=BB2_2121 Depth=3
	s_or_b32 exec_lo, exec_lo, s43
                                        ; implicit-def: $vgpr13
.LBB2_2664:                             ;   in Loop: Header=BB2_2121 Depth=3
	s_and_not1_saveexec_b32 s14, s42
; %bb.2665:                             ;   in Loop: Header=BB2_2121 Depth=3
	v_or_b32_e32 v8, 0x7b, v13
; %bb.2666:                             ;   in Loop: Header=BB2_2121 Depth=3
	s_or_b32 exec_lo, exec_lo, s14
                                        ; implicit-def: $vgpr9
                                        ; implicit-def: $vgpr10
.LBB2_2667:                             ;   in Loop: Header=BB2_2121 Depth=3
	s_and_not1_saveexec_b32 s14, s15
	s_cbranch_execz .LBB2_2673
; %bb.2668:                             ;   in Loop: Header=BB2_2121 Depth=3
	s_mov_b32 s15, exec_lo
                                        ; implicit-def: $vgpr8
	v_cmpx_ne_u64_e32 0, v[2:3]
	s_xor_b32 s15, exec_lo, s15
; %bb.2669:                             ;   in Loop: Header=BB2_2121 Depth=3
	v_or_b32_e32 v8, 0x7f, v10
                                        ; implicit-def: $vgpr9
; %bb.2670:                             ;   in Loop: Header=BB2_2121 Depth=3
	s_and_not1_saveexec_b32 s15, s15
; %bb.2671:                             ;   in Loop: Header=BB2_2121 Depth=3
	v_cmp_lt_i32_e32 vcc_lo, -1, v9
	v_cndmask_b32_e32 v8, 0xfc, v110, vcc_lo
; %bb.2672:                             ;   in Loop: Header=BB2_2121 Depth=3
	s_or_b32 exec_lo, exec_lo, s15
.LBB2_2673:                             ;   in Loop: Header=BB2_2121 Depth=3
	s_delay_alu instid0(SALU_CYCLE_1)
	s_or_b32 exec_lo, exec_lo, s14
	v_lshl_or_b32 v2, v73, 8, v72
	v_dual_lshlrev_b32 v9, 16, v62 :: v_dual_lshlrev_b32 v13, 16, v79
	v_dual_lshlrev_b32 v10, 24, v18 :: v_dual_lshlrev_b32 v14, 24, v88
	v_lshl_or_b32 v11, v78, 8, v75
	v_lshl_or_b32 v15, v63, 8, v19
	v_dual_lshlrev_b32 v18, 16, v89 :: v_dual_lshlrev_b32 v19, 24, v90
	v_lshlrev_b32_e32 v20, 24, v8
	v_lshlrev_b32_e32 v12, 16, v12
	v_lshl_or_b32 v21, v61, 8, v60
	v_or3_b32 v9, v2, v9, v10
	v_or3_b32 v8, v11, v13, v14
	v_or3_b32 v10, v15, v18, v19
	s_mov_b64 s[42:43], 0
	v_or3_b32 v11, v21, v12, v20
	s_mov_b32 s74, -1
.LBB2_2674:                             ;   Parent Loop BB2_47 Depth=1
                                        ;     Parent Loop BB2_2043 Depth=2
                                        ;       Parent Loop BB2_2121 Depth=3
                                        ; =>      This Inner Loop Header: Depth=4
	s_cmp_eq_u32 s42, 1
	s_cselect_b32 vcc_lo, -1, 0
	s_cmp_eq_u32 s42, 0
	s_wait_xcnt 0x0
	v_dual_cndmask_b32 v13, v45, v47 :: v_dual_cndmask_b32 v12, v44, v46
	s_cselect_b32 s14, -1, 0
	s_and_b32 s15, exec_lo, s74
	s_mov_b64 s[42:43], 1
	s_mov_b32 s74, 0
	v_add_nc_u64_e32 v[14:15], 0x200, v[12:13]
	global_store_b128 v[12:13], v[8:11], off th:TH_STORE_NT
	v_dual_cndmask_b32 v47, v47, v15 :: v_dual_cndmask_b32 v46, v46, v14
	v_dual_cndmask_b32 v45, v45, v15, s14 :: v_dual_cndmask_b32 v44, v44, v14, s14
	s_mov_b32 vcc_lo, s15
	s_cbranch_vccnz .LBB2_2674
; %bb.2675:                             ;   in Loop: Header=BB2_2121 Depth=3
	v_dual_sub_nc_u32 v115, v115, v66 :: v_dual_sub_nc_u32 v74, v74, v36
	v_add_nc_u64_e32 v[56:57], v[56:57], v[84:85]
	v_add_nc_u64_e32 v[58:59], v[58:59], v[84:85]
	;; [unrolled: 1-line block ×3, first 2 shown]
	s_delay_alu instid0(VALU_DEP_4)
	v_cmp_gt_i32_e32 vcc_lo, 16, v115
	v_add_nc_u64_e32 v[46:47], v[46:47], v[80:81]
	s_or_b32 s73, vcc_lo, s73
	s_wait_xcnt 0x0
	s_and_not1_b32 exec_lo, exec_lo, s73
	s_cbranch_execnz .LBB2_2121
	s_branch .LBB2_2700
.LBB2_2676:                             ;   in Loop: Header=BB2_2121 Depth=3
	s_or_saveexec_b32 s14, s14
	v_bfrev_b32_e32 v18, 1
	s_xor_b32 exec_lo, exec_lo, s14
	s_cbranch_execz .LBB2_2135
.LBB2_2677:                             ;   in Loop: Header=BB2_2121 Depth=3
	v_cmp_ne_u16_e32 vcc_lo, 0, v19
	v_mov_b32_e32 v18, 0
	s_and_not1_b32 s15, s15, exec_lo
	s_and_b32 s42, vcc_lo, exec_lo
	s_delay_alu instid0(SALU_CYCLE_1)
	s_or_b32 s15, s15, s42
	s_or_b32 exec_lo, exec_lo, s14
	s_and_saveexec_b32 s14, s15
	s_cbranch_execnz .LBB2_2136
	s_branch .LBB2_2137
.LBB2_2678:                             ;   in Loop: Header=BB2_2121 Depth=3
	s_or_saveexec_b32 s14, s14
	v_bfrev_b32_e32 v19, 1
	s_xor_b32 exec_lo, exec_lo, s14
	s_cbranch_execz .LBB2_2171
.LBB2_2679:                             ;   in Loop: Header=BB2_2121 Depth=3
	v_cmp_ne_u16_e32 vcc_lo, 0, v2
	v_mov_b32_e32 v19, 0
	s_and_not1_b32 s15, s15, exec_lo
	s_and_b32 s42, vcc_lo, exec_lo
	s_delay_alu instid0(SALU_CYCLE_1)
	s_or_b32 s15, s15, s42
	s_or_b32 exec_lo, exec_lo, s14
	s_and_saveexec_b32 s14, s15
	s_cbranch_execnz .LBB2_2172
	s_branch .LBB2_2173
.LBB2_2680:                             ;   in Loop: Header=BB2_2121 Depth=3
	s_or_saveexec_b32 s14, s14
	v_bfrev_b32_e32 v19, 1
	s_xor_b32 exec_lo, exec_lo, s14
	s_cbranch_execz .LBB2_2207
.LBB2_2681:                             ;   in Loop: Header=BB2_2121 Depth=3
	v_cmp_ne_u16_e32 vcc_lo, 0, v60
	v_mov_b32_e32 v19, 0
	s_and_not1_b32 s15, s15, exec_lo
	s_and_b32 s42, vcc_lo, exec_lo
	s_delay_alu instid0(SALU_CYCLE_1)
	s_or_b32 s15, s15, s42
	s_or_b32 exec_lo, exec_lo, s14
	s_and_saveexec_b32 s14, s15
	s_cbranch_execnz .LBB2_2208
	s_branch .LBB2_2209
.LBB2_2682:                             ;   in Loop: Header=BB2_2121 Depth=3
	s_or_saveexec_b32 s14, s14
	v_bfrev_b32_e32 v19, 1
	s_xor_b32 exec_lo, exec_lo, s14
	s_cbranch_execz .LBB2_2273
.LBB2_2683:                             ;   in Loop: Header=BB2_2121 Depth=3
	v_cmp_ne_u16_e32 vcc_lo, 0, v61
	v_mov_b32_e32 v19, 0
	s_and_not1_b32 s15, s15, exec_lo
	s_and_b32 s42, vcc_lo, exec_lo
	s_delay_alu instid0(SALU_CYCLE_1)
	s_or_b32 s15, s15, s42
	s_or_b32 exec_lo, exec_lo, s14
	v_mov_b32_e32 v61, v3
	s_and_saveexec_b32 s14, s15
	s_cbranch_execnz .LBB2_2274
	s_branch .LBB2_2275
.LBB2_2684:                             ;   in Loop: Header=BB2_2121 Depth=3
	s_or_saveexec_b32 s14, s14
	v_bfrev_b32_e32 v19, 1
	s_xor_b32 exec_lo, exec_lo, s14
	s_cbranch_execz .LBB2_2309
.LBB2_2685:                             ;   in Loop: Header=BB2_2121 Depth=3
	v_cmp_ne_u16_e32 vcc_lo, 0, v2
	v_mov_b32_e32 v19, 0
	s_and_not1_b32 s15, s15, exec_lo
	s_and_b32 s42, vcc_lo, exec_lo
	s_delay_alu instid0(SALU_CYCLE_1)
	s_or_b32 s15, s15, s42
	s_or_b32 exec_lo, exec_lo, s14
	s_and_saveexec_b32 s14, s15
	s_cbranch_execnz .LBB2_2310
	s_branch .LBB2_2311
.LBB2_2686:                             ;   in Loop: Header=BB2_2121 Depth=3
	s_or_saveexec_b32 s14, s14
	v_bfrev_b32_e32 v19, 1
	s_xor_b32 exec_lo, exec_lo, s14
	s_cbranch_execz .LBB2_2345
.LBB2_2687:                             ;   in Loop: Header=BB2_2121 Depth=3
	v_cmp_ne_u16_e32 vcc_lo, 0, v60
	v_mov_b32_e32 v19, 0
	s_and_not1_b32 s15, s15, exec_lo
	s_and_b32 s42, vcc_lo, exec_lo
	s_delay_alu instid0(SALU_CYCLE_1)
	s_or_b32 s15, s15, s42
	s_or_b32 exec_lo, exec_lo, s14
	s_and_saveexec_b32 s14, s15
	s_cbranch_execnz .LBB2_2346
	s_branch .LBB2_2347
.LBB2_2688:                             ;   in Loop: Header=BB2_2121 Depth=3
	s_or_saveexec_b32 s14, s14
	v_bfrev_b32_e32 v8, 1
	s_xor_b32 exec_lo, exec_lo, s14
	s_cbranch_execz .LBB2_2411
.LBB2_2689:                             ;   in Loop: Header=BB2_2121 Depth=3
	v_cmp_ne_u16_e32 vcc_lo, 0, v9
	v_mov_b32_e32 v8, 0
	s_and_not1_b32 s15, s15, exec_lo
	s_and_b32 s42, vcc_lo, exec_lo
	s_delay_alu instid0(SALU_CYCLE_1)
	s_or_b32 s15, s15, s42
	s_or_b32 exec_lo, exec_lo, s14
	s_and_saveexec_b32 s14, s15
	s_cbranch_execnz .LBB2_2412
	s_branch .LBB2_2413
.LBB2_2690:                             ;   in Loop: Header=BB2_2121 Depth=3
	s_or_saveexec_b32 s14, s14
	v_bfrev_b32_e32 v9, 1
	s_xor_b32 exec_lo, exec_lo, s14
	s_cbranch_execz .LBB2_2447
.LBB2_2691:                             ;   in Loop: Header=BB2_2121 Depth=3
	v_cmp_ne_u16_e32 vcc_lo, 0, v2
	v_mov_b32_e32 v9, 0
	s_and_not1_b32 s15, s15, exec_lo
	s_and_b32 s42, vcc_lo, exec_lo
	s_delay_alu instid0(SALU_CYCLE_1)
	s_or_b32 s15, s15, s42
	s_or_b32 exec_lo, exec_lo, s14
	s_and_saveexec_b32 s14, s15
	s_cbranch_execnz .LBB2_2448
	s_branch .LBB2_2449
.LBB2_2692:                             ;   in Loop: Header=BB2_2121 Depth=3
	s_or_saveexec_b32 s14, s14
	v_bfrev_b32_e32 v9, 1
	s_xor_b32 exec_lo, exec_lo, s14
	s_cbranch_execz .LBB2_2483
.LBB2_2693:                             ;   in Loop: Header=BB2_2121 Depth=3
	v_cmp_ne_u16_e32 vcc_lo, 0, v12
	v_mov_b32_e32 v9, 0
	s_and_not1_b32 s15, s15, exec_lo
	s_and_b32 s42, vcc_lo, exec_lo
	s_delay_alu instid0(SALU_CYCLE_1)
	s_or_b32 s15, s15, s42
	s_or_b32 exec_lo, exec_lo, s14
	s_and_saveexec_b32 s14, s15
	s_cbranch_execnz .LBB2_2484
	s_branch .LBB2_2485
.LBB2_2694:                             ;   in Loop: Header=BB2_2121 Depth=3
	s_or_saveexec_b32 s14, s14
	v_bfrev_b32_e32 v13, 1
	s_xor_b32 exec_lo, exec_lo, s14
	s_cbranch_execz .LBB2_2549
.LBB2_2695:                             ;   in Loop: Header=BB2_2121 Depth=3
	v_cmp_ne_u16_e32 vcc_lo, 0, v9
	v_mov_b32_e32 v13, 0
	s_and_not1_b32 s15, s15, exec_lo
	s_and_b32 s42, vcc_lo, exec_lo
	s_delay_alu instid0(SALU_CYCLE_1)
	s_or_b32 s15, s15, s42
	s_or_b32 exec_lo, exec_lo, s14
	v_mov_b32_e32 v9, v3
	s_and_saveexec_b32 s14, s15
	s_cbranch_execnz .LBB2_2550
	s_branch .LBB2_2551
.LBB2_2696:                             ;   in Loop: Header=BB2_2121 Depth=3
	s_or_saveexec_b32 s14, s14
	v_bfrev_b32_e32 v12, 1
	s_xor_b32 exec_lo, exec_lo, s14
	s_cbranch_execz .LBB2_2585
.LBB2_2697:                             ;   in Loop: Header=BB2_2121 Depth=3
	v_cmp_ne_u16_e32 vcc_lo, 0, v2
	v_mov_b32_e32 v12, 0
	s_and_not1_b32 s15, s15, exec_lo
	s_and_b32 s42, vcc_lo, exec_lo
	s_delay_alu instid0(SALU_CYCLE_1)
	s_or_b32 s15, s15, s42
	s_or_b32 exec_lo, exec_lo, s14
	s_and_saveexec_b32 s14, s15
	s_cbranch_execnz .LBB2_2586
	s_branch .LBB2_2587
.LBB2_2698:                             ;   in Loop: Header=BB2_2121 Depth=3
	s_or_saveexec_b32 s14, s14
	v_bfrev_b32_e32 v9, 1
	s_xor_b32 exec_lo, exec_lo, s14
	s_cbranch_execz .LBB2_2621
.LBB2_2699:                             ;   in Loop: Header=BB2_2121 Depth=3
	v_cmp_ne_u16_e32 vcc_lo, 0, v12
	v_mov_b32_e32 v9, 0
	s_and_not1_b32 s15, s15, exec_lo
	s_and_b32 s42, vcc_lo, exec_lo
	s_delay_alu instid0(SALU_CYCLE_1)
	s_or_b32 s15, s15, s42
	s_or_b32 exec_lo, exec_lo, s14
	s_and_saveexec_b32 s14, s15
	s_cbranch_execnz .LBB2_2622
	s_branch .LBB2_2623
.LBB2_2700:                             ;   in Loop: Header=BB2_2043 Depth=2
	s_or_b32 exec_lo, exec_lo, s73
.LBB2_2701:                             ;   in Loop: Header=BB2_2043 Depth=2
	s_delay_alu instid0(SALU_CYCLE_1) | instskip(SKIP_3) | instid1(VALU_DEP_1)
	s_or_b32 exec_lo, exec_lo, s72
	v_dual_mov_b32 v124, 0 :: v_dual_bitop2_b32 v8, 15, v113 bitop3:0x40
	s_mov_b32 s14, 0
	s_mov_b32 s72, exec_lo
                                        ; implicit-def: $vgpr125
                                        ; implicit-def: $vgpr126
                                        ; implicit-def: $vgpr2
	v_cndmask_b32_e64 v115, v76, v8, s13
	s_delay_alu instid0(VALU_DEP_1)
	v_cmpx_ne_u32_e32 0, v115
	s_cbranch_execz .LBB2_3287
; %bb.2702:                             ;   in Loop: Header=BB2_2043 Depth=2
	v_cmp_lt_i32_e32 vcc_lo, 0, v74
	s_mov_b32 s73, exec_lo
	v_dual_ashrrev_i32 v10, 31, v115 :: v_dual_sub_nc_u32 v8, v76, v8
	s_delay_alu instid0(VALU_DEP_1) | instskip(NEXT) | instid1(VALU_DEP_1)
	v_dual_cndmask_b32 v2, 0, v36, vcc_lo :: v_dual_lshrrev_b32 v10, 23, v10
	v_dual_cndmask_b32 v8, 0, v8, s13 :: v_dual_sub_nc_u32 v2, v2, v74
	s_delay_alu instid0(VALU_DEP_1) | instskip(NEXT) | instid1(VALU_DEP_2)
	v_add_nc_u32_e32 v77, v8, v77
	v_lshl_add_u32 v2, v2, 5, v121
	s_delay_alu instid0(VALU_DEP_1) | instskip(NEXT) | instid1(VALU_DEP_1)
	v_ashrrev_i32_e32 v9, 31, v2
	v_lshrrev_b32_e32 v9, 27, v9
	s_delay_alu instid0(VALU_DEP_1) | instskip(NEXT) | instid1(VALU_DEP_1)
	v_dual_add_nc_u32 v9, v2, v9 :: v_dual_add_nc_u32 v10, v115, v10
	v_and_b32_e32 v11, 0xffffffe0, v9
	v_ashrrev_i32_e32 v9, 5, v9
	s_delay_alu instid0(VALU_DEP_3) | instskip(NEXT) | instid1(VALU_DEP_3)
	v_and_b32_e32 v74, 0xfffffe00, v10
	v_dual_ashrrev_i32 v10, 9, v10 :: v_dual_sub_nc_u32 v75, v2, v11
	s_delay_alu instid0(VALU_DEP_1) | instskip(NEXT) | instid1(VALU_DEP_1)
	v_dual_sub_nc_u32 v76, v115, v74 :: v_dual_lshlrev_b32 v2, 4, v75
	v_cmp_lt_i32_e64 s13, 15, v76
	s_delay_alu instid0(VALU_DEP_2) | instskip(NEXT) | instid1(VALU_DEP_2)
	v_lshl_add_u32 v2, v9, 9, v2
	v_add_co_ci_u32_e64 v10, null, 0, v10, s13
	s_delay_alu instid0(VALU_DEP_1) | instskip(NEXT) | instid1(VALU_DEP_1)
	v_dual_sub_nc_u32 v79, v115, v2 :: v_dual_sub_nc_u32 v78, v10, v9
	v_cmpx_lt_i32_e32 15, v79
	s_cbranch_execz .LBB2_3284
; %bb.2703:                             ;   in Loop: Header=BB2_2043 Depth=2
	s_trap 2
	ds_load_b64 v[8:9], v0
	v_add_nc_u32_e32 v10, v2, v77
	s_mov_b32 s74, 0
	s_delay_alu instid0(VALU_DEP_1) | instskip(NEXT) | instid1(VALU_DEP_1)
	v_ashrrev_i32_e32 v11, 31, v10
	v_add_nc_u64_e32 v[44:45], v[10:11], v[40:41]
	v_add_nc_u64_e32 v[46:47], v[10:11], v[42:43]
	;; [unrolled: 1-line block ×3, first 2 shown]
	s_wait_dscnt 0x0
	v_add_nc_u64_e32 v[58:59], v[8:9], v[10:11]
.LBB2_2704:                             ;   Parent Loop BB2_47 Depth=1
                                        ;     Parent Loop BB2_2043 Depth=2
                                        ; =>    This Loop Header: Depth=3
                                        ;         Child Loop BB2_3257 Depth 4
	global_load_b128 v[12:15], v[56:57], off th:TH_LOAD_NT
	global_load_b128 v[8:11], v[58:59], off th:TH_LOAD_NT
	s_wait_loadcnt 0x1
	v_and_b32_e32 v2, 0xff, v12
	s_delay_alu instid0(VALU_DEP_1)
	v_cmp_ne_u16_e32 vcc_lo, 0, v2
	v_mov_b32_e32 v2, 0
	s_wait_xcnt 0x0
	s_and_saveexec_b32 s14, vcc_lo
	s_cbranch_execz .LBB2_2714
; %bb.2705:                             ;   in Loop: Header=BB2_2704 Depth=3
	v_bfe_i32 v19, v12, 0, 8
	v_bfrev_b32_e32 v2, 1
	s_mov_b32 s15, exec_lo
	s_delay_alu instid0(VALU_DEP_2)
	v_cmpx_ne_u16_e32 0xff80, v19
	s_cbranch_execz .LBB2_2713
; %bb.2706:                             ;   in Loop: Header=BB2_2704 Depth=3
	v_and_b32_e32 v2, 0x7c, v12
	v_and_b32_e32 v18, 3, v12
	s_delay_alu instid0(VALU_DEP_2) | instskip(SKIP_1) | instid1(SALU_CYCLE_1)
	v_cmp_ne_u32_e32 vcc_lo, 0x7c, v2
                                        ; implicit-def: $vgpr2
	s_and_saveexec_b32 s42, vcc_lo
	s_xor_b32 s42, exec_lo, s42
	s_cbranch_execz .LBB2_2710
; %bb.2707:                             ;   in Loop: Header=BB2_2704 Depth=3
	v_bfe_u32 v2, v12, 2, 5
	s_mov_b32 s43, exec_lo
	s_delay_alu instid0(VALU_DEP_1)
	v_cmpx_eq_u32_e32 0, v2
; %bb.2708:                             ;   in Loop: Header=BB2_2704 Depth=3
	v_clz_i32_u32_e32 v2, v18
	s_delay_alu instid0(VALU_DEP_1) | instskip(NEXT) | instid1(VALU_DEP_1)
	v_min_u32_e32 v2, 32, v2
	v_subrev_nc_u32_e32 v18, 29, v2
	v_sub_nc_u32_e32 v2, 30, v2
	s_delay_alu instid0(VALU_DEP_2) | instskip(NEXT) | instid1(VALU_DEP_1)
	v_lshlrev_b64_e32 v[18:19], v18, v[12:13]
	v_and_b32_e32 v18, 3, v18
; %bb.2709:                             ;   in Loop: Header=BB2_2704 Depth=3
	s_or_b32 exec_lo, exec_lo, s43
	v_lshlrev_b32_e32 v19, 24, v12
	s_delay_alu instid0(VALU_DEP_1) | instskip(NEXT) | instid1(VALU_DEP_1)
	v_and_b32_e32 v19, 0x80000000, v19
	v_lshl_add_u32 v2, v2, 23, v19
                                        ; implicit-def: $vgpr19
	s_delay_alu instid0(VALU_DEP_1) | instskip(NEXT) | instid1(VALU_DEP_1)
	v_lshl_or_b32 v2, v18, 21, v2
                                        ; implicit-def: $vgpr18
	v_add_nc_u32_e32 v2, 0x38000000, v2
.LBB2_2710:                             ;   in Loop: Header=BB2_2704 Depth=3
	s_and_not1_saveexec_b32 s42, s42
; %bb.2711:                             ;   in Loop: Header=BB2_2704 Depth=3
	v_cmp_lt_i16_e32 vcc_lo, -1, v19
	v_cndmask_b32_e32 v2, 0xff800000, v109, vcc_lo
	v_cmp_eq_u32_e32 vcc_lo, 0, v18
	s_delay_alu instid0(VALU_DEP_2)
	v_cndmask_b32_e32 v2, 0x7f800001, v2, vcc_lo
; %bb.2712:                             ;   in Loop: Header=BB2_2704 Depth=3
	s_or_b32 exec_lo, exec_lo, s42
.LBB2_2713:                             ;   in Loop: Header=BB2_2704 Depth=3
	s_delay_alu instid0(SALU_CYCLE_1)
	s_or_b32 exec_lo, exec_lo, s15
.LBB2_2714:                             ;   in Loop: Header=BB2_2704 Depth=3
	s_delay_alu instid0(SALU_CYCLE_1) | instskip(SKIP_4) | instid1(VALU_DEP_1)
	s_or_b32 exec_lo, exec_lo, s14
	s_wait_loadcnt 0x0
	v_and_b32_e32 v19, 0xff, v8
	s_mov_b32 s15, 0
	s_mov_b32 s14, exec_lo
	v_cmpx_lt_i16_e32 0x7f, v19
	s_xor_b32 s14, exec_lo, s14
	s_cbranch_execz .LBB2_3259
; %bb.2715:                             ;   in Loop: Header=BB2_2704 Depth=3
	s_mov_b32 s15, -1
	s_mov_b32 s42, exec_lo
	v_cmpx_eq_u16_e32 0x80, v19
; %bb.2716:                             ;   in Loop: Header=BB2_2704 Depth=3
	s_xor_b32 s15, exec_lo, -1
; %bb.2717:                             ;   in Loop: Header=BB2_2704 Depth=3
	s_or_b32 exec_lo, exec_lo, s42
	s_delay_alu instid0(SALU_CYCLE_1)
	s_and_b32 s15, s15, exec_lo
                                        ; implicit-def: $vgpr19
	s_or_saveexec_b32 s14, s14
	v_bfrev_b32_e32 v18, 1
	s_xor_b32 exec_lo, exec_lo, s14
	s_cbranch_execnz .LBB2_3260
.LBB2_2718:                             ;   in Loop: Header=BB2_2704 Depth=3
	s_or_b32 exec_lo, exec_lo, s14
	s_and_saveexec_b32 s14, s15
	s_cbranch_execz .LBB2_2720
.LBB2_2719:                             ;   in Loop: Header=BB2_2704 Depth=3
	v_and_b32_e32 v20, 3, v8
	v_bfe_u32 v60, v8, 2, 5
	s_delay_alu instid0(VALU_DEP_2) | instskip(NEXT) | instid1(VALU_DEP_2)
	v_clz_i32_u32_e32 v18, v20
	v_cmp_eq_u32_e32 vcc_lo, 0, v60
	s_delay_alu instid0(VALU_DEP_2) | instskip(NEXT) | instid1(VALU_DEP_1)
	v_min_u32_e32 v21, 32, v18
	v_subrev_nc_u32_e32 v18, 29, v21
	s_delay_alu instid0(VALU_DEP_1) | instskip(SKIP_1) | instid1(VALU_DEP_1)
	v_lshlrev_b64_e32 v[18:19], v18, v[8:9]
	v_dual_lshlrev_b32 v19, 24, v8 :: v_dual_sub_nc_u32 v21, 30, v21
	v_and_b32_e32 v19, 0x80000000, v19
	s_delay_alu instid0(VALU_DEP_2) | instskip(SKIP_1) | instid1(VALU_DEP_2)
	v_dual_cndmask_b32 v21, v60, v21, vcc_lo :: v_dual_bitop2_b32 v18, 3, v18 bitop3:0x40
	v_bfe_i32 v60, v8, 0, 8
	v_cndmask_b32_e32 v18, v20, v18, vcc_lo
	s_delay_alu instid0(VALU_DEP_3) | instskip(NEXT) | instid1(VALU_DEP_3)
	v_lshl_add_u32 v19, v21, 23, v19
	v_cmp_lt_i16_e32 vcc_lo, -1, v60
	s_delay_alu instid0(VALU_DEP_2) | instskip(SKIP_3) | instid1(VALU_DEP_4)
	v_lshl_or_b32 v18, v18, 21, v19
	v_cndmask_b32_e32 v21, 0xff800000, v109, vcc_lo
	v_and_b32_e32 v19, 0x7c, v8
	v_cmp_eq_u32_e32 vcc_lo, 0, v20
	v_add_nc_u32_e32 v18, 0x38000000, v18
	s_delay_alu instid0(VALU_DEP_4) | instskip(NEXT) | instid1(VALU_DEP_4)
	v_cndmask_b32_e32 v20, 0x7f800001, v21, vcc_lo
	v_cmp_eq_u32_e32 vcc_lo, 0x7c, v19
	s_delay_alu instid0(VALU_DEP_2)
	v_cndmask_b32_e32 v18, v18, v20, vcc_lo
.LBB2_2720:                             ;   in Loop: Header=BB2_2704 Depth=3
	s_or_b32 exec_lo, exec_lo, s14
	s_delay_alu instid0(VALU_DEP_1) | instskip(SKIP_1) | instid1(VALU_DEP_1)
	v_dual_mul_f32 v19, v2, v18 :: v_dual_mov_b32 v61, v3
                                        ; implicit-def: $vgpr88
	s_mov_b32 s14, exec_lo
	v_and_b32_e32 v60, 0x7f800000, v19
	v_and_b32_e32 v2, 0x7fffff, v19
	v_lshrrev_b32_e32 v18, 24, v19
	s_delay_alu instid0(VALU_DEP_3)
	v_cmpx_ne_u64_e32 0x7f800000, v[60:61]
	s_xor_b32 s15, exec_lo, s14
	s_cbranch_execz .LBB2_2734
; %bb.2721:                             ;   in Loop: Header=BB2_2704 Depth=3
	v_and_b32_e32 v60, 0x7fffffff, v19
	v_mov_b32_e32 v61, v3
	v_and_b32_e32 v18, 0x80, v18
                                        ; implicit-def: $vgpr88
	s_mov_b32 s14, exec_lo
	s_delay_alu instid0(VALU_DEP_2)
	v_cmpx_gt_u64_e32 0x47600001, v[60:61]
	s_xor_b32 s42, exec_lo, s14
	s_cbranch_execz .LBB2_2731
; %bb.2722:                             ;   in Loop: Header=BB2_2704 Depth=3
	v_mov_b32_e32 v88, 0
	s_mov_b32 s43, exec_lo
	v_cmpx_ne_u32_e32 0, v19
	s_cbranch_execz .LBB2_2730
; %bb.2723:                             ;   in Loop: Header=BB2_2704 Depth=3
	v_bfe_u32 v19, v19, 23, 8
	v_or_b32_e32 v21, 0x800000, v2
	s_delay_alu instid0(VALU_DEP_2) | instskip(SKIP_1) | instid1(VALU_DEP_2)
	v_sub_nc_u32_e32 v20, 0x71, v19
	v_cmp_gt_u32_e32 vcc_lo, 0x72, v19
	v_cndmask_b32_e32 v20, 0, v20, vcc_lo
	v_cmp_eq_u32_e32 vcc_lo, 0, v19
	v_cndmask_b32_e32 v2, v21, v2, vcc_lo
	s_delay_alu instid0(VALU_DEP_3) | instskip(NEXT) | instid1(VALU_DEP_1)
	v_cndmask_b32_e64 v72, v20, 0x70, vcc_lo
	v_add_nc_u32_e32 v20, 21, v72
	s_delay_alu instid0(VALU_DEP_1) | instskip(SKIP_1) | instid1(VALU_DEP_1)
	v_lshlrev_b64_e64 v[60:61], v20, -1
	v_add_nc_u32_e32 v20, 20, v72
	v_lshlrev_b64_e64 v[62:63], v20, 1
	s_delay_alu instid0(VALU_DEP_3) | instskip(NEXT) | instid1(VALU_DEP_4)
	v_bfi_b32 v89, v61, 0, 0
	v_bfi_b32 v88, v60, 0, v2
	v_lshrrev_b64 v[60:61], v72, v[2:3]
	s_delay_alu instid0(VALU_DEP_2) | instskip(NEXT) | instid1(VALU_DEP_2)
	v_cmp_eq_u64_e64 s14, v[88:89], v[62:63]
	v_mov_b64_e32 v[62:63], v[60:61]
	s_and_saveexec_b32 s75, s14
; %bb.2724:                             ;   in Loop: Header=BB2_2704 Depth=3
	v_bfe_u32 v2, v60, 21, 1
	s_delay_alu instid0(VALU_DEP_1) | instskip(NEXT) | instid1(VALU_DEP_1)
	v_add_nc_u64_e32 v[62:63], v[60:61], v[2:3]
	v_add_nc_u64_e32 v[62:63], -1, v[62:63]
; %bb.2725:                             ;   in Loop: Header=BB2_2704 Depth=3
	s_or_b32 exec_lo, exec_lo, s75
	v_add_nc_u32_e32 v2, 0xffffff81, v19
	v_lshrrev_b32_e32 v19, 23, v60
	s_mov_b32 s14, exec_lo
	s_delay_alu instid0(VALU_DEP_2) | instskip(NEXT) | instid1(VALU_DEP_1)
	v_cndmask_b32_e64 v2, v2, 0xffffff82, vcc_lo
	v_add3_u32 v63, v72, v2, v19
	v_and_b32_e32 v2, 0x1fffff, v62
                                        ; implicit-def: $vgpr19
	s_delay_alu instid0(VALU_DEP_1) | instskip(NEXT) | instid1(VALU_DEP_1)
	v_dual_add_nc_u32 v62, 14, v63 :: v_dual_add_nc_u32 v2, v2, v60
                                        ; implicit-def: $vgpr60_vgpr61
	v_cmpx_ne_u32_e32 0, v62
	s_xor_b32 s14, exec_lo, s14
; %bb.2726:                             ;   in Loop: Header=BB2_2704 Depth=3
	s_delay_alu instid0(VALU_DEP_2) | instskip(SKIP_2) | instid1(VALU_DEP_2)
	v_cmp_lt_u64_e32 vcc_lo, 0xffffff, v[2:3]
	v_add_nc_u32_e32 v19, 15, v63
	v_cndmask_b32_e64 v20, 0, 1, vcc_lo
	v_cndmask_b32_e32 v19, v62, v19, vcc_lo
	s_delay_alu instid0(VALU_DEP_2)
	v_lshrrev_b64 v[60:61], v20, v[2:3]
; %bb.2727:                             ;   in Loop: Header=BB2_2704 Depth=3
	s_and_not1_saveexec_b32 s14, s14
; %bb.2728:                             ;   in Loop: Header=BB2_2704 Depth=3
	v_mov_b64_e32 v[60:61], v[2:3]
	v_bfe_u32 v19, v2, 23, 1
; %bb.2729:                             ;   in Loop: Header=BB2_2704 Depth=3
	s_or_b32 exec_lo, exec_lo, s14
	s_delay_alu instid0(VALU_DEP_2) | instskip(NEXT) | instid1(VALU_DEP_2)
	v_lshrrev_b64 v[60:61], 21, v[60:61]
	v_cmp_gt_i32_e32 vcc_lo, 32, v19
	v_min_i32_e32 v2, 31, v19
	v_cmp_eq_u32_e64 s14, 0, v19
	s_delay_alu instid0(VALU_DEP_2) | instskip(SKIP_1) | instid1(VALU_DEP_2)
	v_dual_cndmask_b32 v61, 0, v61 :: v_dual_lshlrev_b32 v2, 2, v2
	v_cndmask_b32_e32 v60, 3, v60, vcc_lo
	v_and_b32_e32 v2, 0xfc, v2
	s_delay_alu instid0(VALU_DEP_2) | instskip(NEXT) | instid1(VALU_DEP_2)
	v_cmp_eq_u64_e32 vcc_lo, 0, v[60:61]
	v_and_or_b32 v2, v60, 3, v2
	s_and_b32 s14, s14, vcc_lo
	s_delay_alu instid0(VALU_DEP_1) | instid1(SALU_CYCLE_1)
	v_cndmask_b32_e64 v2, v2, 0, s14
	s_delay_alu instid0(VALU_DEP_1)
	v_or_b32_e32 v88, v2, v18
.LBB2_2730:                             ;   in Loop: Header=BB2_2704 Depth=3
	s_or_b32 exec_lo, exec_lo, s43
                                        ; implicit-def: $vgpr18
.LBB2_2731:                             ;   in Loop: Header=BB2_2704 Depth=3
	s_and_not1_saveexec_b32 s14, s42
; %bb.2732:                             ;   in Loop: Header=BB2_2704 Depth=3
	v_or_b32_e32 v88, 0x7b, v18
; %bb.2733:                             ;   in Loop: Header=BB2_2704 Depth=3
	s_or_b32 exec_lo, exec_lo, s14
                                        ; implicit-def: $vgpr19
                                        ; implicit-def: $vgpr18
.LBB2_2734:                             ;   in Loop: Header=BB2_2704 Depth=3
	s_and_not1_saveexec_b32 s14, s15
	s_cbranch_execz .LBB2_2740
; %bb.2735:                             ;   in Loop: Header=BB2_2704 Depth=3
	s_mov_b32 s15, exec_lo
                                        ; implicit-def: $vgpr88
	v_cmpx_ne_u64_e32 0, v[2:3]
	s_xor_b32 s15, exec_lo, s15
; %bb.2736:                             ;   in Loop: Header=BB2_2704 Depth=3
	v_or_b32_e32 v88, 0x7f, v18
                                        ; implicit-def: $vgpr19
; %bb.2737:                             ;   in Loop: Header=BB2_2704 Depth=3
	s_and_not1_saveexec_b32 s15, s15
; %bb.2738:                             ;   in Loop: Header=BB2_2704 Depth=3
	v_cmp_lt_i32_e32 vcc_lo, -1, v19
	v_cndmask_b32_e32 v88, 0xfc, v110, vcc_lo
; %bb.2739:                             ;   in Loop: Header=BB2_2704 Depth=3
	s_or_b32 exec_lo, exec_lo, s15
.LBB2_2740:                             ;   in Loop: Header=BB2_2704 Depth=3
	s_delay_alu instid0(SALU_CYCLE_1) | instskip(SKIP_3) | instid1(VALU_DEP_2)
	s_or_b32 exec_lo, exec_lo, s14
	v_lshrrev_b16 v2, 8, v12
	v_mov_b32_e32 v18, 0
	s_mov_b32 s14, exec_lo
	v_cmpx_ne_u16_e32 0, v2
	s_cbranch_execz .LBB2_2750
; %bb.2741:                             ;   in Loop: Header=BB2_2704 Depth=3
	v_bfrev_b32_e32 v18, 1
	s_mov_b32 s15, exec_lo
	v_cmpx_ne_u16_e32 0x80, v2
	s_cbranch_execz .LBB2_2749
; %bb.2742:                             ;   in Loop: Header=BB2_2704 Depth=3
	v_and_b32_e32 v60, 0xffff, v2
	s_delay_alu instid0(VALU_DEP_1) | instskip(SKIP_1) | instid1(VALU_DEP_2)
	v_and_b32_e32 v18, 0x7c, v60
	v_and_b32_e32 v19, 3, v60
	v_cmp_ne_u32_e32 vcc_lo, 0x7c, v18
                                        ; implicit-def: $vgpr18
	s_and_saveexec_b32 s42, vcc_lo
	s_delay_alu instid0(SALU_CYCLE_1)
	s_xor_b32 s42, exec_lo, s42
	s_cbranch_execz .LBB2_2746
; %bb.2743:                             ;   in Loop: Header=BB2_2704 Depth=3
	v_bfe_u32 v18, v60, 2, 5
	s_mov_b32 s43, exec_lo
	s_delay_alu instid0(VALU_DEP_1)
	v_cmpx_eq_u32_e32 0, v18
; %bb.2744:                             ;   in Loop: Header=BB2_2704 Depth=3
	v_clz_i32_u32_e32 v18, v19
	s_delay_alu instid0(VALU_DEP_1) | instskip(NEXT) | instid1(VALU_DEP_1)
	v_min_u32_e32 v18, 32, v18
	v_subrev_nc_u32_e32 v19, 29, v18
	s_delay_alu instid0(VALU_DEP_1) | instskip(NEXT) | instid1(VALU_DEP_1)
	v_lshlrev_b64_e32 v[60:61], v19, v[2:3]
	v_dual_sub_nc_u32 v18, 30, v18 :: v_dual_bitop2_b32 v19, 3, v60 bitop3:0x40
; %bb.2745:                             ;   in Loop: Header=BB2_2704 Depth=3
	s_or_b32 exec_lo, exec_lo, s43
	v_lshlrev_b32_e32 v2, 16, v12
	s_delay_alu instid0(VALU_DEP_1) | instskip(NEXT) | instid1(VALU_DEP_1)
	v_and_b32_e32 v2, 0x80000000, v2
	v_lshl_add_u32 v2, v18, 23, v2
	s_delay_alu instid0(VALU_DEP_1) | instskip(NEXT) | instid1(VALU_DEP_1)
	v_lshl_or_b32 v2, v19, 21, v2
                                        ; implicit-def: $vgpr19
	v_add_nc_u32_e32 v18, 0x38000000, v2
.LBB2_2746:                             ;   in Loop: Header=BB2_2704 Depth=3
	s_and_not1_saveexec_b32 s42, s42
; %bb.2747:                             ;   in Loop: Header=BB2_2704 Depth=3
	v_cmp_lt_i16_e32 vcc_lo, -1, v12
	v_cndmask_b32_e32 v2, 0xff800000, v109, vcc_lo
	v_cmp_eq_u32_e32 vcc_lo, 0, v19
	s_delay_alu instid0(VALU_DEP_2)
	v_cndmask_b32_e32 v18, 0x7f800001, v2, vcc_lo
; %bb.2748:                             ;   in Loop: Header=BB2_2704 Depth=3
	s_or_b32 exec_lo, exec_lo, s42
.LBB2_2749:                             ;   in Loop: Header=BB2_2704 Depth=3
	s_delay_alu instid0(SALU_CYCLE_1)
	s_or_b32 exec_lo, exec_lo, s15
.LBB2_2750:                             ;   in Loop: Header=BB2_2704 Depth=3
	s_delay_alu instid0(SALU_CYCLE_1) | instskip(SKIP_3) | instid1(VALU_DEP_1)
	s_or_b32 exec_lo, exec_lo, s14
	v_lshrrev_b16 v2, 8, v8
	s_mov_b32 s15, 0
	s_mov_b32 s14, exec_lo
	v_cmpx_lt_i16_e32 0x7f, v2
	s_xor_b32 s14, exec_lo, s14
	s_cbranch_execz .LBB2_3261
; %bb.2751:                             ;   in Loop: Header=BB2_2704 Depth=3
	s_mov_b32 s15, -1
	s_mov_b32 s42, exec_lo
	v_cmpx_eq_u16_e32 0x80, v2
; %bb.2752:                             ;   in Loop: Header=BB2_2704 Depth=3
	s_xor_b32 s15, exec_lo, -1
; %bb.2753:                             ;   in Loop: Header=BB2_2704 Depth=3
	s_or_b32 exec_lo, exec_lo, s42
	s_delay_alu instid0(SALU_CYCLE_1)
	s_and_b32 s15, s15, exec_lo
	s_or_saveexec_b32 s14, s14
	v_bfrev_b32_e32 v19, 1
	s_xor_b32 exec_lo, exec_lo, s14
	s_cbranch_execnz .LBB2_3262
.LBB2_2754:                             ;   in Loop: Header=BB2_2704 Depth=3
	s_or_b32 exec_lo, exec_lo, s14
	s_and_saveexec_b32 s14, s15
	s_cbranch_execz .LBB2_2756
.LBB2_2755:                             ;   in Loop: Header=BB2_2704 Depth=3
	v_and_b32_e32 v19, 0xffff, v2
	s_delay_alu instid0(VALU_DEP_1) | instskip(NEXT) | instid1(VALU_DEP_1)
	v_and_b32_e32 v20, 3, v19
	v_clz_i32_u32_e32 v21, v20
	s_delay_alu instid0(VALU_DEP_1) | instskip(NEXT) | instid1(VALU_DEP_1)
	v_min_u32_e32 v21, 32, v21
	v_subrev_nc_u32_e32 v60, 29, v21
	s_delay_alu instid0(VALU_DEP_1) | instskip(SKIP_3) | instid1(VALU_DEP_3)
	v_lshlrev_b64_e32 v[60:61], v60, v[2:3]
	v_bfe_u32 v61, v19, 2, 5
	v_dual_lshlrev_b32 v2, 24, v2 :: v_dual_sub_nc_u32 v21, 30, v21
	v_and_b32_e32 v19, 0x7c, v19
	v_cmp_eq_u32_e32 vcc_lo, 0, v61
	s_delay_alu instid0(VALU_DEP_3) | instskip(NEXT) | instid1(VALU_DEP_4)
	v_and_b32_e32 v2, 0x80000000, v2
	v_dual_cndmask_b32 v21, v61, v21, vcc_lo :: v_dual_bitop2_b32 v60, 3, v60 bitop3:0x40
	s_delay_alu instid0(VALU_DEP_1) | instskip(SKIP_1) | instid1(VALU_DEP_3)
	v_cndmask_b32_e32 v60, v20, v60, vcc_lo
	v_cmp_lt_i16_e32 vcc_lo, -1, v8
	v_lshl_add_u32 v2, v21, 23, v2
	v_cndmask_b32_e32 v21, 0xff800000, v109, vcc_lo
	v_cmp_eq_u32_e32 vcc_lo, 0, v20
	s_delay_alu instid0(VALU_DEP_3) | instskip(NEXT) | instid1(VALU_DEP_3)
	v_lshl_or_b32 v2, v60, 21, v2
	v_cndmask_b32_e32 v20, 0x7f800001, v21, vcc_lo
	s_delay_alu instid0(VALU_DEP_2) | instskip(SKIP_1) | instid1(VALU_DEP_2)
	v_add_nc_u32_e32 v2, 0x38000000, v2
	v_cmp_eq_u32_e32 vcc_lo, 0x7c, v19
	v_cndmask_b32_e32 v19, v2, v20, vcc_lo
.LBB2_2756:                             ;   in Loop: Header=BB2_2704 Depth=3
	s_or_b32 exec_lo, exec_lo, s14
	s_delay_alu instid0(VALU_DEP_1) | instskip(SKIP_1) | instid1(VALU_DEP_1)
	v_dual_mul_f32 v19, v18, v19 :: v_dual_mov_b32 v61, v3
                                        ; implicit-def: $vgpr89
	s_mov_b32 s14, exec_lo
	v_and_b32_e32 v60, 0x7f800000, v19
	v_and_b32_e32 v2, 0x7fffff, v19
	v_lshrrev_b32_e32 v18, 24, v19
	s_delay_alu instid0(VALU_DEP_3)
	v_cmpx_ne_u64_e32 0x7f800000, v[60:61]
	s_xor_b32 s15, exec_lo, s14
	s_cbranch_execz .LBB2_2770
; %bb.2757:                             ;   in Loop: Header=BB2_2704 Depth=3
	v_and_b32_e32 v60, 0x7fffffff, v19
	v_mov_b32_e32 v61, v3
	v_and_b32_e32 v18, 0x80, v18
                                        ; implicit-def: $vgpr89
	s_mov_b32 s14, exec_lo
	s_delay_alu instid0(VALU_DEP_2)
	v_cmpx_gt_u64_e32 0x47600001, v[60:61]
	s_xor_b32 s42, exec_lo, s14
	s_cbranch_execz .LBB2_2767
; %bb.2758:                             ;   in Loop: Header=BB2_2704 Depth=3
	v_mov_b32_e32 v89, 0
	s_mov_b32 s43, exec_lo
	v_cmpx_ne_u32_e32 0, v19
	s_cbranch_execz .LBB2_2766
; %bb.2759:                             ;   in Loop: Header=BB2_2704 Depth=3
	v_bfe_u32 v19, v19, 23, 8
	v_or_b32_e32 v21, 0x800000, v2
	s_delay_alu instid0(VALU_DEP_2) | instskip(SKIP_1) | instid1(VALU_DEP_2)
	v_sub_nc_u32_e32 v20, 0x71, v19
	v_cmp_gt_u32_e32 vcc_lo, 0x72, v19
	v_cndmask_b32_e32 v20, 0, v20, vcc_lo
	v_cmp_eq_u32_e32 vcc_lo, 0, v19
	v_cndmask_b32_e32 v2, v21, v2, vcc_lo
	s_delay_alu instid0(VALU_DEP_3) | instskip(NEXT) | instid1(VALU_DEP_1)
	v_cndmask_b32_e64 v72, v20, 0x70, vcc_lo
	v_add_nc_u32_e32 v20, 21, v72
	s_delay_alu instid0(VALU_DEP_1) | instskip(SKIP_1) | instid1(VALU_DEP_1)
	v_lshlrev_b64_e64 v[60:61], v20, -1
	v_add_nc_u32_e32 v20, 20, v72
	v_lshlrev_b64_e64 v[62:63], v20, 1
	s_delay_alu instid0(VALU_DEP_3) | instskip(NEXT) | instid1(VALU_DEP_4)
	v_bfi_b32 v91, v61, 0, 0
	v_bfi_b32 v90, v60, 0, v2
	v_lshrrev_b64 v[60:61], v72, v[2:3]
	s_delay_alu instid0(VALU_DEP_2) | instskip(NEXT) | instid1(VALU_DEP_2)
	v_cmp_eq_u64_e64 s14, v[90:91], v[62:63]
	v_mov_b64_e32 v[62:63], v[60:61]
	s_and_saveexec_b32 s75, s14
; %bb.2760:                             ;   in Loop: Header=BB2_2704 Depth=3
	v_bfe_u32 v2, v60, 21, 1
	s_delay_alu instid0(VALU_DEP_1) | instskip(NEXT) | instid1(VALU_DEP_1)
	v_add_nc_u64_e32 v[62:63], v[60:61], v[2:3]
	v_add_nc_u64_e32 v[62:63], -1, v[62:63]
; %bb.2761:                             ;   in Loop: Header=BB2_2704 Depth=3
	s_or_b32 exec_lo, exec_lo, s75
	v_add_nc_u32_e32 v2, 0xffffff81, v19
	v_lshrrev_b32_e32 v19, 23, v60
	s_mov_b32 s14, exec_lo
	s_delay_alu instid0(VALU_DEP_2) | instskip(NEXT) | instid1(VALU_DEP_1)
	v_cndmask_b32_e64 v2, v2, 0xffffff82, vcc_lo
	v_add3_u32 v63, v72, v2, v19
	v_and_b32_e32 v2, 0x1fffff, v62
                                        ; implicit-def: $vgpr19
	s_delay_alu instid0(VALU_DEP_1) | instskip(NEXT) | instid1(VALU_DEP_1)
	v_dual_add_nc_u32 v62, 14, v63 :: v_dual_add_nc_u32 v2, v2, v60
                                        ; implicit-def: $vgpr60_vgpr61
	v_cmpx_ne_u32_e32 0, v62
	s_xor_b32 s14, exec_lo, s14
; %bb.2762:                             ;   in Loop: Header=BB2_2704 Depth=3
	s_delay_alu instid0(VALU_DEP_2) | instskip(SKIP_2) | instid1(VALU_DEP_2)
	v_cmp_lt_u64_e32 vcc_lo, 0xffffff, v[2:3]
	v_add_nc_u32_e32 v19, 15, v63
	v_cndmask_b32_e64 v20, 0, 1, vcc_lo
	v_cndmask_b32_e32 v19, v62, v19, vcc_lo
	s_delay_alu instid0(VALU_DEP_2)
	v_lshrrev_b64 v[60:61], v20, v[2:3]
; %bb.2763:                             ;   in Loop: Header=BB2_2704 Depth=3
	s_and_not1_saveexec_b32 s14, s14
; %bb.2764:                             ;   in Loop: Header=BB2_2704 Depth=3
	v_mov_b64_e32 v[60:61], v[2:3]
	v_bfe_u32 v19, v2, 23, 1
; %bb.2765:                             ;   in Loop: Header=BB2_2704 Depth=3
	s_or_b32 exec_lo, exec_lo, s14
	s_delay_alu instid0(VALU_DEP_2) | instskip(NEXT) | instid1(VALU_DEP_2)
	v_lshrrev_b64 v[60:61], 21, v[60:61]
	v_cmp_gt_i32_e32 vcc_lo, 32, v19
	v_min_i32_e32 v2, 31, v19
	v_cmp_eq_u32_e64 s14, 0, v19
	s_delay_alu instid0(VALU_DEP_2) | instskip(SKIP_1) | instid1(VALU_DEP_2)
	v_dual_cndmask_b32 v61, 0, v61 :: v_dual_lshlrev_b32 v2, 2, v2
	v_cndmask_b32_e32 v60, 3, v60, vcc_lo
	v_and_b32_e32 v2, 0xfc, v2
	s_delay_alu instid0(VALU_DEP_2) | instskip(NEXT) | instid1(VALU_DEP_2)
	v_cmp_eq_u64_e32 vcc_lo, 0, v[60:61]
	v_and_or_b32 v2, v60, 3, v2
	s_and_b32 s14, s14, vcc_lo
	s_delay_alu instid0(VALU_DEP_1) | instid1(SALU_CYCLE_1)
	v_cndmask_b32_e64 v2, v2, 0, s14
	s_delay_alu instid0(VALU_DEP_1)
	v_or_b32_e32 v89, v2, v18
.LBB2_2766:                             ;   in Loop: Header=BB2_2704 Depth=3
	s_or_b32 exec_lo, exec_lo, s43
                                        ; implicit-def: $vgpr18
.LBB2_2767:                             ;   in Loop: Header=BB2_2704 Depth=3
	s_and_not1_saveexec_b32 s14, s42
; %bb.2768:                             ;   in Loop: Header=BB2_2704 Depth=3
	v_or_b32_e32 v89, 0x7b, v18
; %bb.2769:                             ;   in Loop: Header=BB2_2704 Depth=3
	s_or_b32 exec_lo, exec_lo, s14
                                        ; implicit-def: $vgpr19
                                        ; implicit-def: $vgpr18
.LBB2_2770:                             ;   in Loop: Header=BB2_2704 Depth=3
	s_and_not1_saveexec_b32 s14, s15
	s_cbranch_execz .LBB2_2776
; %bb.2771:                             ;   in Loop: Header=BB2_2704 Depth=3
	s_mov_b32 s15, exec_lo
                                        ; implicit-def: $vgpr89
	v_cmpx_ne_u64_e32 0, v[2:3]
	s_xor_b32 s15, exec_lo, s15
; %bb.2772:                             ;   in Loop: Header=BB2_2704 Depth=3
	v_or_b32_e32 v89, 0x7f, v18
                                        ; implicit-def: $vgpr19
; %bb.2773:                             ;   in Loop: Header=BB2_2704 Depth=3
	s_and_not1_saveexec_b32 s15, s15
; %bb.2774:                             ;   in Loop: Header=BB2_2704 Depth=3
	v_cmp_lt_i32_e32 vcc_lo, -1, v19
	v_cndmask_b32_e32 v89, 0xfc, v110, vcc_lo
; %bb.2775:                             ;   in Loop: Header=BB2_2704 Depth=3
	s_or_b32 exec_lo, exec_lo, s15
.LBB2_2776:                             ;   in Loop: Header=BB2_2704 Depth=3
	s_delay_alu instid0(SALU_CYCLE_1) | instskip(SKIP_2) | instid1(VALU_DEP_1)
	s_or_b32 exec_lo, exec_lo, s14
	v_dual_lshrrev_b32 v2, 16, v12 :: v_dual_mov_b32 v18, 0
	s_mov_b32 s14, exec_lo
	v_and_b32_e32 v19, 0xff, v2
	s_delay_alu instid0(VALU_DEP_1)
	v_cmpx_ne_u16_e32 0, v19
	s_cbranch_execz .LBB2_2786
; %bb.2777:                             ;   in Loop: Header=BB2_2704 Depth=3
	v_bfrev_b32_e32 v18, 1
	s_mov_b32 s15, exec_lo
	v_cmpx_ne_u16_e32 0x80, v19
	s_cbranch_execz .LBB2_2785
; %bb.2778:                             ;   in Loop: Header=BB2_2704 Depth=3
	v_and_b32_e32 v18, 0x7c0000, v12
	v_bfe_u32 v19, v12, 16, 2
	s_delay_alu instid0(VALU_DEP_2) | instskip(SKIP_1) | instid1(SALU_CYCLE_1)
	v_cmp_ne_u32_e32 vcc_lo, 0x7c0000, v18
                                        ; implicit-def: $vgpr18
	s_and_saveexec_b32 s42, vcc_lo
	s_xor_b32 s42, exec_lo, s42
	s_cbranch_execz .LBB2_2782
; %bb.2779:                             ;   in Loop: Header=BB2_2704 Depth=3
	v_bfe_u32 v18, v12, 18, 5
	s_mov_b32 s43, exec_lo
	s_delay_alu instid0(VALU_DEP_1)
	v_cmpx_eq_u32_e32 0, v18
; %bb.2780:                             ;   in Loop: Header=BB2_2704 Depth=3
	v_clz_i32_u32_e32 v18, v19
	s_delay_alu instid0(VALU_DEP_1) | instskip(NEXT) | instid1(VALU_DEP_1)
	v_min_u32_e32 v18, 32, v18
	v_subrev_nc_u32_e32 v19, 29, v18
	s_delay_alu instid0(VALU_DEP_1) | instskip(NEXT) | instid1(VALU_DEP_1)
	v_lshlrev_b64_e32 v[60:61], v19, v[2:3]
	v_dual_sub_nc_u32 v18, 30, v18 :: v_dual_bitop2_b32 v19, 3, v60 bitop3:0x40
; %bb.2781:                             ;   in Loop: Header=BB2_2704 Depth=3
	s_or_b32 exec_lo, exec_lo, s43
	v_lshlrev_b32_e32 v2, 24, v2
	s_delay_alu instid0(VALU_DEP_1) | instskip(NEXT) | instid1(VALU_DEP_1)
	v_and_b32_e32 v2, 0x80000000, v2
	v_lshl_add_u32 v2, v18, 23, v2
	s_delay_alu instid0(VALU_DEP_1) | instskip(NEXT) | instid1(VALU_DEP_1)
	v_lshl_or_b32 v2, v19, 21, v2
                                        ; implicit-def: $vgpr19
	v_add_nc_u32_e32 v18, 0x38000000, v2
                                        ; implicit-def: $vgpr2
.LBB2_2782:                             ;   in Loop: Header=BB2_2704 Depth=3
	s_and_not1_saveexec_b32 s42, s42
; %bb.2783:                             ;   in Loop: Header=BB2_2704 Depth=3
	v_bfe_i32 v2, v2, 0, 8
	s_delay_alu instid0(VALU_DEP_1) | instskip(SKIP_2) | instid1(VALU_DEP_2)
	v_cmp_lt_i16_e32 vcc_lo, -1, v2
	v_cndmask_b32_e32 v2, 0xff800000, v109, vcc_lo
	v_cmp_eq_u32_e32 vcc_lo, 0, v19
	v_cndmask_b32_e32 v18, 0x7f800001, v2, vcc_lo
; %bb.2784:                             ;   in Loop: Header=BB2_2704 Depth=3
	s_or_b32 exec_lo, exec_lo, s42
.LBB2_2785:                             ;   in Loop: Header=BB2_2704 Depth=3
	s_delay_alu instid0(SALU_CYCLE_1)
	s_or_b32 exec_lo, exec_lo, s15
.LBB2_2786:                             ;   in Loop: Header=BB2_2704 Depth=3
	s_delay_alu instid0(SALU_CYCLE_1) | instskip(SKIP_3) | instid1(VALU_DEP_1)
	s_or_b32 exec_lo, exec_lo, s14
	v_lshrrev_b32_e32 v2, 16, v8
	s_mov_b32 s15, 0
	s_mov_b32 s14, exec_lo
	v_and_b32_e32 v60, 0xff, v2
	s_delay_alu instid0(VALU_DEP_1)
	v_cmpx_lt_i16_e32 0x7f, v60
	s_xor_b32 s14, exec_lo, s14
	s_cbranch_execz .LBB2_3263
; %bb.2787:                             ;   in Loop: Header=BB2_2704 Depth=3
	s_mov_b32 s15, -1
	s_mov_b32 s42, exec_lo
	v_cmpx_eq_u16_e32 0x80, v60
; %bb.2788:                             ;   in Loop: Header=BB2_2704 Depth=3
	s_xor_b32 s15, exec_lo, -1
; %bb.2789:                             ;   in Loop: Header=BB2_2704 Depth=3
	s_or_b32 exec_lo, exec_lo, s42
	s_delay_alu instid0(SALU_CYCLE_1)
	s_and_b32 s15, s15, exec_lo
                                        ; implicit-def: $vgpr60
	s_or_saveexec_b32 s14, s14
	v_bfrev_b32_e32 v19, 1
	s_xor_b32 exec_lo, exec_lo, s14
	s_cbranch_execnz .LBB2_3264
.LBB2_2790:                             ;   in Loop: Header=BB2_2704 Depth=3
	s_or_b32 exec_lo, exec_lo, s14
	s_and_saveexec_b32 s14, s15
	s_cbranch_execz .LBB2_2792
.LBB2_2791:                             ;   in Loop: Header=BB2_2704 Depth=3
	v_and_b32_e32 v19, 3, v2
	s_delay_alu instid0(VALU_DEP_1) | instskip(NEXT) | instid1(VALU_DEP_1)
	v_clz_i32_u32_e32 v20, v19
	v_min_u32_e32 v20, 32, v20
	s_delay_alu instid0(VALU_DEP_1) | instskip(SKIP_1) | instid1(VALU_DEP_2)
	v_subrev_nc_u32_e32 v21, 29, v20
	v_sub_nc_u32_e32 v20, 30, v20
	v_lshlrev_b64_e32 v[60:61], v21, v[2:3]
	v_bfe_u32 v61, v8, 18, 5
	v_lshlrev_b32_e32 v21, 24, v2
	v_bfe_i32 v2, v2, 0, 8
	s_delay_alu instid0(VALU_DEP_3) | instskip(NEXT) | instid1(VALU_DEP_3)
	v_cmp_eq_u32_e32 vcc_lo, 0, v61
	v_and_b32_e32 v21, 0x80000000, v21
	v_and_b32_e32 v60, 3, v60
	v_cndmask_b32_e32 v20, v61, v20, vcc_lo
	s_delay_alu instid0(VALU_DEP_2) | instskip(SKIP_1) | instid1(VALU_DEP_3)
	v_cndmask_b32_e32 v60, v19, v60, vcc_lo
	v_cmp_lt_i16_e32 vcc_lo, -1, v2
	v_lshl_add_u32 v20, v20, 23, v21
	v_and_b32_e32 v21, 0x7c0000, v8
	v_cndmask_b32_e32 v2, 0xff800000, v109, vcc_lo
	v_cmp_eq_u32_e32 vcc_lo, 0, v19
	s_delay_alu instid0(VALU_DEP_4) | instskip(NEXT) | instid1(VALU_DEP_3)
	v_lshl_or_b32 v20, v60, 21, v20
	v_cndmask_b32_e32 v2, 0x7f800001, v2, vcc_lo
	s_delay_alu instid0(VALU_DEP_2) | instskip(SKIP_1) | instid1(VALU_DEP_2)
	v_add_nc_u32_e32 v19, 0x38000000, v20
	v_cmp_eq_u32_e32 vcc_lo, 0x7c0000, v21
	v_cndmask_b32_e32 v19, v19, v2, vcc_lo
.LBB2_2792:                             ;   in Loop: Header=BB2_2704 Depth=3
	s_or_b32 exec_lo, exec_lo, s14
	s_delay_alu instid0(VALU_DEP_1) | instskip(SKIP_1) | instid1(VALU_DEP_1)
	v_dual_mul_f32 v19, v18, v19 :: v_dual_mov_b32 v61, v3
                                        ; implicit-def: $vgpr90
	s_mov_b32 s14, exec_lo
	v_and_b32_e32 v60, 0x7f800000, v19
	v_and_b32_e32 v2, 0x7fffff, v19
	v_lshrrev_b32_e32 v18, 24, v19
	s_delay_alu instid0(VALU_DEP_3)
	v_cmpx_ne_u64_e32 0x7f800000, v[60:61]
	s_xor_b32 s15, exec_lo, s14
	s_cbranch_execz .LBB2_2806
; %bb.2793:                             ;   in Loop: Header=BB2_2704 Depth=3
	v_and_b32_e32 v60, 0x7fffffff, v19
	v_mov_b32_e32 v61, v3
	v_and_b32_e32 v18, 0x80, v18
                                        ; implicit-def: $vgpr90
	s_mov_b32 s14, exec_lo
	s_delay_alu instid0(VALU_DEP_2)
	v_cmpx_gt_u64_e32 0x47600001, v[60:61]
	s_xor_b32 s42, exec_lo, s14
	s_cbranch_execz .LBB2_2803
; %bb.2794:                             ;   in Loop: Header=BB2_2704 Depth=3
	v_mov_b32_e32 v90, 0
	s_mov_b32 s43, exec_lo
	v_cmpx_ne_u32_e32 0, v19
	s_cbranch_execz .LBB2_2802
; %bb.2795:                             ;   in Loop: Header=BB2_2704 Depth=3
	v_bfe_u32 v19, v19, 23, 8
	v_or_b32_e32 v21, 0x800000, v2
	s_delay_alu instid0(VALU_DEP_2) | instskip(SKIP_1) | instid1(VALU_DEP_2)
	v_sub_nc_u32_e32 v20, 0x71, v19
	v_cmp_gt_u32_e32 vcc_lo, 0x72, v19
	v_cndmask_b32_e32 v20, 0, v20, vcc_lo
	v_cmp_eq_u32_e32 vcc_lo, 0, v19
	v_cndmask_b32_e32 v2, v21, v2, vcc_lo
	s_delay_alu instid0(VALU_DEP_3) | instskip(NEXT) | instid1(VALU_DEP_1)
	v_cndmask_b32_e64 v72, v20, 0x70, vcc_lo
	v_add_nc_u32_e32 v20, 21, v72
	s_delay_alu instid0(VALU_DEP_1) | instskip(SKIP_1) | instid1(VALU_DEP_1)
	v_lshlrev_b64_e64 v[60:61], v20, -1
	v_add_nc_u32_e32 v20, 20, v72
	v_lshlrev_b64_e64 v[62:63], v20, 1
	s_delay_alu instid0(VALU_DEP_3) | instskip(NEXT) | instid1(VALU_DEP_4)
	v_bfi_b32 v91, v61, 0, 0
	v_bfi_b32 v90, v60, 0, v2
	v_lshrrev_b64 v[60:61], v72, v[2:3]
	s_delay_alu instid0(VALU_DEP_2) | instskip(NEXT) | instid1(VALU_DEP_2)
	v_cmp_eq_u64_e64 s14, v[90:91], v[62:63]
	v_mov_b64_e32 v[62:63], v[60:61]
	s_and_saveexec_b32 s75, s14
; %bb.2796:                             ;   in Loop: Header=BB2_2704 Depth=3
	v_bfe_u32 v2, v60, 21, 1
	s_delay_alu instid0(VALU_DEP_1) | instskip(NEXT) | instid1(VALU_DEP_1)
	v_add_nc_u64_e32 v[62:63], v[60:61], v[2:3]
	v_add_nc_u64_e32 v[62:63], -1, v[62:63]
; %bb.2797:                             ;   in Loop: Header=BB2_2704 Depth=3
	s_or_b32 exec_lo, exec_lo, s75
	v_add_nc_u32_e32 v2, 0xffffff81, v19
	v_lshrrev_b32_e32 v19, 23, v60
	s_mov_b32 s14, exec_lo
	s_delay_alu instid0(VALU_DEP_2) | instskip(NEXT) | instid1(VALU_DEP_1)
	v_cndmask_b32_e64 v2, v2, 0xffffff82, vcc_lo
	v_add3_u32 v63, v72, v2, v19
	v_and_b32_e32 v2, 0x1fffff, v62
                                        ; implicit-def: $vgpr19
	s_delay_alu instid0(VALU_DEP_1) | instskip(NEXT) | instid1(VALU_DEP_1)
	v_dual_add_nc_u32 v62, 14, v63 :: v_dual_add_nc_u32 v2, v2, v60
                                        ; implicit-def: $vgpr60_vgpr61
	v_cmpx_ne_u32_e32 0, v62
	s_xor_b32 s14, exec_lo, s14
; %bb.2798:                             ;   in Loop: Header=BB2_2704 Depth=3
	s_delay_alu instid0(VALU_DEP_2) | instskip(SKIP_2) | instid1(VALU_DEP_2)
	v_cmp_lt_u64_e32 vcc_lo, 0xffffff, v[2:3]
	v_add_nc_u32_e32 v19, 15, v63
	v_cndmask_b32_e64 v20, 0, 1, vcc_lo
	v_cndmask_b32_e32 v19, v62, v19, vcc_lo
	s_delay_alu instid0(VALU_DEP_2)
	v_lshrrev_b64 v[60:61], v20, v[2:3]
; %bb.2799:                             ;   in Loop: Header=BB2_2704 Depth=3
	s_and_not1_saveexec_b32 s14, s14
; %bb.2800:                             ;   in Loop: Header=BB2_2704 Depth=3
	v_mov_b64_e32 v[60:61], v[2:3]
	v_bfe_u32 v19, v2, 23, 1
; %bb.2801:                             ;   in Loop: Header=BB2_2704 Depth=3
	s_or_b32 exec_lo, exec_lo, s14
	s_delay_alu instid0(VALU_DEP_2) | instskip(NEXT) | instid1(VALU_DEP_2)
	v_lshrrev_b64 v[60:61], 21, v[60:61]
	v_cmp_gt_i32_e32 vcc_lo, 32, v19
	v_min_i32_e32 v2, 31, v19
	v_cmp_eq_u32_e64 s14, 0, v19
	s_delay_alu instid0(VALU_DEP_2) | instskip(SKIP_1) | instid1(VALU_DEP_2)
	v_dual_cndmask_b32 v61, 0, v61 :: v_dual_lshlrev_b32 v2, 2, v2
	v_cndmask_b32_e32 v60, 3, v60, vcc_lo
	v_and_b32_e32 v2, 0xfc, v2
	s_delay_alu instid0(VALU_DEP_2) | instskip(NEXT) | instid1(VALU_DEP_2)
	v_cmp_eq_u64_e32 vcc_lo, 0, v[60:61]
	v_and_or_b32 v2, v60, 3, v2
	s_and_b32 s14, s14, vcc_lo
	s_delay_alu instid0(VALU_DEP_1) | instid1(SALU_CYCLE_1)
	v_cndmask_b32_e64 v2, v2, 0, s14
	s_delay_alu instid0(VALU_DEP_1)
	v_or_b32_e32 v90, v2, v18
.LBB2_2802:                             ;   in Loop: Header=BB2_2704 Depth=3
	s_or_b32 exec_lo, exec_lo, s43
                                        ; implicit-def: $vgpr18
.LBB2_2803:                             ;   in Loop: Header=BB2_2704 Depth=3
	s_and_not1_saveexec_b32 s14, s42
; %bb.2804:                             ;   in Loop: Header=BB2_2704 Depth=3
	v_or_b32_e32 v90, 0x7b, v18
; %bb.2805:                             ;   in Loop: Header=BB2_2704 Depth=3
	s_or_b32 exec_lo, exec_lo, s14
                                        ; implicit-def: $vgpr19
                                        ; implicit-def: $vgpr18
.LBB2_2806:                             ;   in Loop: Header=BB2_2704 Depth=3
	s_and_not1_saveexec_b32 s14, s15
	s_cbranch_execz .LBB2_2812
; %bb.2807:                             ;   in Loop: Header=BB2_2704 Depth=3
	s_mov_b32 s15, exec_lo
                                        ; implicit-def: $vgpr90
	v_cmpx_ne_u64_e32 0, v[2:3]
	s_xor_b32 s15, exec_lo, s15
; %bb.2808:                             ;   in Loop: Header=BB2_2704 Depth=3
	v_or_b32_e32 v90, 0x7f, v18
                                        ; implicit-def: $vgpr19
; %bb.2809:                             ;   in Loop: Header=BB2_2704 Depth=3
	s_and_not1_saveexec_b32 s15, s15
; %bb.2810:                             ;   in Loop: Header=BB2_2704 Depth=3
	v_cmp_lt_i32_e32 vcc_lo, -1, v19
	v_cndmask_b32_e32 v90, 0xfc, v110, vcc_lo
; %bb.2811:                             ;   in Loop: Header=BB2_2704 Depth=3
	s_or_b32 exec_lo, exec_lo, s15
.LBB2_2812:                             ;   in Loop: Header=BB2_2704 Depth=3
	s_delay_alu instid0(SALU_CYCLE_1)
	s_or_b32 exec_lo, exec_lo, s14
	v_mov_b32_e32 v18, 0
	s_mov_b32 s14, exec_lo
	v_cmpx_lt_u32_e32 0xffffff, v12
	s_cbranch_execz .LBB2_2822
; %bb.2813:                             ;   in Loop: Header=BB2_2704 Depth=3
	v_lshrrev_b32_e32 v2, 24, v12
	v_bfrev_b32_e32 v18, 1
	s_mov_b32 s15, exec_lo
	s_delay_alu instid0(VALU_DEP_2)
	v_cmpx_ne_u32_e32 0x80, v2
	s_cbranch_execz .LBB2_2821
; %bb.2814:                             ;   in Loop: Header=BB2_2704 Depth=3
	v_and_b32_e32 v18, 0x7c000000, v12
	v_bfe_u32 v19, v12, 24, 2
	s_delay_alu instid0(VALU_DEP_2) | instskip(SKIP_1) | instid1(SALU_CYCLE_1)
	v_cmp_ne_u32_e32 vcc_lo, 0x7c000000, v18
                                        ; implicit-def: $vgpr18
	s_and_saveexec_b32 s42, vcc_lo
	s_xor_b32 s42, exec_lo, s42
	s_cbranch_execz .LBB2_2818
; %bb.2815:                             ;   in Loop: Header=BB2_2704 Depth=3
	v_bfe_u32 v18, v12, 26, 5
	s_mov_b32 s43, exec_lo
	s_delay_alu instid0(VALU_DEP_1)
	v_cmpx_eq_u32_e32 0, v18
; %bb.2816:                             ;   in Loop: Header=BB2_2704 Depth=3
	v_clz_i32_u32_e32 v18, v19
	s_delay_alu instid0(VALU_DEP_1) | instskip(NEXT) | instid1(VALU_DEP_1)
	v_min_u32_e32 v18, 32, v18
	v_subrev_nc_u32_e32 v19, 29, v18
	s_delay_alu instid0(VALU_DEP_1) | instskip(NEXT) | instid1(VALU_DEP_1)
	v_lshlrev_b64_e32 v[60:61], v19, v[2:3]
	v_dual_sub_nc_u32 v18, 30, v18 :: v_dual_bitop2_b32 v19, 3, v60 bitop3:0x40
; %bb.2817:                             ;   in Loop: Header=BB2_2704 Depth=3
	s_or_b32 exec_lo, exec_lo, s43
	v_and_b32_e32 v2, 0x80000000, v12
	s_delay_alu instid0(VALU_DEP_1) | instskip(NEXT) | instid1(VALU_DEP_1)
	v_lshl_add_u32 v2, v18, 23, v2
	v_lshl_or_b32 v2, v19, 21, v2
                                        ; implicit-def: $vgpr19
	s_delay_alu instid0(VALU_DEP_1)
	v_add_nc_u32_e32 v18, 0x38000000, v2
.LBB2_2818:                             ;   in Loop: Header=BB2_2704 Depth=3
	s_and_not1_saveexec_b32 s42, s42
; %bb.2819:                             ;   in Loop: Header=BB2_2704 Depth=3
	v_cmp_lt_i32_e32 vcc_lo, -1, v12
	v_cndmask_b32_e32 v2, 0xff800000, v109, vcc_lo
	v_cmp_eq_u32_e32 vcc_lo, 0, v19
	s_delay_alu instid0(VALU_DEP_2)
	v_cndmask_b32_e32 v18, 0x7f800001, v2, vcc_lo
; %bb.2820:                             ;   in Loop: Header=BB2_2704 Depth=3
	s_or_b32 exec_lo, exec_lo, s42
.LBB2_2821:                             ;   in Loop: Header=BB2_2704 Depth=3
	s_delay_alu instid0(SALU_CYCLE_1)
	s_or_b32 exec_lo, exec_lo, s15
.LBB2_2822:                             ;   in Loop: Header=BB2_2704 Depth=3
	s_delay_alu instid0(SALU_CYCLE_1) | instskip(SKIP_3) | instid1(VALU_DEP_2)
	s_or_b32 exec_lo, exec_lo, s14
	v_bfe_u32 v19, v8, 24, 2
	v_bfe_u32 v62, v8, 26, 5
                                        ; implicit-def: $vgpr91
	s_mov_b32 s14, exec_lo
	v_clz_i32_u32_e32 v2, v19
	s_delay_alu instid0(VALU_DEP_2) | instskip(NEXT) | instid1(VALU_DEP_2)
	v_cmp_eq_u32_e32 vcc_lo, 0, v62
	v_min_u32_e32 v20, 32, v2
	v_lshrrev_b32_e32 v2, 24, v8
	s_delay_alu instid0(VALU_DEP_2) | instskip(SKIP_1) | instid1(VALU_DEP_2)
	v_subrev_nc_u32_e32 v21, 29, v20
	v_sub_nc_u32_e32 v20, 30, v20
	v_lshlrev_b64_e32 v[60:61], v21, v[2:3]
	v_and_b32_e32 v21, 0x80000000, v8
	s_delay_alu instid0(VALU_DEP_3) | instskip(NEXT) | instid1(VALU_DEP_1)
	v_dual_cndmask_b32 v20, v62, v20 :: v_dual_mov_b32 v61, v3
	v_lshl_add_u32 v20, v20, 23, v21
	s_delay_alu instid0(VALU_DEP_4) | instskip(NEXT) | instid1(VALU_DEP_1)
	v_and_b32_e32 v60, 3, v60
	v_cndmask_b32_e32 v21, v19, v60, vcc_lo
	v_cmp_lt_i32_e32 vcc_lo, -1, v8
	s_delay_alu instid0(VALU_DEP_2) | instskip(SKIP_3) | instid1(VALU_DEP_4)
	v_lshl_or_b32 v20, v21, 21, v20
	v_cndmask_b32_e32 v60, 0xff800000, v109, vcc_lo
	v_and_b32_e32 v21, 0x7c000000, v8
	v_cmp_eq_u32_e32 vcc_lo, 0, v19
	v_add_nc_u32_e32 v20, 0x38000000, v20
	s_delay_alu instid0(VALU_DEP_4) | instskip(NEXT) | instid1(VALU_DEP_4)
	v_cndmask_b32_e32 v19, 0x7f800001, v60, vcc_lo
	v_cmp_eq_u32_e32 vcc_lo, 0x7c000000, v21
	s_delay_alu instid0(VALU_DEP_2) | instskip(SKIP_1) | instid1(VALU_DEP_2)
	v_cndmask_b32_e32 v19, v20, v19, vcc_lo
	v_cmp_ne_u32_e32 vcc_lo, 0x80, v2
	v_cndmask_b32_e32 v2, 0x80000000, v19, vcc_lo
	v_cmp_lt_u32_e32 vcc_lo, 0xffffff, v8
	s_delay_alu instid0(VALU_DEP_2) | instskip(NEXT) | instid1(VALU_DEP_1)
	v_cndmask_b32_e32 v2, 0, v2, vcc_lo
	v_mul_f32_e32 v19, v2, v18
	s_delay_alu instid0(VALU_DEP_1) | instskip(SKIP_2) | instid1(VALU_DEP_3)
	v_and_b32_e32 v60, 0x7f800000, v19
	v_and_b32_e32 v2, 0x7fffff, v19
	v_lshrrev_b32_e32 v18, 24, v19
	v_cmpx_ne_u64_e32 0x7f800000, v[60:61]
	s_xor_b32 s15, exec_lo, s14
	s_cbranch_execz .LBB2_2836
; %bb.2823:                             ;   in Loop: Header=BB2_2704 Depth=3
	v_and_b32_e32 v60, 0x7fffffff, v19
	v_mov_b32_e32 v61, v3
	v_and_b32_e32 v18, 0x80, v18
                                        ; implicit-def: $vgpr91
	s_mov_b32 s14, exec_lo
	s_delay_alu instid0(VALU_DEP_2)
	v_cmpx_gt_u64_e32 0x47600001, v[60:61]
	s_xor_b32 s42, exec_lo, s14
	s_cbranch_execz .LBB2_2833
; %bb.2824:                             ;   in Loop: Header=BB2_2704 Depth=3
	v_mov_b32_e32 v91, 0
	s_mov_b32 s43, exec_lo
	v_cmpx_ne_u32_e32 0, v19
	s_cbranch_execz .LBB2_2832
; %bb.2825:                             ;   in Loop: Header=BB2_2704 Depth=3
	v_bfe_u32 v19, v19, 23, 8
	v_or_b32_e32 v21, 0x800000, v2
	s_delay_alu instid0(VALU_DEP_2) | instskip(SKIP_1) | instid1(VALU_DEP_2)
	v_sub_nc_u32_e32 v20, 0x71, v19
	v_cmp_gt_u32_e32 vcc_lo, 0x72, v19
	v_cndmask_b32_e32 v20, 0, v20, vcc_lo
	v_cmp_eq_u32_e32 vcc_lo, 0, v19
	v_cndmask_b32_e32 v2, v21, v2, vcc_lo
	s_delay_alu instid0(VALU_DEP_3) | instskip(NEXT) | instid1(VALU_DEP_1)
	v_cndmask_b32_e64 v72, v20, 0x70, vcc_lo
	v_add_nc_u32_e32 v20, 21, v72
	s_delay_alu instid0(VALU_DEP_1) | instskip(SKIP_1) | instid1(VALU_DEP_1)
	v_lshlrev_b64_e64 v[60:61], v20, -1
	v_add_nc_u32_e32 v20, 20, v72
	v_lshlrev_b64_e64 v[62:63], v20, 1
	s_delay_alu instid0(VALU_DEP_3) | instskip(NEXT) | instid1(VALU_DEP_4)
	v_bfi_b32 v93, v61, 0, 0
	v_bfi_b32 v92, v60, 0, v2
	v_lshrrev_b64 v[60:61], v72, v[2:3]
	s_delay_alu instid0(VALU_DEP_2) | instskip(NEXT) | instid1(VALU_DEP_2)
	v_cmp_eq_u64_e64 s14, v[92:93], v[62:63]
	v_mov_b64_e32 v[62:63], v[60:61]
	s_and_saveexec_b32 s75, s14
; %bb.2826:                             ;   in Loop: Header=BB2_2704 Depth=3
	v_bfe_u32 v2, v60, 21, 1
	s_delay_alu instid0(VALU_DEP_1) | instskip(NEXT) | instid1(VALU_DEP_1)
	v_add_nc_u64_e32 v[62:63], v[60:61], v[2:3]
	v_add_nc_u64_e32 v[62:63], -1, v[62:63]
; %bb.2827:                             ;   in Loop: Header=BB2_2704 Depth=3
	s_or_b32 exec_lo, exec_lo, s75
	v_add_nc_u32_e32 v2, 0xffffff81, v19
	v_lshrrev_b32_e32 v19, 23, v60
	s_mov_b32 s14, exec_lo
	s_delay_alu instid0(VALU_DEP_2) | instskip(NEXT) | instid1(VALU_DEP_1)
	v_cndmask_b32_e64 v2, v2, 0xffffff82, vcc_lo
	v_add3_u32 v63, v72, v2, v19
	v_and_b32_e32 v2, 0x1fffff, v62
                                        ; implicit-def: $vgpr19
	s_delay_alu instid0(VALU_DEP_1) | instskip(NEXT) | instid1(VALU_DEP_1)
	v_dual_add_nc_u32 v62, 14, v63 :: v_dual_add_nc_u32 v2, v2, v60
                                        ; implicit-def: $vgpr60_vgpr61
	v_cmpx_ne_u32_e32 0, v62
	s_xor_b32 s14, exec_lo, s14
; %bb.2828:                             ;   in Loop: Header=BB2_2704 Depth=3
	s_delay_alu instid0(VALU_DEP_2) | instskip(SKIP_2) | instid1(VALU_DEP_2)
	v_cmp_lt_u64_e32 vcc_lo, 0xffffff, v[2:3]
	v_add_nc_u32_e32 v19, 15, v63
	v_cndmask_b32_e64 v20, 0, 1, vcc_lo
	v_cndmask_b32_e32 v19, v62, v19, vcc_lo
	s_delay_alu instid0(VALU_DEP_2)
	v_lshrrev_b64 v[60:61], v20, v[2:3]
; %bb.2829:                             ;   in Loop: Header=BB2_2704 Depth=3
	s_and_not1_saveexec_b32 s14, s14
; %bb.2830:                             ;   in Loop: Header=BB2_2704 Depth=3
	v_mov_b64_e32 v[60:61], v[2:3]
	v_bfe_u32 v19, v2, 23, 1
; %bb.2831:                             ;   in Loop: Header=BB2_2704 Depth=3
	s_or_b32 exec_lo, exec_lo, s14
	s_delay_alu instid0(VALU_DEP_2) | instskip(NEXT) | instid1(VALU_DEP_2)
	v_lshrrev_b64 v[60:61], 21, v[60:61]
	v_cmp_gt_i32_e32 vcc_lo, 32, v19
	v_min_i32_e32 v2, 31, v19
	v_cmp_eq_u32_e64 s14, 0, v19
	s_delay_alu instid0(VALU_DEP_2) | instskip(SKIP_1) | instid1(VALU_DEP_2)
	v_dual_cndmask_b32 v61, 0, v61 :: v_dual_lshlrev_b32 v2, 2, v2
	v_cndmask_b32_e32 v60, 3, v60, vcc_lo
	v_and_b32_e32 v2, 0xfc, v2
	s_delay_alu instid0(VALU_DEP_2) | instskip(NEXT) | instid1(VALU_DEP_2)
	v_cmp_eq_u64_e32 vcc_lo, 0, v[60:61]
	v_and_or_b32 v2, v60, 3, v2
	s_and_b32 s14, s14, vcc_lo
	s_delay_alu instid0(VALU_DEP_1) | instid1(SALU_CYCLE_1)
	v_cndmask_b32_e64 v2, v2, 0, s14
	s_delay_alu instid0(VALU_DEP_1)
	v_or_b32_e32 v91, v2, v18
.LBB2_2832:                             ;   in Loop: Header=BB2_2704 Depth=3
	s_or_b32 exec_lo, exec_lo, s43
                                        ; implicit-def: $vgpr18
.LBB2_2833:                             ;   in Loop: Header=BB2_2704 Depth=3
	s_and_not1_saveexec_b32 s14, s42
; %bb.2834:                             ;   in Loop: Header=BB2_2704 Depth=3
	v_or_b32_e32 v91, 0x7b, v18
; %bb.2835:                             ;   in Loop: Header=BB2_2704 Depth=3
	s_or_b32 exec_lo, exec_lo, s14
                                        ; implicit-def: $vgpr19
                                        ; implicit-def: $vgpr18
.LBB2_2836:                             ;   in Loop: Header=BB2_2704 Depth=3
	s_and_not1_saveexec_b32 s14, s15
	s_cbranch_execz .LBB2_2842
; %bb.2837:                             ;   in Loop: Header=BB2_2704 Depth=3
	s_mov_b32 s15, exec_lo
                                        ; implicit-def: $vgpr91
	v_cmpx_ne_u64_e32 0, v[2:3]
	s_xor_b32 s15, exec_lo, s15
; %bb.2838:                             ;   in Loop: Header=BB2_2704 Depth=3
	v_or_b32_e32 v91, 0x7f, v18
                                        ; implicit-def: $vgpr19
; %bb.2839:                             ;   in Loop: Header=BB2_2704 Depth=3
	s_and_not1_saveexec_b32 s15, s15
; %bb.2840:                             ;   in Loop: Header=BB2_2704 Depth=3
	v_cmp_lt_i32_e32 vcc_lo, -1, v19
	v_cndmask_b32_e32 v91, 0xfc, v110, vcc_lo
; %bb.2841:                             ;   in Loop: Header=BB2_2704 Depth=3
	s_or_b32 exec_lo, exec_lo, s15
.LBB2_2842:                             ;   in Loop: Header=BB2_2704 Depth=3
	s_delay_alu instid0(SALU_CYCLE_1) | instskip(SKIP_3) | instid1(VALU_DEP_2)
	s_or_b32 exec_lo, exec_lo, s14
	v_and_b32_e32 v19, 0xff, v13
	v_dual_mov_b32 v2, v13 :: v_dual_mov_b32 v18, 0
	s_mov_b32 s14, exec_lo
	v_cmpx_ne_u16_e32 0, v19
	s_cbranch_execz .LBB2_2852
; %bb.2843:                             ;   in Loop: Header=BB2_2704 Depth=3
	v_bfrev_b32_e32 v18, 1
	s_mov_b32 s15, exec_lo
	v_cmpx_ne_u16_e32 0x80, v19
	s_cbranch_execz .LBB2_2851
; %bb.2844:                             ;   in Loop: Header=BB2_2704 Depth=3
	v_and_b32_e32 v18, 0x7c, v13
	v_and_b32_e32 v19, 3, v13
	s_delay_alu instid0(VALU_DEP_2) | instskip(SKIP_1) | instid1(SALU_CYCLE_1)
	v_cmp_ne_u32_e32 vcc_lo, 0x7c, v18
                                        ; implicit-def: $vgpr18
	s_and_saveexec_b32 s42, vcc_lo
	s_xor_b32 s42, exec_lo, s42
	s_cbranch_execz .LBB2_2848
; %bb.2845:                             ;   in Loop: Header=BB2_2704 Depth=3
	v_bfe_u32 v18, v13, 2, 5
	s_mov_b32 s43, exec_lo
	s_delay_alu instid0(VALU_DEP_1)
	v_cmpx_eq_u32_e32 0, v18
; %bb.2846:                             ;   in Loop: Header=BB2_2704 Depth=3
	v_clz_i32_u32_e32 v18, v19
	s_delay_alu instid0(VALU_DEP_1) | instskip(NEXT) | instid1(VALU_DEP_1)
	v_min_u32_e32 v18, 32, v18
	v_subrev_nc_u32_e32 v19, 29, v18
	s_delay_alu instid0(VALU_DEP_1) | instskip(NEXT) | instid1(VALU_DEP_1)
	v_lshlrev_b64_e32 v[60:61], v19, v[2:3]
	v_dual_sub_nc_u32 v18, 30, v18 :: v_dual_bitop2_b32 v19, 3, v60 bitop3:0x40
; %bb.2847:                             ;   in Loop: Header=BB2_2704 Depth=3
	s_or_b32 exec_lo, exec_lo, s43
	v_lshlrev_b32_e32 v20, 24, v13
	s_delay_alu instid0(VALU_DEP_1) | instskip(NEXT) | instid1(VALU_DEP_1)
	v_and_b32_e32 v20, 0x80000000, v20
	v_lshl_add_u32 v18, v18, 23, v20
	s_delay_alu instid0(VALU_DEP_1) | instskip(NEXT) | instid1(VALU_DEP_1)
	v_lshl_or_b32 v18, v19, 21, v18
                                        ; implicit-def: $vgpr19
	v_add_nc_u32_e32 v18, 0x38000000, v18
.LBB2_2848:                             ;   in Loop: Header=BB2_2704 Depth=3
	s_and_not1_saveexec_b32 s42, s42
; %bb.2849:                             ;   in Loop: Header=BB2_2704 Depth=3
	v_bfe_i32 v18, v13, 0, 8
	s_delay_alu instid0(VALU_DEP_1) | instskip(SKIP_2) | instid1(VALU_DEP_2)
	v_cmp_lt_i16_e32 vcc_lo, -1, v18
	v_cndmask_b32_e32 v18, 0xff800000, v109, vcc_lo
	v_cmp_eq_u32_e32 vcc_lo, 0, v19
	v_cndmask_b32_e32 v18, 0x7f800001, v18, vcc_lo
; %bb.2850:                             ;   in Loop: Header=BB2_2704 Depth=3
	s_or_b32 exec_lo, exec_lo, s42
.LBB2_2851:                             ;   in Loop: Header=BB2_2704 Depth=3
	s_delay_alu instid0(SALU_CYCLE_1)
	s_or_b32 exec_lo, exec_lo, s15
.LBB2_2852:                             ;   in Loop: Header=BB2_2704 Depth=3
	s_delay_alu instid0(SALU_CYCLE_1) | instskip(SKIP_4) | instid1(VALU_DEP_2)
	s_or_b32 exec_lo, exec_lo, s14
	v_and_b32_e32 v61, 0xff, v9
	v_mov_b32_e32 v60, v9
	s_mov_b32 s15, 0
	s_mov_b32 s14, exec_lo
	v_cmpx_lt_i16_e32 0x7f, v61
	s_xor_b32 s14, exec_lo, s14
	s_cbranch_execz .LBB2_3265
; %bb.2853:                             ;   in Loop: Header=BB2_2704 Depth=3
	s_mov_b32 s15, -1
	s_mov_b32 s42, exec_lo
	v_cmpx_eq_u16_e32 0x80, v61
; %bb.2854:                             ;   in Loop: Header=BB2_2704 Depth=3
	s_xor_b32 s15, exec_lo, -1
; %bb.2855:                             ;   in Loop: Header=BB2_2704 Depth=3
	s_or_b32 exec_lo, exec_lo, s42
	s_delay_alu instid0(SALU_CYCLE_1)
	s_and_b32 s15, s15, exec_lo
                                        ; implicit-def: $vgpr61
	s_or_saveexec_b32 s14, s14
	v_bfrev_b32_e32 v19, 1
	s_xor_b32 exec_lo, exec_lo, s14
	s_cbranch_execnz .LBB2_3266
.LBB2_2856:                             ;   in Loop: Header=BB2_2704 Depth=3
	s_or_b32 exec_lo, exec_lo, s14
	v_mov_b32_e32 v61, v3
	s_and_saveexec_b32 s14, s15
	s_cbranch_execz .LBB2_2858
.LBB2_2857:                             ;   in Loop: Header=BB2_2704 Depth=3
	v_and_b32_e32 v19, 3, v9
	s_delay_alu instid0(VALU_DEP_1) | instskip(NEXT) | instid1(VALU_DEP_1)
	v_clz_i32_u32_e32 v20, v19
	v_min_u32_e32 v20, 32, v20
	s_delay_alu instid0(VALU_DEP_1) | instskip(NEXT) | instid1(VALU_DEP_1)
	v_subrev_nc_u32_e32 v21, 29, v20
	v_lshlrev_b64_e32 v[62:63], v21, v[60:61]
	v_bfe_u32 v61, v9, 2, 5
	v_dual_lshlrev_b32 v21, 24, v9 :: v_dual_sub_nc_u32 v20, 30, v20
	s_delay_alu instid0(VALU_DEP_2) | instskip(NEXT) | instid1(VALU_DEP_2)
	v_cmp_eq_u32_e32 vcc_lo, 0, v61
	v_and_b32_e32 v21, 0x80000000, v21
	s_delay_alu instid0(VALU_DEP_3) | instskip(SKIP_1) | instid1(VALU_DEP_2)
	v_dual_cndmask_b32 v20, v61, v20, vcc_lo :: v_dual_bitop2_b32 v62, 3, v62 bitop3:0x40
	v_bfe_i32 v61, v9, 0, 8
	v_cndmask_b32_e32 v62, v19, v62, vcc_lo
	s_delay_alu instid0(VALU_DEP_3) | instskip(NEXT) | instid1(VALU_DEP_3)
	v_lshl_add_u32 v20, v20, 23, v21
	v_cmp_lt_i16_e32 vcc_lo, -1, v61
	v_and_b32_e32 v61, 0x7c, v9
	s_delay_alu instid0(VALU_DEP_3) | instskip(SKIP_2) | instid1(VALU_DEP_3)
	v_lshl_or_b32 v20, v62, 21, v20
	v_cndmask_b32_e32 v21, 0xff800000, v109, vcc_lo
	v_cmp_eq_u32_e32 vcc_lo, 0, v19
	v_add_nc_u32_e32 v20, 0x38000000, v20
	s_delay_alu instid0(VALU_DEP_3) | instskip(SKIP_1) | instid1(VALU_DEP_2)
	v_cndmask_b32_e32 v19, 0x7f800001, v21, vcc_lo
	v_cmp_eq_u32_e32 vcc_lo, 0x7c, v61
	v_cndmask_b32_e32 v19, v20, v19, vcc_lo
.LBB2_2858:                             ;   in Loop: Header=BB2_2704 Depth=3
	s_or_b32 exec_lo, exec_lo, s14
	s_delay_alu instid0(VALU_DEP_1) | instskip(NEXT) | instid1(VALU_DEP_1)
	v_dual_mul_f32 v19, v18, v19 :: v_dual_mov_b32 v73, v3
	v_dual_mov_b32 v63, v3 :: v_dual_lshrrev_b32 v18, 24, v19
	v_and_b32_e32 v72, 0x7f800000, v19
	v_and_b32_e32 v62, 0x7fffff, v19
	s_delay_alu instid0(VALU_DEP_2) | instskip(SKIP_1) | instid1(SALU_CYCLE_1)
	v_cmp_ne_u64_e32 vcc_lo, 0x7f800000, v[72:73]
                                        ; implicit-def: $vgpr72
	s_and_saveexec_b32 s14, vcc_lo
	s_xor_b32 s15, exec_lo, s14
	s_cbranch_execz .LBB2_2872
; %bb.2859:                             ;   in Loop: Header=BB2_2704 Depth=3
	v_and_b32_e32 v72, 0x7fffffff, v19
	v_mov_b32_e32 v73, v3
	v_and_b32_e32 v18, 0x80, v18
	s_delay_alu instid0(VALU_DEP_2) | instskip(SKIP_1) | instid1(SALU_CYCLE_1)
	v_cmp_gt_u64_e32 vcc_lo, 0x47600001, v[72:73]
                                        ; implicit-def: $vgpr72
	s_and_saveexec_b32 s14, vcc_lo
	s_xor_b32 s42, exec_lo, s14
	s_cbranch_execz .LBB2_2869
; %bb.2860:                             ;   in Loop: Header=BB2_2704 Depth=3
	v_mov_b32_e32 v72, 0
	s_mov_b32 s43, exec_lo
	v_cmpx_ne_u32_e32 0, v19
	s_cbranch_execz .LBB2_2868
; %bb.2861:                             ;   in Loop: Header=BB2_2704 Depth=3
	v_bfe_u32 v19, v19, 23, 8
	v_or_b32_e32 v21, 0x800000, v62
	s_delay_alu instid0(VALU_DEP_2) | instskip(SKIP_1) | instid1(VALU_DEP_2)
	v_sub_nc_u32_e32 v20, 0x71, v19
	v_cmp_gt_u32_e32 vcc_lo, 0x72, v19
	v_cndmask_b32_e32 v20, 0, v20, vcc_lo
	v_cmp_eq_u32_e32 vcc_lo, 0, v19
	v_cndmask_b32_e32 v62, v21, v62, vcc_lo
	s_delay_alu instid0(VALU_DEP_3) | instskip(NEXT) | instid1(VALU_DEP_1)
	v_cndmask_b32_e64 v61, v20, 0x70, vcc_lo
	v_add_nc_u32_e32 v20, 21, v61
	s_delay_alu instid0(VALU_DEP_1) | instskip(SKIP_1) | instid1(VALU_DEP_1)
	v_lshlrev_b64_e64 v[72:73], v20, -1
	v_add_nc_u32_e32 v20, 20, v61
	v_lshlrev_b64_e64 v[92:93], v20, 1
	s_delay_alu instid0(VALU_DEP_3) | instskip(SKIP_2) | instid1(VALU_DEP_1)
	v_bfi_b32 v72, v72, 0, v62
	v_lshrrev_b64 v[62:63], v61, v[62:63]
	v_bfi_b32 v73, v73, 0, 0
	v_cmp_eq_u64_e64 s14, v[72:73], v[92:93]
	s_delay_alu instid0(VALU_DEP_3)
	v_mov_b64_e32 v[72:73], v[62:63]
	s_and_saveexec_b32 s75, s14
; %bb.2862:                             ;   in Loop: Header=BB2_2704 Depth=3
	v_bfe_u32 v72, v62, 21, 1
	v_mov_b32_e32 v73, v3
	s_delay_alu instid0(VALU_DEP_1) | instskip(NEXT) | instid1(VALU_DEP_1)
	v_add_nc_u64_e32 v[72:73], v[62:63], v[72:73]
	v_add_nc_u64_e32 v[72:73], -1, v[72:73]
; %bb.2863:                             ;   in Loop: Header=BB2_2704 Depth=3
	s_or_b32 exec_lo, exec_lo, s75
	v_add_nc_u32_e32 v19, 0xffffff81, v19
	v_dual_mov_b32 v63, v3 :: v_dual_lshrrev_b32 v20, 23, v62
	s_mov_b32 s14, exec_lo
	s_delay_alu instid0(VALU_DEP_2) | instskip(NEXT) | instid1(VALU_DEP_1)
	v_cndmask_b32_e64 v19, v19, 0xffffff82, vcc_lo
	v_add3_u32 v61, v61, v19, v20
	v_and_b32_e32 v19, 0x1fffff, v72
	s_delay_alu instid0(VALU_DEP_1) | instskip(NEXT) | instid1(VALU_DEP_1)
	v_dual_add_nc_u32 v72, 14, v61 :: v_dual_add_nc_u32 v62, v19, v62
                                        ; implicit-def: $vgpr19
	v_cmpx_ne_u32_e32 0, v72
	s_xor_b32 s14, exec_lo, s14
; %bb.2864:                             ;   in Loop: Header=BB2_2704 Depth=3
	s_delay_alu instid0(VALU_DEP_2) | instskip(SKIP_2) | instid1(VALU_DEP_2)
	v_cmp_lt_u64_e32 vcc_lo, 0xffffff, v[62:63]
	v_add_nc_u32_e32 v19, 15, v61
	v_cndmask_b32_e64 v20, 0, 1, vcc_lo
	v_cndmask_b32_e32 v19, v72, v19, vcc_lo
	s_delay_alu instid0(VALU_DEP_2)
	v_lshrrev_b64 v[62:63], v20, v[62:63]
; %bb.2865:                             ;   in Loop: Header=BB2_2704 Depth=3
	s_and_not1_saveexec_b32 s14, s14
; %bb.2866:                             ;   in Loop: Header=BB2_2704 Depth=3
	s_delay_alu instid0(VALU_DEP_1)
	v_bfe_u32 v19, v62, 23, 1
; %bb.2867:                             ;   in Loop: Header=BB2_2704 Depth=3
	s_or_b32 exec_lo, exec_lo, s14
	s_delay_alu instid0(VALU_DEP_2) | instskip(NEXT) | instid1(VALU_DEP_2)
	v_lshrrev_b64 v[62:63], 21, v[62:63]
	v_cmp_gt_i32_e32 vcc_lo, 32, v19
	v_min_i32_e32 v20, 31, v19
	v_cmp_eq_u32_e64 s14, 0, v19
	s_delay_alu instid0(VALU_DEP_2) | instskip(SKIP_1) | instid1(VALU_DEP_2)
	v_dual_cndmask_b32 v62, 3, v62, vcc_lo :: v_dual_lshlrev_b32 v20, 2, v20
	v_cndmask_b32_e32 v63, 0, v63, vcc_lo
	v_and_b32_e32 v20, 0xfc, v20
	s_delay_alu instid0(VALU_DEP_2) | instskip(NEXT) | instid1(VALU_DEP_2)
	v_cmp_eq_u64_e32 vcc_lo, 0, v[62:63]
	v_and_or_b32 v19, v62, 3, v20
	s_and_b32 s14, s14, vcc_lo
	s_delay_alu instid0(VALU_DEP_1) | instid1(SALU_CYCLE_1)
	v_cndmask_b32_e64 v19, v19, 0, s14
	s_delay_alu instid0(VALU_DEP_1)
	v_or_b32_e32 v72, v19, v18
.LBB2_2868:                             ;   in Loop: Header=BB2_2704 Depth=3
	s_or_b32 exec_lo, exec_lo, s43
                                        ; implicit-def: $vgpr18
.LBB2_2869:                             ;   in Loop: Header=BB2_2704 Depth=3
	s_and_not1_saveexec_b32 s14, s42
; %bb.2870:                             ;   in Loop: Header=BB2_2704 Depth=3
	v_or_b32_e32 v72, 0x7b, v18
; %bb.2871:                             ;   in Loop: Header=BB2_2704 Depth=3
	s_or_b32 exec_lo, exec_lo, s14
                                        ; implicit-def: $vgpr19
                                        ; implicit-def: $vgpr62_vgpr63
                                        ; implicit-def: $vgpr18
.LBB2_2872:                             ;   in Loop: Header=BB2_2704 Depth=3
	s_and_not1_saveexec_b32 s14, s15
	s_cbranch_execz .LBB2_2878
; %bb.2873:                             ;   in Loop: Header=BB2_2704 Depth=3
	s_mov_b32 s15, exec_lo
                                        ; implicit-def: $vgpr72
	v_cmpx_ne_u64_e32 0, v[62:63]
	s_xor_b32 s15, exec_lo, s15
; %bb.2874:                             ;   in Loop: Header=BB2_2704 Depth=3
	v_or_b32_e32 v72, 0x7f, v18
                                        ; implicit-def: $vgpr19
; %bb.2875:                             ;   in Loop: Header=BB2_2704 Depth=3
	s_and_not1_saveexec_b32 s15, s15
; %bb.2876:                             ;   in Loop: Header=BB2_2704 Depth=3
	v_cmp_lt_i32_e32 vcc_lo, -1, v19
	v_cndmask_b32_e32 v72, 0xfc, v110, vcc_lo
; %bb.2877:                             ;   in Loop: Header=BB2_2704 Depth=3
	s_or_b32 exec_lo, exec_lo, s15
.LBB2_2878:                             ;   in Loop: Header=BB2_2704 Depth=3
	s_delay_alu instid0(SALU_CYCLE_1) | instskip(SKIP_3) | instid1(VALU_DEP_2)
	s_or_b32 exec_lo, exec_lo, s14
	v_lshrrev_b16 v62, 8, v2
	v_mov_b32_e32 v18, 0
	s_mov_b32 s14, exec_lo
	v_cmpx_ne_u16_e32 0, v62
	s_cbranch_execz .LBB2_2888
; %bb.2879:                             ;   in Loop: Header=BB2_2704 Depth=3
	v_bfrev_b32_e32 v18, 1
	s_mov_b32 s15, exec_lo
	v_cmpx_ne_u16_e32 0x80, v62
	s_cbranch_execz .LBB2_2887
; %bb.2880:                             ;   in Loop: Header=BB2_2704 Depth=3
	v_and_b32_e32 v61, 0xffff, v62
	s_delay_alu instid0(VALU_DEP_1) | instskip(SKIP_1) | instid1(VALU_DEP_2)
	v_and_b32_e32 v18, 0x7c, v61
	v_and_b32_e32 v19, 3, v61
	v_cmp_ne_u32_e32 vcc_lo, 0x7c, v18
                                        ; implicit-def: $vgpr18
	s_and_saveexec_b32 s42, vcc_lo
	s_delay_alu instid0(SALU_CYCLE_1)
	s_xor_b32 s42, exec_lo, s42
	s_cbranch_execz .LBB2_2884
; %bb.2881:                             ;   in Loop: Header=BB2_2704 Depth=3
	v_bfe_u32 v18, v61, 2, 5
	s_mov_b32 s43, exec_lo
	s_delay_alu instid0(VALU_DEP_1)
	v_cmpx_eq_u32_e32 0, v18
	s_cbranch_execz .LBB2_2883
; %bb.2882:                             ;   in Loop: Header=BB2_2704 Depth=3
	v_clz_i32_u32_e32 v18, v19
	s_delay_alu instid0(VALU_DEP_1) | instskip(SKIP_1) | instid1(VALU_DEP_2)
	v_min_u32_e32 v18, 32, v18
	v_mov_b32_e32 v63, v3
	v_subrev_nc_u32_e32 v19, 29, v18
	v_sub_nc_u32_e32 v18, 30, v18
	s_delay_alu instid0(VALU_DEP_2) | instskip(NEXT) | instid1(VALU_DEP_1)
	v_lshlrev_b64_e32 v[62:63], v19, v[62:63]
	v_and_b32_e32 v19, 3, v62
.LBB2_2883:                             ;   in Loop: Header=BB2_2704 Depth=3
	s_or_b32 exec_lo, exec_lo, s43
	v_lshlrev_b32_e32 v2, 16, v2
	s_delay_alu instid0(VALU_DEP_1) | instskip(NEXT) | instid1(VALU_DEP_1)
	v_and_b32_e32 v2, 0x80000000, v2
	v_lshl_add_u32 v2, v18, 23, v2
	s_delay_alu instid0(VALU_DEP_1) | instskip(NEXT) | instid1(VALU_DEP_1)
	v_lshl_or_b32 v2, v19, 21, v2
                                        ; implicit-def: $vgpr19
	v_add_nc_u32_e32 v18, 0x38000000, v2
.LBB2_2884:                             ;   in Loop: Header=BB2_2704 Depth=3
	s_and_not1_saveexec_b32 s42, s42
; %bb.2885:                             ;   in Loop: Header=BB2_2704 Depth=3
	v_cmp_lt_i16_e32 vcc_lo, -1, v2
	v_cndmask_b32_e32 v2, 0xff800000, v109, vcc_lo
	v_cmp_eq_u32_e32 vcc_lo, 0, v19
	s_delay_alu instid0(VALU_DEP_2)
	v_cndmask_b32_e32 v18, 0x7f800001, v2, vcc_lo
; %bb.2886:                             ;   in Loop: Header=BB2_2704 Depth=3
	s_or_b32 exec_lo, exec_lo, s42
.LBB2_2887:                             ;   in Loop: Header=BB2_2704 Depth=3
	s_delay_alu instid0(SALU_CYCLE_1)
	s_or_b32 exec_lo, exec_lo, s15
.LBB2_2888:                             ;   in Loop: Header=BB2_2704 Depth=3
	s_delay_alu instid0(SALU_CYCLE_1) | instskip(SKIP_3) | instid1(VALU_DEP_1)
	s_or_b32 exec_lo, exec_lo, s14
	v_lshrrev_b16 v2, 8, v60
	s_mov_b32 s15, 0
	s_mov_b32 s14, exec_lo
	v_cmpx_lt_i16_e32 0x7f, v2
	s_xor_b32 s14, exec_lo, s14
	s_cbranch_execz .LBB2_3267
; %bb.2889:                             ;   in Loop: Header=BB2_2704 Depth=3
	s_mov_b32 s15, -1
	s_mov_b32 s42, exec_lo
	v_cmpx_eq_u16_e32 0x80, v2
; %bb.2890:                             ;   in Loop: Header=BB2_2704 Depth=3
	s_xor_b32 s15, exec_lo, -1
; %bb.2891:                             ;   in Loop: Header=BB2_2704 Depth=3
	s_or_b32 exec_lo, exec_lo, s42
	s_delay_alu instid0(SALU_CYCLE_1)
	s_and_b32 s15, s15, exec_lo
	s_or_saveexec_b32 s14, s14
	v_bfrev_b32_e32 v19, 1
	s_xor_b32 exec_lo, exec_lo, s14
	s_cbranch_execnz .LBB2_3268
.LBB2_2892:                             ;   in Loop: Header=BB2_2704 Depth=3
	s_or_b32 exec_lo, exec_lo, s14
	s_and_saveexec_b32 s14, s15
	s_cbranch_execz .LBB2_2894
.LBB2_2893:                             ;   in Loop: Header=BB2_2704 Depth=3
	v_and_b32_e32 v19, 0xffff, v2
	s_delay_alu instid0(VALU_DEP_1) | instskip(NEXT) | instid1(VALU_DEP_1)
	v_and_b32_e32 v20, 3, v19
	v_clz_i32_u32_e32 v21, v20
	s_delay_alu instid0(VALU_DEP_1) | instskip(NEXT) | instid1(VALU_DEP_1)
	v_min_u32_e32 v21, 32, v21
	v_subrev_nc_u32_e32 v61, 29, v21
	s_delay_alu instid0(VALU_DEP_1) | instskip(SKIP_3) | instid1(VALU_DEP_3)
	v_lshlrev_b64_e32 v[62:63], v61, v[2:3]
	v_bfe_u32 v61, v19, 2, 5
	v_dual_lshlrev_b32 v2, 24, v2 :: v_dual_sub_nc_u32 v21, 30, v21
	v_and_b32_e32 v19, 0x7c, v19
	v_cmp_eq_u32_e32 vcc_lo, 0, v61
	s_delay_alu instid0(VALU_DEP_3) | instskip(NEXT) | instid1(VALU_DEP_4)
	v_and_b32_e32 v2, 0x80000000, v2
	v_dual_cndmask_b32 v21, v61, v21, vcc_lo :: v_dual_bitop2_b32 v62, 3, v62 bitop3:0x40
	s_delay_alu instid0(VALU_DEP_1) | instskip(SKIP_1) | instid1(VALU_DEP_3)
	v_cndmask_b32_e32 v61, v20, v62, vcc_lo
	v_cmp_lt_i16_e32 vcc_lo, -1, v60
	v_lshl_add_u32 v2, v21, 23, v2
	v_cndmask_b32_e32 v21, 0xff800000, v109, vcc_lo
	v_cmp_eq_u32_e32 vcc_lo, 0, v20
	s_delay_alu instid0(VALU_DEP_3) | instskip(NEXT) | instid1(VALU_DEP_3)
	v_lshl_or_b32 v2, v61, 21, v2
	v_cndmask_b32_e32 v20, 0x7f800001, v21, vcc_lo
	s_delay_alu instid0(VALU_DEP_2) | instskip(SKIP_1) | instid1(VALU_DEP_2)
	v_add_nc_u32_e32 v2, 0x38000000, v2
	v_cmp_eq_u32_e32 vcc_lo, 0x7c, v19
	v_cndmask_b32_e32 v19, v2, v20, vcc_lo
.LBB2_2894:                             ;   in Loop: Header=BB2_2704 Depth=3
	s_or_b32 exec_lo, exec_lo, s14
	s_delay_alu instid0(VALU_DEP_1) | instskip(SKIP_1) | instid1(VALU_DEP_1)
	v_dual_mul_f32 v19, v18, v19 :: v_dual_mov_b32 v61, v3
                                        ; implicit-def: $vgpr73
	s_mov_b32 s14, exec_lo
	v_and_b32_e32 v60, 0x7f800000, v19
	v_and_b32_e32 v2, 0x7fffff, v19
	v_lshrrev_b32_e32 v18, 24, v19
	s_delay_alu instid0(VALU_DEP_3)
	v_cmpx_ne_u64_e32 0x7f800000, v[60:61]
	s_xor_b32 s15, exec_lo, s14
	s_cbranch_execz .LBB2_2908
; %bb.2895:                             ;   in Loop: Header=BB2_2704 Depth=3
	v_and_b32_e32 v60, 0x7fffffff, v19
	v_mov_b32_e32 v61, v3
	v_and_b32_e32 v18, 0x80, v18
                                        ; implicit-def: $vgpr73
	s_mov_b32 s14, exec_lo
	s_delay_alu instid0(VALU_DEP_2)
	v_cmpx_gt_u64_e32 0x47600001, v[60:61]
	s_xor_b32 s42, exec_lo, s14
	s_cbranch_execz .LBB2_2905
; %bb.2896:                             ;   in Loop: Header=BB2_2704 Depth=3
	v_mov_b32_e32 v73, 0
	s_mov_b32 s43, exec_lo
	v_cmpx_ne_u32_e32 0, v19
	s_cbranch_execz .LBB2_2904
; %bb.2897:                             ;   in Loop: Header=BB2_2704 Depth=3
	v_bfe_u32 v19, v19, 23, 8
	v_or_b32_e32 v21, 0x800000, v2
	s_delay_alu instid0(VALU_DEP_2) | instskip(SKIP_1) | instid1(VALU_DEP_2)
	v_sub_nc_u32_e32 v20, 0x71, v19
	v_cmp_gt_u32_e32 vcc_lo, 0x72, v19
	v_cndmask_b32_e32 v20, 0, v20, vcc_lo
	v_cmp_eq_u32_e32 vcc_lo, 0, v19
	v_cndmask_b32_e32 v2, v21, v2, vcc_lo
	s_delay_alu instid0(VALU_DEP_3) | instskip(NEXT) | instid1(VALU_DEP_1)
	v_cndmask_b32_e64 v73, v20, 0x70, vcc_lo
	v_add_nc_u32_e32 v20, 21, v73
	s_delay_alu instid0(VALU_DEP_1) | instskip(SKIP_1) | instid1(VALU_DEP_1)
	v_lshlrev_b64_e64 v[60:61], v20, -1
	v_add_nc_u32_e32 v20, 20, v73
	v_lshlrev_b64_e64 v[62:63], v20, 1
	s_delay_alu instid0(VALU_DEP_3) | instskip(NEXT) | instid1(VALU_DEP_4)
	v_bfi_b32 v93, v61, 0, 0
	v_bfi_b32 v92, v60, 0, v2
	v_lshrrev_b64 v[60:61], v73, v[2:3]
	s_delay_alu instid0(VALU_DEP_2) | instskip(NEXT) | instid1(VALU_DEP_2)
	v_cmp_eq_u64_e64 s14, v[92:93], v[62:63]
	v_mov_b64_e32 v[62:63], v[60:61]
	s_and_saveexec_b32 s75, s14
; %bb.2898:                             ;   in Loop: Header=BB2_2704 Depth=3
	v_bfe_u32 v2, v60, 21, 1
	s_delay_alu instid0(VALU_DEP_1) | instskip(NEXT) | instid1(VALU_DEP_1)
	v_add_nc_u64_e32 v[62:63], v[60:61], v[2:3]
	v_add_nc_u64_e32 v[62:63], -1, v[62:63]
; %bb.2899:                             ;   in Loop: Header=BB2_2704 Depth=3
	s_or_b32 exec_lo, exec_lo, s75
	v_add_nc_u32_e32 v2, 0xffffff81, v19
	v_lshrrev_b32_e32 v19, 23, v60
	s_mov_b32 s14, exec_lo
	s_delay_alu instid0(VALU_DEP_2) | instskip(NEXT) | instid1(VALU_DEP_1)
	v_cndmask_b32_e64 v2, v2, 0xffffff82, vcc_lo
	v_add3_u32 v63, v73, v2, v19
	v_and_b32_e32 v2, 0x1fffff, v62
                                        ; implicit-def: $vgpr19
	s_delay_alu instid0(VALU_DEP_1) | instskip(NEXT) | instid1(VALU_DEP_1)
	v_dual_add_nc_u32 v62, 14, v63 :: v_dual_add_nc_u32 v2, v2, v60
                                        ; implicit-def: $vgpr60_vgpr61
	v_cmpx_ne_u32_e32 0, v62
	s_xor_b32 s14, exec_lo, s14
; %bb.2900:                             ;   in Loop: Header=BB2_2704 Depth=3
	s_delay_alu instid0(VALU_DEP_2) | instskip(SKIP_2) | instid1(VALU_DEP_2)
	v_cmp_lt_u64_e32 vcc_lo, 0xffffff, v[2:3]
	v_add_nc_u32_e32 v19, 15, v63
	v_cndmask_b32_e64 v20, 0, 1, vcc_lo
	v_cndmask_b32_e32 v19, v62, v19, vcc_lo
	s_delay_alu instid0(VALU_DEP_2)
	v_lshrrev_b64 v[60:61], v20, v[2:3]
; %bb.2901:                             ;   in Loop: Header=BB2_2704 Depth=3
	s_and_not1_saveexec_b32 s14, s14
; %bb.2902:                             ;   in Loop: Header=BB2_2704 Depth=3
	v_mov_b64_e32 v[60:61], v[2:3]
	v_bfe_u32 v19, v2, 23, 1
; %bb.2903:                             ;   in Loop: Header=BB2_2704 Depth=3
	s_or_b32 exec_lo, exec_lo, s14
	s_delay_alu instid0(VALU_DEP_2) | instskip(NEXT) | instid1(VALU_DEP_2)
	v_lshrrev_b64 v[60:61], 21, v[60:61]
	v_cmp_gt_i32_e32 vcc_lo, 32, v19
	v_min_i32_e32 v2, 31, v19
	v_cmp_eq_u32_e64 s14, 0, v19
	s_delay_alu instid0(VALU_DEP_2) | instskip(SKIP_1) | instid1(VALU_DEP_2)
	v_dual_cndmask_b32 v61, 0, v61 :: v_dual_lshlrev_b32 v2, 2, v2
	v_cndmask_b32_e32 v60, 3, v60, vcc_lo
	v_and_b32_e32 v2, 0xfc, v2
	s_delay_alu instid0(VALU_DEP_2) | instskip(NEXT) | instid1(VALU_DEP_2)
	v_cmp_eq_u64_e32 vcc_lo, 0, v[60:61]
	v_and_or_b32 v2, v60, 3, v2
	s_and_b32 s14, s14, vcc_lo
	s_delay_alu instid0(VALU_DEP_1) | instid1(SALU_CYCLE_1)
	v_cndmask_b32_e64 v2, v2, 0, s14
	s_delay_alu instid0(VALU_DEP_1)
	v_or_b32_e32 v73, v2, v18
.LBB2_2904:                             ;   in Loop: Header=BB2_2704 Depth=3
	s_or_b32 exec_lo, exec_lo, s43
                                        ; implicit-def: $vgpr18
.LBB2_2905:                             ;   in Loop: Header=BB2_2704 Depth=3
	s_and_not1_saveexec_b32 s14, s42
; %bb.2906:                             ;   in Loop: Header=BB2_2704 Depth=3
	v_or_b32_e32 v73, 0x7b, v18
; %bb.2907:                             ;   in Loop: Header=BB2_2704 Depth=3
	s_or_b32 exec_lo, exec_lo, s14
                                        ; implicit-def: $vgpr19
                                        ; implicit-def: $vgpr18
.LBB2_2908:                             ;   in Loop: Header=BB2_2704 Depth=3
	s_and_not1_saveexec_b32 s14, s15
	s_cbranch_execz .LBB2_2914
; %bb.2909:                             ;   in Loop: Header=BB2_2704 Depth=3
	s_mov_b32 s15, exec_lo
                                        ; implicit-def: $vgpr73
	v_cmpx_ne_u64_e32 0, v[2:3]
	s_xor_b32 s15, exec_lo, s15
; %bb.2910:                             ;   in Loop: Header=BB2_2704 Depth=3
	v_or_b32_e32 v73, 0x7f, v18
                                        ; implicit-def: $vgpr19
; %bb.2911:                             ;   in Loop: Header=BB2_2704 Depth=3
	s_and_not1_saveexec_b32 s15, s15
; %bb.2912:                             ;   in Loop: Header=BB2_2704 Depth=3
	v_cmp_lt_i32_e32 vcc_lo, -1, v19
	v_cndmask_b32_e32 v73, 0xfc, v110, vcc_lo
; %bb.2913:                             ;   in Loop: Header=BB2_2704 Depth=3
	s_or_b32 exec_lo, exec_lo, s15
.LBB2_2914:                             ;   in Loop: Header=BB2_2704 Depth=3
	s_delay_alu instid0(SALU_CYCLE_1) | instskip(SKIP_2) | instid1(VALU_DEP_1)
	s_or_b32 exec_lo, exec_lo, s14
	v_dual_lshrrev_b32 v2, 16, v13 :: v_dual_mov_b32 v18, 0
	s_mov_b32 s14, exec_lo
	v_and_b32_e32 v19, 0xff, v2
	s_delay_alu instid0(VALU_DEP_1)
	v_cmpx_ne_u16_e32 0, v19
	s_cbranch_execz .LBB2_2924
; %bb.2915:                             ;   in Loop: Header=BB2_2704 Depth=3
	v_bfrev_b32_e32 v18, 1
	s_mov_b32 s15, exec_lo
	v_cmpx_ne_u16_e32 0x80, v19
	s_cbranch_execz .LBB2_2923
; %bb.2916:                             ;   in Loop: Header=BB2_2704 Depth=3
	v_and_b32_e32 v18, 0x7c0000, v13
	v_bfe_u32 v19, v13, 16, 2
	s_delay_alu instid0(VALU_DEP_2) | instskip(SKIP_1) | instid1(SALU_CYCLE_1)
	v_cmp_ne_u32_e32 vcc_lo, 0x7c0000, v18
                                        ; implicit-def: $vgpr18
	s_and_saveexec_b32 s42, vcc_lo
	s_xor_b32 s42, exec_lo, s42
	s_cbranch_execz .LBB2_2920
; %bb.2917:                             ;   in Loop: Header=BB2_2704 Depth=3
	v_bfe_u32 v18, v13, 18, 5
	s_mov_b32 s43, exec_lo
	s_delay_alu instid0(VALU_DEP_1)
	v_cmpx_eq_u32_e32 0, v18
; %bb.2918:                             ;   in Loop: Header=BB2_2704 Depth=3
	v_clz_i32_u32_e32 v18, v19
	s_delay_alu instid0(VALU_DEP_1) | instskip(NEXT) | instid1(VALU_DEP_1)
	v_min_u32_e32 v18, 32, v18
	v_subrev_nc_u32_e32 v19, 29, v18
	s_delay_alu instid0(VALU_DEP_1) | instskip(NEXT) | instid1(VALU_DEP_1)
	v_lshlrev_b64_e32 v[60:61], v19, v[2:3]
	v_dual_sub_nc_u32 v18, 30, v18 :: v_dual_bitop2_b32 v19, 3, v60 bitop3:0x40
; %bb.2919:                             ;   in Loop: Header=BB2_2704 Depth=3
	s_or_b32 exec_lo, exec_lo, s43
	v_lshlrev_b32_e32 v2, 24, v2
	s_delay_alu instid0(VALU_DEP_1) | instskip(NEXT) | instid1(VALU_DEP_1)
	v_and_b32_e32 v2, 0x80000000, v2
	v_lshl_add_u32 v2, v18, 23, v2
	s_delay_alu instid0(VALU_DEP_1) | instskip(NEXT) | instid1(VALU_DEP_1)
	v_lshl_or_b32 v2, v19, 21, v2
                                        ; implicit-def: $vgpr19
	v_add_nc_u32_e32 v18, 0x38000000, v2
                                        ; implicit-def: $vgpr2
.LBB2_2920:                             ;   in Loop: Header=BB2_2704 Depth=3
	s_and_not1_saveexec_b32 s42, s42
; %bb.2921:                             ;   in Loop: Header=BB2_2704 Depth=3
	v_bfe_i32 v2, v2, 0, 8
	s_delay_alu instid0(VALU_DEP_1) | instskip(SKIP_2) | instid1(VALU_DEP_2)
	v_cmp_lt_i16_e32 vcc_lo, -1, v2
	v_cndmask_b32_e32 v2, 0xff800000, v109, vcc_lo
	v_cmp_eq_u32_e32 vcc_lo, 0, v19
	v_cndmask_b32_e32 v18, 0x7f800001, v2, vcc_lo
; %bb.2922:                             ;   in Loop: Header=BB2_2704 Depth=3
	s_or_b32 exec_lo, exec_lo, s42
.LBB2_2923:                             ;   in Loop: Header=BB2_2704 Depth=3
	s_delay_alu instid0(SALU_CYCLE_1)
	s_or_b32 exec_lo, exec_lo, s15
.LBB2_2924:                             ;   in Loop: Header=BB2_2704 Depth=3
	s_delay_alu instid0(SALU_CYCLE_1) | instskip(SKIP_3) | instid1(VALU_DEP_1)
	s_or_b32 exec_lo, exec_lo, s14
	v_lshrrev_b32_e32 v2, 16, v9
	s_mov_b32 s15, 0
	s_mov_b32 s14, exec_lo
	v_and_b32_e32 v60, 0xff, v2
	s_delay_alu instid0(VALU_DEP_1)
	v_cmpx_lt_i16_e32 0x7f, v60
	s_xor_b32 s14, exec_lo, s14
	s_cbranch_execz .LBB2_3269
; %bb.2925:                             ;   in Loop: Header=BB2_2704 Depth=3
	s_mov_b32 s15, -1
	s_mov_b32 s42, exec_lo
	v_cmpx_eq_u16_e32 0x80, v60
; %bb.2926:                             ;   in Loop: Header=BB2_2704 Depth=3
	s_xor_b32 s15, exec_lo, -1
; %bb.2927:                             ;   in Loop: Header=BB2_2704 Depth=3
	s_or_b32 exec_lo, exec_lo, s42
	s_delay_alu instid0(SALU_CYCLE_1)
	s_and_b32 s15, s15, exec_lo
                                        ; implicit-def: $vgpr60
	s_or_saveexec_b32 s14, s14
	v_bfrev_b32_e32 v19, 1
	s_xor_b32 exec_lo, exec_lo, s14
	s_cbranch_execnz .LBB2_3270
.LBB2_2928:                             ;   in Loop: Header=BB2_2704 Depth=3
	s_or_b32 exec_lo, exec_lo, s14
	s_and_saveexec_b32 s14, s15
	s_cbranch_execz .LBB2_2930
.LBB2_2929:                             ;   in Loop: Header=BB2_2704 Depth=3
	v_and_b32_e32 v19, 3, v2
	s_delay_alu instid0(VALU_DEP_1) | instskip(NEXT) | instid1(VALU_DEP_1)
	v_clz_i32_u32_e32 v20, v19
	v_min_u32_e32 v20, 32, v20
	s_delay_alu instid0(VALU_DEP_1) | instskip(SKIP_1) | instid1(VALU_DEP_2)
	v_subrev_nc_u32_e32 v21, 29, v20
	v_sub_nc_u32_e32 v20, 30, v20
	v_lshlrev_b64_e32 v[60:61], v21, v[2:3]
	v_bfe_u32 v61, v9, 18, 5
	v_lshlrev_b32_e32 v21, 24, v2
	v_bfe_i32 v2, v2, 0, 8
	s_delay_alu instid0(VALU_DEP_3) | instskip(NEXT) | instid1(VALU_DEP_3)
	v_cmp_eq_u32_e32 vcc_lo, 0, v61
	v_and_b32_e32 v21, 0x80000000, v21
	v_and_b32_e32 v60, 3, v60
	v_cndmask_b32_e32 v20, v61, v20, vcc_lo
	s_delay_alu instid0(VALU_DEP_2) | instskip(SKIP_1) | instid1(VALU_DEP_3)
	v_cndmask_b32_e32 v60, v19, v60, vcc_lo
	v_cmp_lt_i16_e32 vcc_lo, -1, v2
	v_lshl_add_u32 v20, v20, 23, v21
	v_and_b32_e32 v21, 0x7c0000, v9
	v_cndmask_b32_e32 v2, 0xff800000, v109, vcc_lo
	v_cmp_eq_u32_e32 vcc_lo, 0, v19
	s_delay_alu instid0(VALU_DEP_4) | instskip(NEXT) | instid1(VALU_DEP_3)
	v_lshl_or_b32 v20, v60, 21, v20
	v_cndmask_b32_e32 v2, 0x7f800001, v2, vcc_lo
	s_delay_alu instid0(VALU_DEP_2) | instskip(SKIP_1) | instid1(VALU_DEP_2)
	v_add_nc_u32_e32 v19, 0x38000000, v20
	v_cmp_eq_u32_e32 vcc_lo, 0x7c0000, v21
	v_cndmask_b32_e32 v19, v19, v2, vcc_lo
.LBB2_2930:                             ;   in Loop: Header=BB2_2704 Depth=3
	s_or_b32 exec_lo, exec_lo, s14
	s_delay_alu instid0(VALU_DEP_1) | instskip(SKIP_1) | instid1(VALU_DEP_1)
	v_dual_mul_f32 v19, v18, v19 :: v_dual_mov_b32 v61, v3
                                        ; implicit-def: $vgpr62
	s_mov_b32 s14, exec_lo
	v_and_b32_e32 v60, 0x7f800000, v19
	v_and_b32_e32 v2, 0x7fffff, v19
	v_lshrrev_b32_e32 v18, 24, v19
	s_delay_alu instid0(VALU_DEP_3)
	v_cmpx_ne_u64_e32 0x7f800000, v[60:61]
	s_xor_b32 s15, exec_lo, s14
	s_cbranch_execz .LBB2_2944
; %bb.2931:                             ;   in Loop: Header=BB2_2704 Depth=3
	v_and_b32_e32 v60, 0x7fffffff, v19
	v_mov_b32_e32 v61, v3
	v_and_b32_e32 v18, 0x80, v18
                                        ; implicit-def: $vgpr62
	s_mov_b32 s14, exec_lo
	s_delay_alu instid0(VALU_DEP_2)
	v_cmpx_gt_u64_e32 0x47600001, v[60:61]
	s_xor_b32 s42, exec_lo, s14
	s_cbranch_execz .LBB2_2941
; %bb.2932:                             ;   in Loop: Header=BB2_2704 Depth=3
	v_mov_b32_e32 v62, 0
	s_mov_b32 s43, exec_lo
	v_cmpx_ne_u32_e32 0, v19
	s_cbranch_execz .LBB2_2940
; %bb.2933:                             ;   in Loop: Header=BB2_2704 Depth=3
	v_bfe_u32 v19, v19, 23, 8
	v_or_b32_e32 v21, 0x800000, v2
	s_delay_alu instid0(VALU_DEP_2) | instskip(SKIP_1) | instid1(VALU_DEP_2)
	v_sub_nc_u32_e32 v20, 0x71, v19
	v_cmp_gt_u32_e32 vcc_lo, 0x72, v19
	v_cndmask_b32_e32 v20, 0, v20, vcc_lo
	v_cmp_eq_u32_e32 vcc_lo, 0, v19
	v_cndmask_b32_e32 v2, v21, v2, vcc_lo
	s_delay_alu instid0(VALU_DEP_3) | instskip(NEXT) | instid1(VALU_DEP_1)
	v_cndmask_b32_e64 v92, v20, 0x70, vcc_lo
	v_add_nc_u32_e32 v20, 21, v92
	s_delay_alu instid0(VALU_DEP_1) | instskip(SKIP_1) | instid1(VALU_DEP_1)
	v_lshlrev_b64_e64 v[60:61], v20, -1
	v_add_nc_u32_e32 v20, 20, v92
	v_lshlrev_b64_e64 v[62:63], v20, 1
	s_delay_alu instid0(VALU_DEP_3) | instskip(NEXT) | instid1(VALU_DEP_4)
	v_bfi_b32 v95, v61, 0, 0
	v_bfi_b32 v94, v60, 0, v2
	v_lshrrev_b64 v[60:61], v92, v[2:3]
	s_delay_alu instid0(VALU_DEP_2) | instskip(NEXT) | instid1(VALU_DEP_2)
	v_cmp_eq_u64_e64 s14, v[94:95], v[62:63]
	v_mov_b64_e32 v[62:63], v[60:61]
	s_and_saveexec_b32 s75, s14
; %bb.2934:                             ;   in Loop: Header=BB2_2704 Depth=3
	v_bfe_u32 v2, v60, 21, 1
	s_delay_alu instid0(VALU_DEP_1) | instskip(NEXT) | instid1(VALU_DEP_1)
	v_add_nc_u64_e32 v[62:63], v[60:61], v[2:3]
	v_add_nc_u64_e32 v[62:63], -1, v[62:63]
; %bb.2935:                             ;   in Loop: Header=BB2_2704 Depth=3
	s_or_b32 exec_lo, exec_lo, s75
	v_add_nc_u32_e32 v2, 0xffffff81, v19
	v_lshrrev_b32_e32 v19, 23, v60
	s_mov_b32 s14, exec_lo
	s_delay_alu instid0(VALU_DEP_2) | instskip(NEXT) | instid1(VALU_DEP_1)
	v_cndmask_b32_e64 v2, v2, 0xffffff82, vcc_lo
	v_add3_u32 v63, v92, v2, v19
	v_and_b32_e32 v2, 0x1fffff, v62
                                        ; implicit-def: $vgpr19
	s_delay_alu instid0(VALU_DEP_1) | instskip(NEXT) | instid1(VALU_DEP_1)
	v_dual_add_nc_u32 v62, 14, v63 :: v_dual_add_nc_u32 v2, v2, v60
                                        ; implicit-def: $vgpr60_vgpr61
	v_cmpx_ne_u32_e32 0, v62
	s_xor_b32 s14, exec_lo, s14
; %bb.2936:                             ;   in Loop: Header=BB2_2704 Depth=3
	s_delay_alu instid0(VALU_DEP_2) | instskip(SKIP_2) | instid1(VALU_DEP_2)
	v_cmp_lt_u64_e32 vcc_lo, 0xffffff, v[2:3]
	v_add_nc_u32_e32 v19, 15, v63
	v_cndmask_b32_e64 v20, 0, 1, vcc_lo
	v_cndmask_b32_e32 v19, v62, v19, vcc_lo
	s_delay_alu instid0(VALU_DEP_2)
	v_lshrrev_b64 v[60:61], v20, v[2:3]
; %bb.2937:                             ;   in Loop: Header=BB2_2704 Depth=3
	s_and_not1_saveexec_b32 s14, s14
; %bb.2938:                             ;   in Loop: Header=BB2_2704 Depth=3
	v_mov_b64_e32 v[60:61], v[2:3]
	v_bfe_u32 v19, v2, 23, 1
; %bb.2939:                             ;   in Loop: Header=BB2_2704 Depth=3
	s_or_b32 exec_lo, exec_lo, s14
	s_delay_alu instid0(VALU_DEP_2) | instskip(NEXT) | instid1(VALU_DEP_2)
	v_lshrrev_b64 v[60:61], 21, v[60:61]
	v_cmp_gt_i32_e32 vcc_lo, 32, v19
	v_min_i32_e32 v2, 31, v19
	v_cmp_eq_u32_e64 s14, 0, v19
	s_delay_alu instid0(VALU_DEP_2) | instskip(SKIP_1) | instid1(VALU_DEP_2)
	v_dual_cndmask_b32 v61, 0, v61 :: v_dual_lshlrev_b32 v2, 2, v2
	v_cndmask_b32_e32 v60, 3, v60, vcc_lo
	v_and_b32_e32 v2, 0xfc, v2
	s_delay_alu instid0(VALU_DEP_2) | instskip(NEXT) | instid1(VALU_DEP_2)
	v_cmp_eq_u64_e32 vcc_lo, 0, v[60:61]
	v_and_or_b32 v2, v60, 3, v2
	s_and_b32 s14, s14, vcc_lo
	s_delay_alu instid0(VALU_DEP_1) | instid1(SALU_CYCLE_1)
	v_cndmask_b32_e64 v2, v2, 0, s14
	s_delay_alu instid0(VALU_DEP_1)
	v_or_b32_e32 v62, v2, v18
.LBB2_2940:                             ;   in Loop: Header=BB2_2704 Depth=3
	s_or_b32 exec_lo, exec_lo, s43
                                        ; implicit-def: $vgpr18
.LBB2_2941:                             ;   in Loop: Header=BB2_2704 Depth=3
	s_and_not1_saveexec_b32 s14, s42
; %bb.2942:                             ;   in Loop: Header=BB2_2704 Depth=3
	v_or_b32_e32 v62, 0x7b, v18
; %bb.2943:                             ;   in Loop: Header=BB2_2704 Depth=3
	s_or_b32 exec_lo, exec_lo, s14
                                        ; implicit-def: $vgpr19
                                        ; implicit-def: $vgpr18
.LBB2_2944:                             ;   in Loop: Header=BB2_2704 Depth=3
	s_and_not1_saveexec_b32 s14, s15
	s_cbranch_execz .LBB2_2950
; %bb.2945:                             ;   in Loop: Header=BB2_2704 Depth=3
	s_mov_b32 s15, exec_lo
                                        ; implicit-def: $vgpr62
	v_cmpx_ne_u64_e32 0, v[2:3]
	s_xor_b32 s15, exec_lo, s15
; %bb.2946:                             ;   in Loop: Header=BB2_2704 Depth=3
	v_or_b32_e32 v62, 0x7f, v18
                                        ; implicit-def: $vgpr19
; %bb.2947:                             ;   in Loop: Header=BB2_2704 Depth=3
	s_and_not1_saveexec_b32 s15, s15
; %bb.2948:                             ;   in Loop: Header=BB2_2704 Depth=3
	v_cmp_lt_i32_e32 vcc_lo, -1, v19
	v_cndmask_b32_e32 v62, 0xfc, v110, vcc_lo
; %bb.2949:                             ;   in Loop: Header=BB2_2704 Depth=3
	s_or_b32 exec_lo, exec_lo, s15
.LBB2_2950:                             ;   in Loop: Header=BB2_2704 Depth=3
	s_delay_alu instid0(SALU_CYCLE_1)
	s_or_b32 exec_lo, exec_lo, s14
	v_mov_b32_e32 v18, 0
	s_mov_b32 s14, exec_lo
	v_cmpx_lt_u64_e64 s[22:23], v[12:13]
	s_cbranch_execz .LBB2_2960
; %bb.2951:                             ;   in Loop: Header=BB2_2704 Depth=3
	v_lshrrev_b32_e32 v2, 24, v13
	v_bfrev_b32_e32 v18, 1
	s_mov_b32 s15, exec_lo
	s_delay_alu instid0(VALU_DEP_2)
	v_cmpx_ne_u32_e32 0x80, v2
	s_cbranch_execz .LBB2_2959
; %bb.2952:                             ;   in Loop: Header=BB2_2704 Depth=3
	v_and_b32_e32 v18, 0x7c000000, v13
	v_bfe_u32 v19, v13, 24, 2
	s_delay_alu instid0(VALU_DEP_2) | instskip(SKIP_1) | instid1(SALU_CYCLE_1)
	v_cmp_ne_u32_e32 vcc_lo, 0x7c000000, v18
                                        ; implicit-def: $vgpr18
	s_and_saveexec_b32 s42, vcc_lo
	s_xor_b32 s42, exec_lo, s42
	s_cbranch_execz .LBB2_2956
; %bb.2953:                             ;   in Loop: Header=BB2_2704 Depth=3
	v_bfe_u32 v18, v13, 26, 5
	s_mov_b32 s43, exec_lo
	s_delay_alu instid0(VALU_DEP_1)
	v_cmpx_eq_u32_e32 0, v18
; %bb.2954:                             ;   in Loop: Header=BB2_2704 Depth=3
	v_clz_i32_u32_e32 v18, v19
	s_delay_alu instid0(VALU_DEP_1) | instskip(NEXT) | instid1(VALU_DEP_1)
	v_min_u32_e32 v18, 32, v18
	v_subrev_nc_u32_e32 v19, 29, v18
	s_delay_alu instid0(VALU_DEP_1) | instskip(NEXT) | instid1(VALU_DEP_1)
	v_lshlrev_b64_e32 v[60:61], v19, v[2:3]
	v_dual_sub_nc_u32 v18, 30, v18 :: v_dual_bitop2_b32 v19, 3, v60 bitop3:0x40
; %bb.2955:                             ;   in Loop: Header=BB2_2704 Depth=3
	s_or_b32 exec_lo, exec_lo, s43
	v_and_b32_e32 v2, 0x80000000, v13
	s_delay_alu instid0(VALU_DEP_1) | instskip(NEXT) | instid1(VALU_DEP_1)
	v_lshl_add_u32 v2, v18, 23, v2
	v_lshl_or_b32 v2, v19, 21, v2
                                        ; implicit-def: $vgpr19
	s_delay_alu instid0(VALU_DEP_1)
	v_add_nc_u32_e32 v18, 0x38000000, v2
.LBB2_2956:                             ;   in Loop: Header=BB2_2704 Depth=3
	s_and_not1_saveexec_b32 s42, s42
; %bb.2957:                             ;   in Loop: Header=BB2_2704 Depth=3
	v_cmp_lt_i64_e32 vcc_lo, -1, v[12:13]
	v_cndmask_b32_e32 v2, 0xff800000, v109, vcc_lo
	v_cmp_eq_u32_e32 vcc_lo, 0, v19
	s_delay_alu instid0(VALU_DEP_2)
	v_cndmask_b32_e32 v18, 0x7f800001, v2, vcc_lo
; %bb.2958:                             ;   in Loop: Header=BB2_2704 Depth=3
	s_or_b32 exec_lo, exec_lo, s42
.LBB2_2959:                             ;   in Loop: Header=BB2_2704 Depth=3
	s_delay_alu instid0(SALU_CYCLE_1)
	s_or_b32 exec_lo, exec_lo, s15
.LBB2_2960:                             ;   in Loop: Header=BB2_2704 Depth=3
	s_delay_alu instid0(SALU_CYCLE_1) | instskip(SKIP_3) | instid1(VALU_DEP_2)
	s_or_b32 exec_lo, exec_lo, s14
	v_bfe_u32 v19, v9, 24, 2
	v_bfe_u32 v21, v9, 26, 5
	s_mov_b32 s14, exec_lo
	v_clz_i32_u32_e32 v2, v19
	s_delay_alu instid0(VALU_DEP_2) | instskip(NEXT) | instid1(VALU_DEP_2)
	v_cmp_eq_u32_e32 vcc_lo, 0, v21
	v_min_u32_e32 v20, 32, v2
	v_lshrrev_b32_e32 v2, 24, v9
	s_delay_alu instid0(VALU_DEP_2) | instskip(NEXT) | instid1(VALU_DEP_1)
	v_subrev_nc_u32_e32 v12, 29, v20
	v_lshlrev_b64_e32 v[12:13], v12, v[2:3]
	v_sub_nc_u32_e32 v13, 30, v20
	v_and_b32_e32 v20, 0x80000000, v9
	s_delay_alu instid0(VALU_DEP_2) | instskip(NEXT) | instid1(VALU_DEP_1)
	v_dual_cndmask_b32 v13, v21, v13, vcc_lo :: v_dual_bitop2_b32 v12, 3, v12 bitop3:0x40
	v_lshl_add_u32 v13, v13, 23, v20
	s_delay_alu instid0(VALU_DEP_2) | instskip(SKIP_1) | instid1(VALU_DEP_2)
	v_cndmask_b32_e32 v12, v19, v12, vcc_lo
	v_cmp_lt_i64_e32 vcc_lo, -1, v[8:9]
	v_lshl_or_b32 v12, v12, 21, v13
	v_and_b32_e32 v13, 0x7c000000, v9
	v_cndmask_b32_e32 v20, 0xff800000, v109, vcc_lo
	v_cmp_eq_u32_e32 vcc_lo, 0, v19
	s_delay_alu instid0(VALU_DEP_4) | instskip(NEXT) | instid1(VALU_DEP_3)
	v_add_nc_u32_e32 v12, 0x38000000, v12
	v_cndmask_b32_e32 v19, 0x7f800001, v20, vcc_lo
	v_cmp_eq_u32_e32 vcc_lo, 0x7c000000, v13
	s_delay_alu instid0(VALU_DEP_2) | instskip(SKIP_1) | instid1(VALU_DEP_2)
	v_dual_mov_b32 v13, v3 :: v_dual_cndmask_b32 v12, v12, v19
	v_cmp_ne_u32_e32 vcc_lo, 0x80, v2
	v_cndmask_b32_e32 v2, 0x80000000, v12, vcc_lo
	v_cmp_lt_u64_e32 vcc_lo, s[22:23], v[8:9]
	s_delay_alu instid0(VALU_DEP_2) | instskip(NEXT) | instid1(VALU_DEP_1)
	v_cndmask_b32_e32 v2, 0, v2, vcc_lo
	v_mul_f32_e32 v8, v2, v18
                                        ; implicit-def: $vgpr18
	s_delay_alu instid0(VALU_DEP_1) | instskip(SKIP_2) | instid1(VALU_DEP_3)
	v_and_b32_e32 v12, 0x7f800000, v8
	v_and_b32_e32 v2, 0x7fffff, v8
	v_lshrrev_b32_e32 v9, 24, v8
	v_cmpx_ne_u64_e32 0x7f800000, v[12:13]
	s_xor_b32 s15, exec_lo, s14
	s_cbranch_execz .LBB2_2974
; %bb.2961:                             ;   in Loop: Header=BB2_2704 Depth=3
	v_and_b32_e32 v12, 0x7fffffff, v8
	v_mov_b32_e32 v13, v3
	v_and_b32_e32 v19, 0x80, v9
                                        ; implicit-def: $vgpr18
	s_mov_b32 s14, exec_lo
	s_delay_alu instid0(VALU_DEP_2)
	v_cmpx_gt_u64_e32 0x47600001, v[12:13]
	s_xor_b32 s42, exec_lo, s14
	s_cbranch_execz .LBB2_2971
; %bb.2962:                             ;   in Loop: Header=BB2_2704 Depth=3
	v_mov_b32_e32 v18, 0
	s_mov_b32 s43, exec_lo
	v_cmpx_ne_u32_e32 0, v8
	s_cbranch_execz .LBB2_2970
; %bb.2963:                             ;   in Loop: Header=BB2_2704 Depth=3
	v_bfe_u32 v18, v8, 23, 8
	v_or_b32_e32 v12, 0x800000, v2
	s_delay_alu instid0(VALU_DEP_2) | instskip(SKIP_1) | instid1(VALU_DEP_2)
	v_sub_nc_u32_e32 v8, 0x71, v18
	v_cmp_gt_u32_e32 vcc_lo, 0x72, v18
	v_cndmask_b32_e32 v8, 0, v8, vcc_lo
	v_cmp_eq_u32_e32 vcc_lo, 0, v18
	v_cndmask_b32_e32 v2, v12, v2, vcc_lo
	s_delay_alu instid0(VALU_DEP_3) | instskip(NEXT) | instid1(VALU_DEP_1)
	v_cndmask_b32_e64 v60, v8, 0x70, vcc_lo
	v_dual_add_nc_u32 v8, 21, v60 :: v_dual_add_nc_u32 v13, 20, v60
	s_delay_alu instid0(VALU_DEP_1) | instskip(NEXT) | instid1(VALU_DEP_2)
	v_lshlrev_b64_e64 v[8:9], v8, -1
	v_lshlrev_b64_e64 v[12:13], v13, 1
	s_delay_alu instid0(VALU_DEP_2) | instskip(NEXT) | instid1(VALU_DEP_3)
	v_bfi_b32 v93, v9, 0, 0
	v_bfi_b32 v92, v8, 0, v2
	v_lshrrev_b64 v[8:9], v60, v[2:3]
	s_delay_alu instid0(VALU_DEP_2) | instskip(NEXT) | instid1(VALU_DEP_2)
	v_cmp_eq_u64_e64 s14, v[92:93], v[12:13]
	v_mov_b64_e32 v[12:13], v[8:9]
	s_and_saveexec_b32 s75, s14
; %bb.2964:                             ;   in Loop: Header=BB2_2704 Depth=3
	v_bfe_u32 v2, v8, 21, 1
	s_delay_alu instid0(VALU_DEP_1) | instskip(NEXT) | instid1(VALU_DEP_1)
	v_add_nc_u64_e32 v[12:13], v[8:9], v[2:3]
	v_add_nc_u64_e32 v[12:13], -1, v[12:13]
; %bb.2965:                             ;   in Loop: Header=BB2_2704 Depth=3
	s_or_b32 exec_lo, exec_lo, s75
	v_add_nc_u32_e32 v2, 0xffffff81, v18
	v_lshrrev_b32_e32 v9, 23, v8
	s_mov_b32 s14, exec_lo
	s_delay_alu instid0(VALU_DEP_2) | instskip(NEXT) | instid1(VALU_DEP_1)
	v_cndmask_b32_e64 v2, v2, 0xffffff82, vcc_lo
	v_add3_u32 v13, v60, v2, v9
	v_and_b32_e32 v2, 0x1fffff, v12
                                        ; implicit-def: $vgpr12
	s_delay_alu instid0(VALU_DEP_1) | instskip(NEXT) | instid1(VALU_DEP_1)
	v_dual_add_nc_u32 v18, 14, v13 :: v_dual_add_nc_u32 v2, v2, v8
                                        ; implicit-def: $vgpr8_vgpr9
	v_cmpx_ne_u32_e32 0, v18
	s_xor_b32 s14, exec_lo, s14
; %bb.2966:                             ;   in Loop: Header=BB2_2704 Depth=3
	s_delay_alu instid0(VALU_DEP_2) | instskip(SKIP_1) | instid1(VALU_DEP_1)
	v_cmp_lt_u64_e32 vcc_lo, 0xffffff, v[2:3]
	v_add_nc_u32_e32 v8, 15, v13
	v_cndmask_b32_e32 v12, v18, v8, vcc_lo
	v_cndmask_b32_e64 v8, 0, 1, vcc_lo
	s_delay_alu instid0(VALU_DEP_1)
	v_lshrrev_b64 v[8:9], v8, v[2:3]
; %bb.2967:                             ;   in Loop: Header=BB2_2704 Depth=3
	s_and_not1_saveexec_b32 s14, s14
; %bb.2968:                             ;   in Loop: Header=BB2_2704 Depth=3
	v_mov_b64_e32 v[8:9], v[2:3]
	v_bfe_u32 v12, v2, 23, 1
; %bb.2969:                             ;   in Loop: Header=BB2_2704 Depth=3
	s_or_b32 exec_lo, exec_lo, s14
	s_delay_alu instid0(VALU_DEP_2) | instskip(NEXT) | instid1(VALU_DEP_2)
	v_lshrrev_b64 v[8:9], 21, v[8:9]
	v_cmp_gt_i32_e32 vcc_lo, 32, v12
	v_min_i32_e32 v2, 31, v12
	v_cmp_eq_u32_e64 s14, 0, v12
	s_delay_alu instid0(VALU_DEP_2) | instskip(SKIP_1) | instid1(VALU_DEP_2)
	v_dual_cndmask_b32 v9, 0, v9 :: v_dual_lshlrev_b32 v2, 2, v2
	v_cndmask_b32_e32 v8, 3, v8, vcc_lo
	v_and_b32_e32 v2, 0xfc, v2
	s_delay_alu instid0(VALU_DEP_2) | instskip(NEXT) | instid1(VALU_DEP_2)
	v_cmp_eq_u64_e32 vcc_lo, 0, v[8:9]
	v_and_or_b32 v2, v8, 3, v2
	s_and_b32 s14, s14, vcc_lo
	s_delay_alu instid0(VALU_DEP_1) | instid1(SALU_CYCLE_1)
	v_cndmask_b32_e64 v2, v2, 0, s14
	s_delay_alu instid0(VALU_DEP_1)
	v_or_b32_e32 v18, v2, v19
.LBB2_2970:                             ;   in Loop: Header=BB2_2704 Depth=3
	s_or_b32 exec_lo, exec_lo, s43
                                        ; implicit-def: $vgpr19
.LBB2_2971:                             ;   in Loop: Header=BB2_2704 Depth=3
	s_and_not1_saveexec_b32 s14, s42
; %bb.2972:                             ;   in Loop: Header=BB2_2704 Depth=3
	v_or_b32_e32 v18, 0x7b, v19
; %bb.2973:                             ;   in Loop: Header=BB2_2704 Depth=3
	s_or_b32 exec_lo, exec_lo, s14
                                        ; implicit-def: $vgpr8
                                        ; implicit-def: $vgpr9
.LBB2_2974:                             ;   in Loop: Header=BB2_2704 Depth=3
	s_and_not1_saveexec_b32 s14, s15
	s_cbranch_execz .LBB2_2980
; %bb.2975:                             ;   in Loop: Header=BB2_2704 Depth=3
	s_mov_b32 s15, exec_lo
                                        ; implicit-def: $vgpr18
	v_cmpx_ne_u64_e32 0, v[2:3]
	s_xor_b32 s15, exec_lo, s15
; %bb.2976:                             ;   in Loop: Header=BB2_2704 Depth=3
	v_or_b32_e32 v18, 0x7f, v9
                                        ; implicit-def: $vgpr8
; %bb.2977:                             ;   in Loop: Header=BB2_2704 Depth=3
	s_and_not1_saveexec_b32 s15, s15
; %bb.2978:                             ;   in Loop: Header=BB2_2704 Depth=3
	v_cmp_lt_i32_e32 vcc_lo, -1, v8
	v_cndmask_b32_e32 v18, 0xfc, v110, vcc_lo
; %bb.2979:                             ;   in Loop: Header=BB2_2704 Depth=3
	s_or_b32 exec_lo, exec_lo, s15
.LBB2_2980:                             ;   in Loop: Header=BB2_2704 Depth=3
	s_delay_alu instid0(SALU_CYCLE_1) | instskip(SKIP_1) | instid1(VALU_DEP_1)
	s_or_b32 exec_lo, exec_lo, s14
	v_and_b32_e32 v2, 0xff, v14
	v_cmp_ne_u16_e32 vcc_lo, 0, v2
	v_mov_b32_e32 v2, 0
	s_and_saveexec_b32 s14, vcc_lo
	s_cbranch_execz .LBB2_2990
; %bb.2981:                             ;   in Loop: Header=BB2_2704 Depth=3
	v_bfe_i32 v9, v14, 0, 8
	v_bfrev_b32_e32 v2, 1
	s_mov_b32 s15, exec_lo
	s_delay_alu instid0(VALU_DEP_2)
	v_cmpx_ne_u16_e32 0xff80, v9
	s_cbranch_execz .LBB2_2989
; %bb.2982:                             ;   in Loop: Header=BB2_2704 Depth=3
	v_and_b32_e32 v2, 0x7c, v14
	v_and_b32_e32 v8, 3, v14
	s_delay_alu instid0(VALU_DEP_2) | instskip(SKIP_1) | instid1(SALU_CYCLE_1)
	v_cmp_ne_u32_e32 vcc_lo, 0x7c, v2
                                        ; implicit-def: $vgpr2
	s_and_saveexec_b32 s42, vcc_lo
	s_xor_b32 s42, exec_lo, s42
	s_cbranch_execz .LBB2_2986
; %bb.2983:                             ;   in Loop: Header=BB2_2704 Depth=3
	v_bfe_u32 v2, v14, 2, 5
	s_mov_b32 s43, exec_lo
	s_delay_alu instid0(VALU_DEP_1)
	v_cmpx_eq_u32_e32 0, v2
; %bb.2984:                             ;   in Loop: Header=BB2_2704 Depth=3
	v_clz_i32_u32_e32 v2, v8
	s_delay_alu instid0(VALU_DEP_1) | instskip(NEXT) | instid1(VALU_DEP_1)
	v_min_u32_e32 v2, 32, v2
	v_subrev_nc_u32_e32 v8, 29, v2
	s_delay_alu instid0(VALU_DEP_1) | instskip(NEXT) | instid1(VALU_DEP_1)
	v_lshlrev_b64_e32 v[8:9], v8, v[14:15]
	v_dual_sub_nc_u32 v2, 30, v2 :: v_dual_bitop2_b32 v8, 3, v8 bitop3:0x40
; %bb.2985:                             ;   in Loop: Header=BB2_2704 Depth=3
	s_or_b32 exec_lo, exec_lo, s43
	v_lshlrev_b32_e32 v9, 24, v14
	s_delay_alu instid0(VALU_DEP_1) | instskip(NEXT) | instid1(VALU_DEP_1)
	v_and_b32_e32 v9, 0x80000000, v9
	v_lshl_add_u32 v2, v2, 23, v9
                                        ; implicit-def: $vgpr9
	s_delay_alu instid0(VALU_DEP_1) | instskip(NEXT) | instid1(VALU_DEP_1)
	v_lshl_or_b32 v2, v8, 21, v2
                                        ; implicit-def: $vgpr8
	v_add_nc_u32_e32 v2, 0x38000000, v2
.LBB2_2986:                             ;   in Loop: Header=BB2_2704 Depth=3
	s_and_not1_saveexec_b32 s42, s42
; %bb.2987:                             ;   in Loop: Header=BB2_2704 Depth=3
	v_cmp_lt_i16_e32 vcc_lo, -1, v9
	v_cndmask_b32_e32 v2, 0xff800000, v109, vcc_lo
	v_cmp_eq_u32_e32 vcc_lo, 0, v8
	s_delay_alu instid0(VALU_DEP_2)
	v_cndmask_b32_e32 v2, 0x7f800001, v2, vcc_lo
; %bb.2988:                             ;   in Loop: Header=BB2_2704 Depth=3
	s_or_b32 exec_lo, exec_lo, s42
.LBB2_2989:                             ;   in Loop: Header=BB2_2704 Depth=3
	s_delay_alu instid0(SALU_CYCLE_1)
	s_or_b32 exec_lo, exec_lo, s15
.LBB2_2990:                             ;   in Loop: Header=BB2_2704 Depth=3
	s_delay_alu instid0(SALU_CYCLE_1) | instskip(SKIP_3) | instid1(VALU_DEP_1)
	s_or_b32 exec_lo, exec_lo, s14
	v_and_b32_e32 v9, 0xff, v10
	s_mov_b32 s15, 0
	s_mov_b32 s14, exec_lo
	v_cmpx_lt_i16_e32 0x7f, v9
	s_xor_b32 s14, exec_lo, s14
	s_cbranch_execz .LBB2_3271
; %bb.2991:                             ;   in Loop: Header=BB2_2704 Depth=3
	s_mov_b32 s15, -1
	s_mov_b32 s42, exec_lo
	v_cmpx_eq_u16_e32 0x80, v9
; %bb.2992:                             ;   in Loop: Header=BB2_2704 Depth=3
	s_xor_b32 s15, exec_lo, -1
; %bb.2993:                             ;   in Loop: Header=BB2_2704 Depth=3
	s_or_b32 exec_lo, exec_lo, s42
	s_delay_alu instid0(SALU_CYCLE_1)
	s_and_b32 s15, s15, exec_lo
                                        ; implicit-def: $vgpr9
	s_or_saveexec_b32 s14, s14
	v_bfrev_b32_e32 v8, 1
	s_xor_b32 exec_lo, exec_lo, s14
	s_cbranch_execnz .LBB2_3272
.LBB2_2994:                             ;   in Loop: Header=BB2_2704 Depth=3
	s_or_b32 exec_lo, exec_lo, s14
	s_and_saveexec_b32 s14, s15
	s_cbranch_execz .LBB2_2996
.LBB2_2995:                             ;   in Loop: Header=BB2_2704 Depth=3
	v_and_b32_e32 v12, 3, v10
	v_bfe_u32 v19, v10, 2, 5
	s_delay_alu instid0(VALU_DEP_2) | instskip(NEXT) | instid1(VALU_DEP_2)
	v_clz_i32_u32_e32 v8, v12
	v_cmp_eq_u32_e32 vcc_lo, 0, v19
	s_delay_alu instid0(VALU_DEP_2) | instskip(NEXT) | instid1(VALU_DEP_1)
	v_min_u32_e32 v13, 32, v8
	v_subrev_nc_u32_e32 v8, 29, v13
	s_delay_alu instid0(VALU_DEP_1) | instskip(SKIP_1) | instid1(VALU_DEP_1)
	v_lshlrev_b64_e32 v[8:9], v8, v[10:11]
	v_dual_lshlrev_b32 v9, 24, v10 :: v_dual_sub_nc_u32 v13, 30, v13
	v_and_b32_e32 v9, 0x80000000, v9
	s_delay_alu instid0(VALU_DEP_2) | instskip(SKIP_1) | instid1(VALU_DEP_2)
	v_dual_cndmask_b32 v13, v19, v13, vcc_lo :: v_dual_bitop2_b32 v8, 3, v8 bitop3:0x40
	v_bfe_i32 v19, v10, 0, 8
	v_cndmask_b32_e32 v8, v12, v8, vcc_lo
	s_delay_alu instid0(VALU_DEP_3) | instskip(NEXT) | instid1(VALU_DEP_3)
	v_lshl_add_u32 v9, v13, 23, v9
	v_cmp_lt_i16_e32 vcc_lo, -1, v19
	s_delay_alu instid0(VALU_DEP_2) | instskip(SKIP_3) | instid1(VALU_DEP_4)
	v_lshl_or_b32 v8, v8, 21, v9
	v_cndmask_b32_e32 v13, 0xff800000, v109, vcc_lo
	v_and_b32_e32 v9, 0x7c, v10
	v_cmp_eq_u32_e32 vcc_lo, 0, v12
	v_add_nc_u32_e32 v8, 0x38000000, v8
	s_delay_alu instid0(VALU_DEP_4) | instskip(NEXT) | instid1(VALU_DEP_4)
	v_cndmask_b32_e32 v12, 0x7f800001, v13, vcc_lo
	v_cmp_eq_u32_e32 vcc_lo, 0x7c, v9
	s_delay_alu instid0(VALU_DEP_2)
	v_cndmask_b32_e32 v8, v8, v12, vcc_lo
.LBB2_2996:                             ;   in Loop: Header=BB2_2704 Depth=3
	s_or_b32 exec_lo, exec_lo, s14
	s_delay_alu instid0(VALU_DEP_1) | instskip(SKIP_1) | instid1(VALU_DEP_1)
	v_dual_mul_f32 v8, v2, v8 :: v_dual_mov_b32 v13, v3
                                        ; implicit-def: $vgpr19
	s_mov_b32 s14, exec_lo
	v_and_b32_e32 v12, 0x7f800000, v8
	v_and_b32_e32 v2, 0x7fffff, v8
	v_lshrrev_b32_e32 v9, 24, v8
	s_delay_alu instid0(VALU_DEP_3)
	v_cmpx_ne_u64_e32 0x7f800000, v[12:13]
	s_xor_b32 s15, exec_lo, s14
	s_cbranch_execz .LBB2_3010
; %bb.2997:                             ;   in Loop: Header=BB2_2704 Depth=3
	v_and_b32_e32 v12, 0x7fffffff, v8
	v_mov_b32_e32 v13, v3
	v_and_b32_e32 v60, 0x80, v9
                                        ; implicit-def: $vgpr19
	s_mov_b32 s14, exec_lo
	s_delay_alu instid0(VALU_DEP_2)
	v_cmpx_gt_u64_e32 0x47600001, v[12:13]
	s_xor_b32 s42, exec_lo, s14
	s_cbranch_execz .LBB2_3007
; %bb.2998:                             ;   in Loop: Header=BB2_2704 Depth=3
	v_mov_b32_e32 v19, 0
	s_mov_b32 s43, exec_lo
	v_cmpx_ne_u32_e32 0, v8
	s_cbranch_execz .LBB2_3006
; %bb.2999:                             ;   in Loop: Header=BB2_2704 Depth=3
	v_bfe_u32 v19, v8, 23, 8
	v_or_b32_e32 v12, 0x800000, v2
	s_delay_alu instid0(VALU_DEP_2) | instskip(SKIP_1) | instid1(VALU_DEP_2)
	v_sub_nc_u32_e32 v8, 0x71, v19
	v_cmp_gt_u32_e32 vcc_lo, 0x72, v19
	v_cndmask_b32_e32 v8, 0, v8, vcc_lo
	v_cmp_eq_u32_e32 vcc_lo, 0, v19
	s_delay_alu instid0(VALU_DEP_2) | instskip(NEXT) | instid1(VALU_DEP_1)
	v_cndmask_b32_e64 v61, v8, 0x70, vcc_lo
	v_dual_cndmask_b32 v2, v12, v2, vcc_lo :: v_dual_add_nc_u32 v8, 21, v61
	v_add_nc_u32_e32 v13, 20, v61
	s_delay_alu instid0(VALU_DEP_2) | instskip(NEXT) | instid1(VALU_DEP_2)
	v_lshlrev_b64_e64 v[8:9], v8, -1
	v_lshlrev_b64_e64 v[12:13], v13, 1
	s_delay_alu instid0(VALU_DEP_2) | instskip(NEXT) | instid1(VALU_DEP_3)
	v_bfi_b32 v93, v9, 0, 0
	v_bfi_b32 v92, v8, 0, v2
	v_lshrrev_b64 v[8:9], v61, v[2:3]
	s_delay_alu instid0(VALU_DEP_2) | instskip(NEXT) | instid1(VALU_DEP_2)
	v_cmp_eq_u64_e64 s14, v[92:93], v[12:13]
	v_mov_b64_e32 v[12:13], v[8:9]
	s_and_saveexec_b32 s75, s14
; %bb.3000:                             ;   in Loop: Header=BB2_2704 Depth=3
	v_bfe_u32 v2, v8, 21, 1
	s_delay_alu instid0(VALU_DEP_1) | instskip(NEXT) | instid1(VALU_DEP_1)
	v_add_nc_u64_e32 v[12:13], v[8:9], v[2:3]
	v_add_nc_u64_e32 v[12:13], -1, v[12:13]
; %bb.3001:                             ;   in Loop: Header=BB2_2704 Depth=3
	s_or_b32 exec_lo, exec_lo, s75
	v_add_nc_u32_e32 v2, 0xffffff81, v19
	v_lshrrev_b32_e32 v9, 23, v8
	s_mov_b32 s14, exec_lo
	s_delay_alu instid0(VALU_DEP_2) | instskip(NEXT) | instid1(VALU_DEP_1)
	v_cndmask_b32_e64 v2, v2, 0xffffff82, vcc_lo
	v_add3_u32 v13, v61, v2, v9
	v_and_b32_e32 v2, 0x1fffff, v12
                                        ; implicit-def: $vgpr12
	s_delay_alu instid0(VALU_DEP_1) | instskip(NEXT) | instid1(VALU_DEP_1)
	v_dual_add_nc_u32 v19, 14, v13 :: v_dual_add_nc_u32 v2, v2, v8
                                        ; implicit-def: $vgpr8_vgpr9
	v_cmpx_ne_u32_e32 0, v19
	s_xor_b32 s14, exec_lo, s14
; %bb.3002:                             ;   in Loop: Header=BB2_2704 Depth=3
	s_delay_alu instid0(VALU_DEP_2) | instskip(SKIP_1) | instid1(VALU_DEP_1)
	v_cmp_lt_u64_e32 vcc_lo, 0xffffff, v[2:3]
	v_add_nc_u32_e32 v8, 15, v13
	v_cndmask_b32_e32 v12, v19, v8, vcc_lo
	v_cndmask_b32_e64 v8, 0, 1, vcc_lo
	s_delay_alu instid0(VALU_DEP_1)
	v_lshrrev_b64 v[8:9], v8, v[2:3]
; %bb.3003:                             ;   in Loop: Header=BB2_2704 Depth=3
	s_and_not1_saveexec_b32 s14, s14
; %bb.3004:                             ;   in Loop: Header=BB2_2704 Depth=3
	v_mov_b64_e32 v[8:9], v[2:3]
	v_bfe_u32 v12, v2, 23, 1
; %bb.3005:                             ;   in Loop: Header=BB2_2704 Depth=3
	s_or_b32 exec_lo, exec_lo, s14
	s_delay_alu instid0(VALU_DEP_2) | instskip(NEXT) | instid1(VALU_DEP_2)
	v_lshrrev_b64 v[8:9], 21, v[8:9]
	v_cmp_gt_i32_e32 vcc_lo, 32, v12
	v_min_i32_e32 v2, 31, v12
	v_cmp_eq_u32_e64 s14, 0, v12
	s_delay_alu instid0(VALU_DEP_2) | instskip(SKIP_1) | instid1(VALU_DEP_2)
	v_dual_cndmask_b32 v9, 0, v9 :: v_dual_lshlrev_b32 v2, 2, v2
	v_cndmask_b32_e32 v8, 3, v8, vcc_lo
	v_and_b32_e32 v2, 0xfc, v2
	s_delay_alu instid0(VALU_DEP_2) | instskip(NEXT) | instid1(VALU_DEP_2)
	v_cmp_eq_u64_e32 vcc_lo, 0, v[8:9]
	v_and_or_b32 v2, v8, 3, v2
	s_and_b32 s14, s14, vcc_lo
	s_delay_alu instid0(VALU_DEP_1) | instid1(SALU_CYCLE_1)
	v_cndmask_b32_e64 v2, v2, 0, s14
	s_delay_alu instid0(VALU_DEP_1)
	v_or_b32_e32 v19, v2, v60
.LBB2_3006:                             ;   in Loop: Header=BB2_2704 Depth=3
	s_or_b32 exec_lo, exec_lo, s43
                                        ; implicit-def: $vgpr60
.LBB2_3007:                             ;   in Loop: Header=BB2_2704 Depth=3
	s_and_not1_saveexec_b32 s14, s42
; %bb.3008:                             ;   in Loop: Header=BB2_2704 Depth=3
	v_or_b32_e32 v19, 0x7b, v60
; %bb.3009:                             ;   in Loop: Header=BB2_2704 Depth=3
	s_or_b32 exec_lo, exec_lo, s14
                                        ; implicit-def: $vgpr8
                                        ; implicit-def: $vgpr9
.LBB2_3010:                             ;   in Loop: Header=BB2_2704 Depth=3
	s_and_not1_saveexec_b32 s14, s15
	s_cbranch_execz .LBB2_3016
; %bb.3011:                             ;   in Loop: Header=BB2_2704 Depth=3
	s_mov_b32 s15, exec_lo
                                        ; implicit-def: $vgpr19
	v_cmpx_ne_u64_e32 0, v[2:3]
	s_xor_b32 s15, exec_lo, s15
; %bb.3012:                             ;   in Loop: Header=BB2_2704 Depth=3
	v_or_b32_e32 v19, 0x7f, v9
                                        ; implicit-def: $vgpr8
; %bb.3013:                             ;   in Loop: Header=BB2_2704 Depth=3
	s_and_not1_saveexec_b32 s15, s15
; %bb.3014:                             ;   in Loop: Header=BB2_2704 Depth=3
	v_cmp_lt_i32_e32 vcc_lo, -1, v8
	v_cndmask_b32_e32 v19, 0xfc, v110, vcc_lo
; %bb.3015:                             ;   in Loop: Header=BB2_2704 Depth=3
	s_or_b32 exec_lo, exec_lo, s15
.LBB2_3016:                             ;   in Loop: Header=BB2_2704 Depth=3
	s_delay_alu instid0(SALU_CYCLE_1) | instskip(SKIP_3) | instid1(VALU_DEP_2)
	s_or_b32 exec_lo, exec_lo, s14
	v_lshrrev_b16 v2, 8, v14
	v_mov_b32_e32 v8, 0
	s_mov_b32 s14, exec_lo
	v_cmpx_ne_u16_e32 0, v2
	s_cbranch_execz .LBB2_3026
; %bb.3017:                             ;   in Loop: Header=BB2_2704 Depth=3
	v_bfrev_b32_e32 v8, 1
	s_mov_b32 s15, exec_lo
	v_cmpx_ne_u16_e32 0x80, v2
	s_cbranch_execz .LBB2_3025
; %bb.3018:                             ;   in Loop: Header=BB2_2704 Depth=3
	v_and_b32_e32 v12, 0xffff, v2
	s_delay_alu instid0(VALU_DEP_1) | instskip(SKIP_1) | instid1(VALU_DEP_2)
	v_and_b32_e32 v8, 0x7c, v12
	v_and_b32_e32 v9, 3, v12
	v_cmp_ne_u32_e32 vcc_lo, 0x7c, v8
                                        ; implicit-def: $vgpr8
	s_and_saveexec_b32 s42, vcc_lo
	s_delay_alu instid0(SALU_CYCLE_1)
	s_xor_b32 s42, exec_lo, s42
	s_cbranch_execz .LBB2_3022
; %bb.3019:                             ;   in Loop: Header=BB2_2704 Depth=3
	v_bfe_u32 v8, v12, 2, 5
	s_mov_b32 s43, exec_lo
	s_delay_alu instid0(VALU_DEP_1)
	v_cmpx_eq_u32_e32 0, v8
; %bb.3020:                             ;   in Loop: Header=BB2_2704 Depth=3
	v_clz_i32_u32_e32 v8, v9
	s_delay_alu instid0(VALU_DEP_1) | instskip(NEXT) | instid1(VALU_DEP_1)
	v_min_u32_e32 v8, 32, v8
	v_subrev_nc_u32_e32 v9, 29, v8
	v_sub_nc_u32_e32 v8, 30, v8
	s_delay_alu instid0(VALU_DEP_2) | instskip(NEXT) | instid1(VALU_DEP_1)
	v_lshlrev_b64_e32 v[12:13], v9, v[2:3]
	v_and_b32_e32 v9, 3, v12
; %bb.3021:                             ;   in Loop: Header=BB2_2704 Depth=3
	s_or_b32 exec_lo, exec_lo, s43
	v_lshlrev_b32_e32 v2, 16, v14
	s_delay_alu instid0(VALU_DEP_1) | instskip(NEXT) | instid1(VALU_DEP_1)
	v_and_b32_e32 v2, 0x80000000, v2
	v_lshl_add_u32 v2, v8, 23, v2
	s_delay_alu instid0(VALU_DEP_1) | instskip(NEXT) | instid1(VALU_DEP_1)
	v_lshl_or_b32 v2, v9, 21, v2
                                        ; implicit-def: $vgpr9
	v_add_nc_u32_e32 v8, 0x38000000, v2
.LBB2_3022:                             ;   in Loop: Header=BB2_2704 Depth=3
	s_and_not1_saveexec_b32 s42, s42
; %bb.3023:                             ;   in Loop: Header=BB2_2704 Depth=3
	v_cmp_lt_i16_e32 vcc_lo, -1, v14
	v_cndmask_b32_e32 v2, 0xff800000, v109, vcc_lo
	v_cmp_eq_u32_e32 vcc_lo, 0, v9
	s_delay_alu instid0(VALU_DEP_2)
	v_cndmask_b32_e32 v8, 0x7f800001, v2, vcc_lo
; %bb.3024:                             ;   in Loop: Header=BB2_2704 Depth=3
	s_or_b32 exec_lo, exec_lo, s42
.LBB2_3025:                             ;   in Loop: Header=BB2_2704 Depth=3
	s_delay_alu instid0(SALU_CYCLE_1)
	s_or_b32 exec_lo, exec_lo, s15
.LBB2_3026:                             ;   in Loop: Header=BB2_2704 Depth=3
	s_delay_alu instid0(SALU_CYCLE_1) | instskip(SKIP_3) | instid1(VALU_DEP_1)
	s_or_b32 exec_lo, exec_lo, s14
	v_lshrrev_b16 v2, 8, v10
	s_mov_b32 s15, 0
	s_mov_b32 s14, exec_lo
	v_cmpx_lt_i16_e32 0x7f, v2
	s_xor_b32 s14, exec_lo, s14
	s_cbranch_execz .LBB2_3273
; %bb.3027:                             ;   in Loop: Header=BB2_2704 Depth=3
	s_mov_b32 s15, -1
	s_mov_b32 s42, exec_lo
	v_cmpx_eq_u16_e32 0x80, v2
; %bb.3028:                             ;   in Loop: Header=BB2_2704 Depth=3
	s_xor_b32 s15, exec_lo, -1
; %bb.3029:                             ;   in Loop: Header=BB2_2704 Depth=3
	s_or_b32 exec_lo, exec_lo, s42
	s_delay_alu instid0(SALU_CYCLE_1)
	s_and_b32 s15, s15, exec_lo
	s_or_saveexec_b32 s14, s14
	v_bfrev_b32_e32 v9, 1
	s_xor_b32 exec_lo, exec_lo, s14
	s_cbranch_execnz .LBB2_3274
.LBB2_3030:                             ;   in Loop: Header=BB2_2704 Depth=3
	s_or_b32 exec_lo, exec_lo, s14
	s_and_saveexec_b32 s14, s15
	s_cbranch_execz .LBB2_3032
.LBB2_3031:                             ;   in Loop: Header=BB2_2704 Depth=3
	v_and_b32_e32 v9, 0xffff, v2
	s_delay_alu instid0(VALU_DEP_1) | instskip(NEXT) | instid1(VALU_DEP_1)
	v_and_b32_e32 v20, 3, v9
	v_clz_i32_u32_e32 v12, v20
	s_delay_alu instid0(VALU_DEP_1) | instskip(NEXT) | instid1(VALU_DEP_1)
	v_min_u32_e32 v21, 32, v12
	v_subrev_nc_u32_e32 v12, 29, v21
	s_delay_alu instid0(VALU_DEP_1) | instskip(SKIP_3) | instid1(VALU_DEP_3)
	v_lshlrev_b64_e32 v[12:13], v12, v[2:3]
	v_bfe_u32 v13, v9, 2, 5
	v_dual_lshlrev_b32 v2, 24, v2 :: v_dual_sub_nc_u32 v21, 30, v21
	v_and_b32_e32 v9, 0x7c, v9
	v_cmp_eq_u32_e32 vcc_lo, 0, v13
	s_delay_alu instid0(VALU_DEP_3) | instskip(NEXT) | instid1(VALU_DEP_4)
	v_and_b32_e32 v2, 0x80000000, v2
	v_dual_cndmask_b32 v13, v13, v21, vcc_lo :: v_dual_bitop2_b32 v12, 3, v12 bitop3:0x40
	s_delay_alu instid0(VALU_DEP_1) | instskip(SKIP_1) | instid1(VALU_DEP_3)
	v_cndmask_b32_e32 v12, v20, v12, vcc_lo
	v_cmp_lt_i16_e32 vcc_lo, -1, v10
	v_lshl_add_u32 v2, v13, 23, v2
	v_cndmask_b32_e32 v13, 0xff800000, v109, vcc_lo
	v_cmp_eq_u32_e32 vcc_lo, 0, v20
	s_delay_alu instid0(VALU_DEP_3) | instskip(NEXT) | instid1(VALU_DEP_3)
	v_lshl_or_b32 v2, v12, 21, v2
	v_cndmask_b32_e32 v12, 0x7f800001, v13, vcc_lo
	s_delay_alu instid0(VALU_DEP_2) | instskip(SKIP_1) | instid1(VALU_DEP_2)
	v_add_nc_u32_e32 v2, 0x38000000, v2
	v_cmp_eq_u32_e32 vcc_lo, 0x7c, v9
	v_cndmask_b32_e32 v9, v2, v12, vcc_lo
.LBB2_3032:                             ;   in Loop: Header=BB2_2704 Depth=3
	s_or_b32 exec_lo, exec_lo, s14
	s_delay_alu instid0(VALU_DEP_1) | instskip(SKIP_1) | instid1(VALU_DEP_1)
	v_dual_mul_f32 v8, v8, v9 :: v_dual_mov_b32 v13, v3
                                        ; implicit-def: $vgpr63
	s_mov_b32 s14, exec_lo
	v_and_b32_e32 v12, 0x7f800000, v8
	v_and_b32_e32 v2, 0x7fffff, v8
	v_lshrrev_b32_e32 v9, 24, v8
	s_delay_alu instid0(VALU_DEP_3)
	v_cmpx_ne_u64_e32 0x7f800000, v[12:13]
	s_xor_b32 s15, exec_lo, s14
	s_cbranch_execz .LBB2_3046
; %bb.3033:                             ;   in Loop: Header=BB2_2704 Depth=3
	v_and_b32_e32 v12, 0x7fffffff, v8
	v_mov_b32_e32 v13, v3
	v_and_b32_e32 v60, 0x80, v9
                                        ; implicit-def: $vgpr63
	s_mov_b32 s14, exec_lo
	s_delay_alu instid0(VALU_DEP_2)
	v_cmpx_gt_u64_e32 0x47600001, v[12:13]
	s_xor_b32 s42, exec_lo, s14
	s_cbranch_execz .LBB2_3043
; %bb.3034:                             ;   in Loop: Header=BB2_2704 Depth=3
	v_mov_b32_e32 v63, 0
	s_mov_b32 s43, exec_lo
	v_cmpx_ne_u32_e32 0, v8
	s_cbranch_execz .LBB2_3042
; %bb.3035:                             ;   in Loop: Header=BB2_2704 Depth=3
	v_bfe_u32 v61, v8, 23, 8
	v_or_b32_e32 v12, 0x800000, v2
	s_delay_alu instid0(VALU_DEP_2) | instskip(SKIP_1) | instid1(VALU_DEP_2)
	v_sub_nc_u32_e32 v8, 0x71, v61
	v_cmp_gt_u32_e32 vcc_lo, 0x72, v61
	v_cndmask_b32_e32 v8, 0, v8, vcc_lo
	v_cmp_eq_u32_e32 vcc_lo, 0, v61
	s_delay_alu instid0(VALU_DEP_2) | instskip(NEXT) | instid1(VALU_DEP_1)
	v_cndmask_b32_e64 v63, v8, 0x70, vcc_lo
	v_dual_cndmask_b32 v2, v12, v2, vcc_lo :: v_dual_add_nc_u32 v8, 21, v63
	v_add_nc_u32_e32 v13, 20, v63
	s_delay_alu instid0(VALU_DEP_2) | instskip(NEXT) | instid1(VALU_DEP_2)
	v_lshlrev_b64_e64 v[8:9], v8, -1
	v_lshlrev_b64_e64 v[12:13], v13, 1
	s_delay_alu instid0(VALU_DEP_2) | instskip(NEXT) | instid1(VALU_DEP_3)
	v_bfi_b32 v93, v9, 0, 0
	v_bfi_b32 v92, v8, 0, v2
	v_lshrrev_b64 v[8:9], v63, v[2:3]
	s_delay_alu instid0(VALU_DEP_2) | instskip(NEXT) | instid1(VALU_DEP_2)
	v_cmp_eq_u64_e64 s14, v[92:93], v[12:13]
	v_mov_b64_e32 v[12:13], v[8:9]
	s_and_saveexec_b32 s75, s14
; %bb.3036:                             ;   in Loop: Header=BB2_2704 Depth=3
	v_bfe_u32 v2, v8, 21, 1
	s_delay_alu instid0(VALU_DEP_1) | instskip(NEXT) | instid1(VALU_DEP_1)
	v_add_nc_u64_e32 v[12:13], v[8:9], v[2:3]
	v_add_nc_u64_e32 v[12:13], -1, v[12:13]
; %bb.3037:                             ;   in Loop: Header=BB2_2704 Depth=3
	s_or_b32 exec_lo, exec_lo, s75
	v_add_nc_u32_e32 v2, 0xffffff81, v61
	v_lshrrev_b32_e32 v9, 23, v8
	s_mov_b32 s14, exec_lo
	s_delay_alu instid0(VALU_DEP_2) | instskip(NEXT) | instid1(VALU_DEP_1)
	v_cndmask_b32_e64 v2, v2, 0xffffff82, vcc_lo
	v_add3_u32 v13, v63, v2, v9
	v_and_b32_e32 v2, 0x1fffff, v12
                                        ; implicit-def: $vgpr12
	s_delay_alu instid0(VALU_DEP_1) | instskip(NEXT) | instid1(VALU_DEP_1)
	v_dual_add_nc_u32 v61, 14, v13 :: v_dual_add_nc_u32 v2, v2, v8
                                        ; implicit-def: $vgpr8_vgpr9
	v_cmpx_ne_u32_e32 0, v61
	s_xor_b32 s14, exec_lo, s14
; %bb.3038:                             ;   in Loop: Header=BB2_2704 Depth=3
	s_delay_alu instid0(VALU_DEP_2) | instskip(SKIP_1) | instid1(VALU_DEP_1)
	v_cmp_lt_u64_e32 vcc_lo, 0xffffff, v[2:3]
	v_add_nc_u32_e32 v8, 15, v13
	v_cndmask_b32_e32 v12, v61, v8, vcc_lo
	v_cndmask_b32_e64 v8, 0, 1, vcc_lo
	s_delay_alu instid0(VALU_DEP_1)
	v_lshrrev_b64 v[8:9], v8, v[2:3]
; %bb.3039:                             ;   in Loop: Header=BB2_2704 Depth=3
	s_and_not1_saveexec_b32 s14, s14
; %bb.3040:                             ;   in Loop: Header=BB2_2704 Depth=3
	v_mov_b64_e32 v[8:9], v[2:3]
	v_bfe_u32 v12, v2, 23, 1
; %bb.3041:                             ;   in Loop: Header=BB2_2704 Depth=3
	s_or_b32 exec_lo, exec_lo, s14
	s_delay_alu instid0(VALU_DEP_2) | instskip(NEXT) | instid1(VALU_DEP_2)
	v_lshrrev_b64 v[8:9], 21, v[8:9]
	v_cmp_gt_i32_e32 vcc_lo, 32, v12
	v_min_i32_e32 v2, 31, v12
	v_cmp_eq_u32_e64 s14, 0, v12
	s_delay_alu instid0(VALU_DEP_2) | instskip(SKIP_1) | instid1(VALU_DEP_2)
	v_dual_cndmask_b32 v9, 0, v9 :: v_dual_lshlrev_b32 v2, 2, v2
	v_cndmask_b32_e32 v8, 3, v8, vcc_lo
	v_and_b32_e32 v2, 0xfc, v2
	s_delay_alu instid0(VALU_DEP_2) | instskip(NEXT) | instid1(VALU_DEP_2)
	v_cmp_eq_u64_e32 vcc_lo, 0, v[8:9]
	v_and_or_b32 v2, v8, 3, v2
	s_and_b32 s14, s14, vcc_lo
	s_delay_alu instid0(VALU_DEP_1) | instid1(SALU_CYCLE_1)
	v_cndmask_b32_e64 v2, v2, 0, s14
	s_delay_alu instid0(VALU_DEP_1)
	v_or_b32_e32 v63, v2, v60
.LBB2_3042:                             ;   in Loop: Header=BB2_2704 Depth=3
	s_or_b32 exec_lo, exec_lo, s43
                                        ; implicit-def: $vgpr60
.LBB2_3043:                             ;   in Loop: Header=BB2_2704 Depth=3
	s_and_not1_saveexec_b32 s14, s42
; %bb.3044:                             ;   in Loop: Header=BB2_2704 Depth=3
	v_or_b32_e32 v63, 0x7b, v60
; %bb.3045:                             ;   in Loop: Header=BB2_2704 Depth=3
	s_or_b32 exec_lo, exec_lo, s14
                                        ; implicit-def: $vgpr8
                                        ; implicit-def: $vgpr9
.LBB2_3046:                             ;   in Loop: Header=BB2_2704 Depth=3
	s_and_not1_saveexec_b32 s14, s15
	s_cbranch_execz .LBB2_3052
; %bb.3047:                             ;   in Loop: Header=BB2_2704 Depth=3
	s_mov_b32 s15, exec_lo
                                        ; implicit-def: $vgpr63
	v_cmpx_ne_u64_e32 0, v[2:3]
	s_xor_b32 s15, exec_lo, s15
; %bb.3048:                             ;   in Loop: Header=BB2_2704 Depth=3
	v_or_b32_e32 v63, 0x7f, v9
                                        ; implicit-def: $vgpr8
; %bb.3049:                             ;   in Loop: Header=BB2_2704 Depth=3
	s_and_not1_saveexec_b32 s15, s15
; %bb.3050:                             ;   in Loop: Header=BB2_2704 Depth=3
	v_cmp_lt_i32_e32 vcc_lo, -1, v8
	v_cndmask_b32_e32 v63, 0xfc, v110, vcc_lo
; %bb.3051:                             ;   in Loop: Header=BB2_2704 Depth=3
	s_or_b32 exec_lo, exec_lo, s15
.LBB2_3052:                             ;   in Loop: Header=BB2_2704 Depth=3
	s_delay_alu instid0(SALU_CYCLE_1) | instskip(SKIP_2) | instid1(VALU_DEP_1)
	s_or_b32 exec_lo, exec_lo, s14
	v_dual_lshrrev_b32 v2, 16, v14 :: v_dual_mov_b32 v8, 0
	s_mov_b32 s14, exec_lo
	v_and_b32_e32 v9, 0xff, v2
	s_delay_alu instid0(VALU_DEP_1)
	v_cmpx_ne_u16_e32 0, v9
	s_cbranch_execz .LBB2_3062
; %bb.3053:                             ;   in Loop: Header=BB2_2704 Depth=3
	v_bfrev_b32_e32 v8, 1
	s_mov_b32 s15, exec_lo
	v_cmpx_ne_u16_e32 0x80, v9
	s_cbranch_execz .LBB2_3061
; %bb.3054:                             ;   in Loop: Header=BB2_2704 Depth=3
	v_and_b32_e32 v8, 0x7c0000, v14
	v_bfe_u32 v9, v14, 16, 2
	s_delay_alu instid0(VALU_DEP_2) | instskip(SKIP_1) | instid1(SALU_CYCLE_1)
	v_cmp_ne_u32_e32 vcc_lo, 0x7c0000, v8
                                        ; implicit-def: $vgpr8
	s_and_saveexec_b32 s42, vcc_lo
	s_xor_b32 s42, exec_lo, s42
	s_cbranch_execz .LBB2_3058
; %bb.3055:                             ;   in Loop: Header=BB2_2704 Depth=3
	v_bfe_u32 v8, v14, 18, 5
	s_mov_b32 s43, exec_lo
	s_delay_alu instid0(VALU_DEP_1)
	v_cmpx_eq_u32_e32 0, v8
; %bb.3056:                             ;   in Loop: Header=BB2_2704 Depth=3
	v_clz_i32_u32_e32 v8, v9
	s_delay_alu instid0(VALU_DEP_1) | instskip(NEXT) | instid1(VALU_DEP_1)
	v_min_u32_e32 v8, 32, v8
	v_subrev_nc_u32_e32 v9, 29, v8
	v_sub_nc_u32_e32 v8, 30, v8
	s_delay_alu instid0(VALU_DEP_2) | instskip(NEXT) | instid1(VALU_DEP_1)
	v_lshlrev_b64_e32 v[12:13], v9, v[2:3]
	v_and_b32_e32 v9, 3, v12
; %bb.3057:                             ;   in Loop: Header=BB2_2704 Depth=3
	s_or_b32 exec_lo, exec_lo, s43
	v_lshlrev_b32_e32 v2, 24, v2
	s_delay_alu instid0(VALU_DEP_1) | instskip(NEXT) | instid1(VALU_DEP_1)
	v_and_b32_e32 v2, 0x80000000, v2
	v_lshl_add_u32 v2, v8, 23, v2
	s_delay_alu instid0(VALU_DEP_1) | instskip(NEXT) | instid1(VALU_DEP_1)
	v_lshl_or_b32 v2, v9, 21, v2
                                        ; implicit-def: $vgpr9
	v_add_nc_u32_e32 v8, 0x38000000, v2
                                        ; implicit-def: $vgpr2
.LBB2_3058:                             ;   in Loop: Header=BB2_2704 Depth=3
	s_and_not1_saveexec_b32 s42, s42
; %bb.3059:                             ;   in Loop: Header=BB2_2704 Depth=3
	v_bfe_i32 v2, v2, 0, 8
	s_delay_alu instid0(VALU_DEP_1) | instskip(SKIP_2) | instid1(VALU_DEP_2)
	v_cmp_lt_i16_e32 vcc_lo, -1, v2
	v_cndmask_b32_e32 v2, 0xff800000, v109, vcc_lo
	v_cmp_eq_u32_e32 vcc_lo, 0, v9
	v_cndmask_b32_e32 v8, 0x7f800001, v2, vcc_lo
; %bb.3060:                             ;   in Loop: Header=BB2_2704 Depth=3
	s_or_b32 exec_lo, exec_lo, s42
.LBB2_3061:                             ;   in Loop: Header=BB2_2704 Depth=3
	s_delay_alu instid0(SALU_CYCLE_1)
	s_or_b32 exec_lo, exec_lo, s15
.LBB2_3062:                             ;   in Loop: Header=BB2_2704 Depth=3
	s_delay_alu instid0(SALU_CYCLE_1) | instskip(SKIP_3) | instid1(VALU_DEP_1)
	s_or_b32 exec_lo, exec_lo, s14
	v_lshrrev_b32_e32 v2, 16, v10
	s_mov_b32 s15, 0
	s_mov_b32 s14, exec_lo
	v_and_b32_e32 v12, 0xff, v2
	s_delay_alu instid0(VALU_DEP_1)
	v_cmpx_lt_i16_e32 0x7f, v12
	s_xor_b32 s14, exec_lo, s14
	s_cbranch_execz .LBB2_3275
; %bb.3063:                             ;   in Loop: Header=BB2_2704 Depth=3
	s_mov_b32 s15, -1
	s_mov_b32 s42, exec_lo
	v_cmpx_eq_u16_e32 0x80, v12
; %bb.3064:                             ;   in Loop: Header=BB2_2704 Depth=3
	s_xor_b32 s15, exec_lo, -1
; %bb.3065:                             ;   in Loop: Header=BB2_2704 Depth=3
	s_or_b32 exec_lo, exec_lo, s42
	s_delay_alu instid0(SALU_CYCLE_1)
	s_and_b32 s15, s15, exec_lo
                                        ; implicit-def: $vgpr12
	s_or_saveexec_b32 s14, s14
	v_bfrev_b32_e32 v9, 1
	s_xor_b32 exec_lo, exec_lo, s14
	s_cbranch_execnz .LBB2_3276
.LBB2_3066:                             ;   in Loop: Header=BB2_2704 Depth=3
	s_or_b32 exec_lo, exec_lo, s14
	s_and_saveexec_b32 s14, s15
	s_cbranch_execz .LBB2_3068
.LBB2_3067:                             ;   in Loop: Header=BB2_2704 Depth=3
	v_and_b32_e32 v9, 3, v2
	v_bfe_u32 v21, v10, 18, 5
	s_delay_alu instid0(VALU_DEP_2) | instskip(NEXT) | instid1(VALU_DEP_2)
	v_clz_i32_u32_e32 v12, v9
	v_cmp_eq_u32_e32 vcc_lo, 0, v21
	s_delay_alu instid0(VALU_DEP_2) | instskip(NEXT) | instid1(VALU_DEP_1)
	v_min_u32_e32 v20, 32, v12
	v_subrev_nc_u32_e32 v12, 29, v20
	v_sub_nc_u32_e32 v20, 30, v20
	s_delay_alu instid0(VALU_DEP_2) | instskip(NEXT) | instid1(VALU_DEP_2)
	v_lshlrev_b64_e32 v[12:13], v12, v[2:3]
	v_dual_cndmask_b32 v20, v21, v20 :: v_dual_lshlrev_b32 v13, 24, v2
	v_bfe_i32 v2, v2, 0, 8
	s_delay_alu instid0(VALU_DEP_2) | instskip(NEXT) | instid1(VALU_DEP_4)
	v_and_b32_e32 v13, 0x80000000, v13
	v_and_b32_e32 v12, 3, v12
	s_delay_alu instid0(VALU_DEP_2) | instskip(NEXT) | instid1(VALU_DEP_2)
	v_lshl_add_u32 v13, v20, 23, v13
	v_cndmask_b32_e32 v12, v9, v12, vcc_lo
	v_cmp_lt_i16_e32 vcc_lo, -1, v2
	s_delay_alu instid0(VALU_DEP_2) | instskip(SKIP_3) | instid1(VALU_DEP_4)
	v_lshl_or_b32 v12, v12, 21, v13
	v_cndmask_b32_e32 v2, 0xff800000, v109, vcc_lo
	v_and_b32_e32 v13, 0x7c0000, v10
	v_cmp_eq_u32_e32 vcc_lo, 0, v9
	v_add_nc_u32_e32 v9, 0x38000000, v12
	s_delay_alu instid0(VALU_DEP_4) | instskip(NEXT) | instid1(VALU_DEP_4)
	v_cndmask_b32_e32 v2, 0x7f800001, v2, vcc_lo
	v_cmp_eq_u32_e32 vcc_lo, 0x7c0000, v13
	s_delay_alu instid0(VALU_DEP_2)
	v_cndmask_b32_e32 v9, v9, v2, vcc_lo
.LBB2_3068:                             ;   in Loop: Header=BB2_2704 Depth=3
	s_or_b32 exec_lo, exec_lo, s14
	s_delay_alu instid0(VALU_DEP_1) | instskip(SKIP_1) | instid1(VALU_DEP_1)
	v_dual_mul_f32 v8, v8, v9 :: v_dual_mov_b32 v13, v3
                                        ; implicit-def: $vgpr92
	s_mov_b32 s14, exec_lo
	v_and_b32_e32 v12, 0x7f800000, v8
	v_and_b32_e32 v2, 0x7fffff, v8
	v_lshrrev_b32_e32 v9, 24, v8
	s_delay_alu instid0(VALU_DEP_3)
	v_cmpx_ne_u64_e32 0x7f800000, v[12:13]
	s_xor_b32 s15, exec_lo, s14
	s_cbranch_execz .LBB2_3082
; %bb.3069:                             ;   in Loop: Header=BB2_2704 Depth=3
	v_and_b32_e32 v12, 0x7fffffff, v8
	v_mov_b32_e32 v13, v3
	v_and_b32_e32 v60, 0x80, v9
                                        ; implicit-def: $vgpr92
	s_mov_b32 s14, exec_lo
	s_delay_alu instid0(VALU_DEP_2)
	v_cmpx_gt_u64_e32 0x47600001, v[12:13]
	s_xor_b32 s42, exec_lo, s14
	s_cbranch_execz .LBB2_3079
; %bb.3070:                             ;   in Loop: Header=BB2_2704 Depth=3
	v_mov_b32_e32 v92, 0
	s_mov_b32 s43, exec_lo
	v_cmpx_ne_u32_e32 0, v8
	s_cbranch_execz .LBB2_3078
; %bb.3071:                             ;   in Loop: Header=BB2_2704 Depth=3
	v_bfe_u32 v61, v8, 23, 8
	v_or_b32_e32 v12, 0x800000, v2
	s_delay_alu instid0(VALU_DEP_2) | instskip(SKIP_1) | instid1(VALU_DEP_2)
	v_sub_nc_u32_e32 v8, 0x71, v61
	v_cmp_gt_u32_e32 vcc_lo, 0x72, v61
	v_cndmask_b32_e32 v8, 0, v8, vcc_lo
	v_cmp_eq_u32_e32 vcc_lo, 0, v61
	v_cndmask_b32_e32 v2, v12, v2, vcc_lo
	s_delay_alu instid0(VALU_DEP_3) | instskip(NEXT) | instid1(VALU_DEP_1)
	v_cndmask_b32_e64 v92, v8, 0x70, vcc_lo
	v_dual_add_nc_u32 v8, 21, v92 :: v_dual_add_nc_u32 v13, 20, v92
	s_delay_alu instid0(VALU_DEP_1) | instskip(NEXT) | instid1(VALU_DEP_2)
	v_lshlrev_b64_e64 v[8:9], v8, -1
	v_lshlrev_b64_e64 v[12:13], v13, 1
	s_delay_alu instid0(VALU_DEP_2) | instskip(NEXT) | instid1(VALU_DEP_3)
	v_bfi_b32 v95, v9, 0, 0
	v_bfi_b32 v94, v8, 0, v2
	v_lshrrev_b64 v[8:9], v92, v[2:3]
	s_delay_alu instid0(VALU_DEP_2) | instskip(NEXT) | instid1(VALU_DEP_2)
	v_cmp_eq_u64_e64 s14, v[94:95], v[12:13]
	v_mov_b64_e32 v[12:13], v[8:9]
	s_and_saveexec_b32 s75, s14
; %bb.3072:                             ;   in Loop: Header=BB2_2704 Depth=3
	v_bfe_u32 v2, v8, 21, 1
	s_delay_alu instid0(VALU_DEP_1) | instskip(NEXT) | instid1(VALU_DEP_1)
	v_add_nc_u64_e32 v[12:13], v[8:9], v[2:3]
	v_add_nc_u64_e32 v[12:13], -1, v[12:13]
; %bb.3073:                             ;   in Loop: Header=BB2_2704 Depth=3
	s_or_b32 exec_lo, exec_lo, s75
	v_add_nc_u32_e32 v2, 0xffffff81, v61
	v_lshrrev_b32_e32 v9, 23, v8
	s_mov_b32 s14, exec_lo
	s_delay_alu instid0(VALU_DEP_2) | instskip(NEXT) | instid1(VALU_DEP_1)
	v_cndmask_b32_e64 v2, v2, 0xffffff82, vcc_lo
	v_add3_u32 v13, v92, v2, v9
	v_and_b32_e32 v2, 0x1fffff, v12
                                        ; implicit-def: $vgpr12
	s_delay_alu instid0(VALU_DEP_1) | instskip(NEXT) | instid1(VALU_DEP_1)
	v_dual_add_nc_u32 v61, 14, v13 :: v_dual_add_nc_u32 v2, v2, v8
                                        ; implicit-def: $vgpr8_vgpr9
	v_cmpx_ne_u32_e32 0, v61
	s_xor_b32 s14, exec_lo, s14
; %bb.3074:                             ;   in Loop: Header=BB2_2704 Depth=3
	s_delay_alu instid0(VALU_DEP_2) | instskip(SKIP_1) | instid1(VALU_DEP_1)
	v_cmp_lt_u64_e32 vcc_lo, 0xffffff, v[2:3]
	v_add_nc_u32_e32 v8, 15, v13
	v_cndmask_b32_e32 v12, v61, v8, vcc_lo
	v_cndmask_b32_e64 v8, 0, 1, vcc_lo
	s_delay_alu instid0(VALU_DEP_1)
	v_lshrrev_b64 v[8:9], v8, v[2:3]
; %bb.3075:                             ;   in Loop: Header=BB2_2704 Depth=3
	s_and_not1_saveexec_b32 s14, s14
; %bb.3076:                             ;   in Loop: Header=BB2_2704 Depth=3
	v_mov_b64_e32 v[8:9], v[2:3]
	v_bfe_u32 v12, v2, 23, 1
; %bb.3077:                             ;   in Loop: Header=BB2_2704 Depth=3
	s_or_b32 exec_lo, exec_lo, s14
	s_delay_alu instid0(VALU_DEP_2) | instskip(NEXT) | instid1(VALU_DEP_2)
	v_lshrrev_b64 v[8:9], 21, v[8:9]
	v_cmp_gt_i32_e32 vcc_lo, 32, v12
	v_min_i32_e32 v2, 31, v12
	v_cmp_eq_u32_e64 s14, 0, v12
	s_delay_alu instid0(VALU_DEP_2) | instskip(SKIP_1) | instid1(VALU_DEP_2)
	v_dual_cndmask_b32 v9, 0, v9 :: v_dual_lshlrev_b32 v2, 2, v2
	v_cndmask_b32_e32 v8, 3, v8, vcc_lo
	v_and_b32_e32 v2, 0xfc, v2
	s_delay_alu instid0(VALU_DEP_2) | instskip(NEXT) | instid1(VALU_DEP_2)
	v_cmp_eq_u64_e32 vcc_lo, 0, v[8:9]
	v_and_or_b32 v2, v8, 3, v2
	s_and_b32 s14, s14, vcc_lo
	s_delay_alu instid0(VALU_DEP_1) | instid1(SALU_CYCLE_1)
	v_cndmask_b32_e64 v2, v2, 0, s14
	s_delay_alu instid0(VALU_DEP_1)
	v_or_b32_e32 v92, v2, v60
.LBB2_3078:                             ;   in Loop: Header=BB2_2704 Depth=3
	s_or_b32 exec_lo, exec_lo, s43
                                        ; implicit-def: $vgpr60
.LBB2_3079:                             ;   in Loop: Header=BB2_2704 Depth=3
	s_and_not1_saveexec_b32 s14, s42
; %bb.3080:                             ;   in Loop: Header=BB2_2704 Depth=3
	v_or_b32_e32 v92, 0x7b, v60
; %bb.3081:                             ;   in Loop: Header=BB2_2704 Depth=3
	s_or_b32 exec_lo, exec_lo, s14
                                        ; implicit-def: $vgpr8
                                        ; implicit-def: $vgpr9
.LBB2_3082:                             ;   in Loop: Header=BB2_2704 Depth=3
	s_and_not1_saveexec_b32 s14, s15
	s_cbranch_execz .LBB2_3088
; %bb.3083:                             ;   in Loop: Header=BB2_2704 Depth=3
	s_mov_b32 s15, exec_lo
                                        ; implicit-def: $vgpr92
	v_cmpx_ne_u64_e32 0, v[2:3]
	s_xor_b32 s15, exec_lo, s15
; %bb.3084:                             ;   in Loop: Header=BB2_2704 Depth=3
	v_or_b32_e32 v92, 0x7f, v9
                                        ; implicit-def: $vgpr8
; %bb.3085:                             ;   in Loop: Header=BB2_2704 Depth=3
	s_and_not1_saveexec_b32 s15, s15
; %bb.3086:                             ;   in Loop: Header=BB2_2704 Depth=3
	v_cmp_lt_i32_e32 vcc_lo, -1, v8
	v_cndmask_b32_e32 v92, 0xfc, v110, vcc_lo
; %bb.3087:                             ;   in Loop: Header=BB2_2704 Depth=3
	s_or_b32 exec_lo, exec_lo, s15
.LBB2_3088:                             ;   in Loop: Header=BB2_2704 Depth=3
	s_delay_alu instid0(SALU_CYCLE_1)
	s_or_b32 exec_lo, exec_lo, s14
	v_mov_b32_e32 v8, 0
	s_mov_b32 s14, exec_lo
	v_cmpx_lt_u32_e32 0xffffff, v14
	s_cbranch_execz .LBB2_3098
; %bb.3089:                             ;   in Loop: Header=BB2_2704 Depth=3
	v_lshrrev_b32_e32 v2, 24, v14
	v_bfrev_b32_e32 v8, 1
	s_mov_b32 s15, exec_lo
	s_delay_alu instid0(VALU_DEP_2)
	v_cmpx_ne_u32_e32 0x80, v2
	s_cbranch_execz .LBB2_3097
; %bb.3090:                             ;   in Loop: Header=BB2_2704 Depth=3
	v_and_b32_e32 v8, 0x7c000000, v14
	v_bfe_u32 v9, v14, 24, 2
	s_delay_alu instid0(VALU_DEP_2) | instskip(SKIP_1) | instid1(SALU_CYCLE_1)
	v_cmp_ne_u32_e32 vcc_lo, 0x7c000000, v8
                                        ; implicit-def: $vgpr8
	s_and_saveexec_b32 s42, vcc_lo
	s_xor_b32 s42, exec_lo, s42
	s_cbranch_execz .LBB2_3094
; %bb.3091:                             ;   in Loop: Header=BB2_2704 Depth=3
	v_bfe_u32 v8, v14, 26, 5
	s_mov_b32 s43, exec_lo
	s_delay_alu instid0(VALU_DEP_1)
	v_cmpx_eq_u32_e32 0, v8
; %bb.3092:                             ;   in Loop: Header=BB2_2704 Depth=3
	v_clz_i32_u32_e32 v8, v9
	s_delay_alu instid0(VALU_DEP_1) | instskip(NEXT) | instid1(VALU_DEP_1)
	v_min_u32_e32 v8, 32, v8
	v_subrev_nc_u32_e32 v9, 29, v8
	v_sub_nc_u32_e32 v8, 30, v8
	s_delay_alu instid0(VALU_DEP_2) | instskip(NEXT) | instid1(VALU_DEP_1)
	v_lshlrev_b64_e32 v[12:13], v9, v[2:3]
	v_and_b32_e32 v9, 3, v12
; %bb.3093:                             ;   in Loop: Header=BB2_2704 Depth=3
	s_or_b32 exec_lo, exec_lo, s43
	v_and_b32_e32 v2, 0x80000000, v14
	s_delay_alu instid0(VALU_DEP_1) | instskip(NEXT) | instid1(VALU_DEP_1)
	v_lshl_add_u32 v2, v8, 23, v2
	v_lshl_or_b32 v2, v9, 21, v2
                                        ; implicit-def: $vgpr9
	s_delay_alu instid0(VALU_DEP_1)
	v_add_nc_u32_e32 v8, 0x38000000, v2
.LBB2_3094:                             ;   in Loop: Header=BB2_2704 Depth=3
	s_and_not1_saveexec_b32 s42, s42
; %bb.3095:                             ;   in Loop: Header=BB2_2704 Depth=3
	v_cmp_lt_i32_e32 vcc_lo, -1, v14
	v_cndmask_b32_e32 v2, 0xff800000, v109, vcc_lo
	v_cmp_eq_u32_e32 vcc_lo, 0, v9
	s_delay_alu instid0(VALU_DEP_2)
	v_cndmask_b32_e32 v8, 0x7f800001, v2, vcc_lo
; %bb.3096:                             ;   in Loop: Header=BB2_2704 Depth=3
	s_or_b32 exec_lo, exec_lo, s42
.LBB2_3097:                             ;   in Loop: Header=BB2_2704 Depth=3
	s_delay_alu instid0(SALU_CYCLE_1)
	s_or_b32 exec_lo, exec_lo, s15
.LBB2_3098:                             ;   in Loop: Header=BB2_2704 Depth=3
	s_delay_alu instid0(SALU_CYCLE_1) | instskip(SKIP_3) | instid1(VALU_DEP_2)
	s_or_b32 exec_lo, exec_lo, s14
	v_bfe_u32 v9, v10, 24, 2
	v_bfe_u32 v21, v10, 26, 5
                                        ; implicit-def: $vgpr93
	s_mov_b32 s14, exec_lo
	v_clz_i32_u32_e32 v2, v9
	s_delay_alu instid0(VALU_DEP_2) | instskip(NEXT) | instid1(VALU_DEP_2)
	v_cmp_eq_u32_e32 vcc_lo, 0, v21
	v_min_u32_e32 v20, 32, v2
	v_lshrrev_b32_e32 v2, 24, v10
	s_delay_alu instid0(VALU_DEP_2) | instskip(NEXT) | instid1(VALU_DEP_1)
	v_subrev_nc_u32_e32 v12, 29, v20
	v_lshlrev_b64_e32 v[12:13], v12, v[2:3]
	v_sub_nc_u32_e32 v13, 30, v20
	v_and_b32_e32 v20, 0x80000000, v10
	s_delay_alu instid0(VALU_DEP_2) | instskip(NEXT) | instid1(VALU_DEP_1)
	v_dual_cndmask_b32 v13, v21, v13, vcc_lo :: v_dual_bitop2_b32 v12, 3, v12 bitop3:0x40
	v_lshl_add_u32 v13, v13, 23, v20
	s_delay_alu instid0(VALU_DEP_2) | instskip(SKIP_1) | instid1(VALU_DEP_2)
	v_cndmask_b32_e32 v12, v9, v12, vcc_lo
	v_cmp_lt_i32_e32 vcc_lo, -1, v10
	v_lshl_or_b32 v12, v12, 21, v13
	v_cndmask_b32_e32 v20, 0xff800000, v109, vcc_lo
	v_and_b32_e32 v13, 0x7c000000, v10
	v_cmp_eq_u32_e32 vcc_lo, 0, v9
	s_delay_alu instid0(VALU_DEP_4) | instskip(NEXT) | instid1(VALU_DEP_4)
	v_add_nc_u32_e32 v12, 0x38000000, v12
	v_cndmask_b32_e32 v9, 0x7f800001, v20, vcc_lo
	s_delay_alu instid0(VALU_DEP_4) | instskip(NEXT) | instid1(VALU_DEP_2)
	v_cmp_eq_u32_e32 vcc_lo, 0x7c000000, v13
	v_dual_mov_b32 v13, v3 :: v_dual_cndmask_b32 v9, v12, v9, vcc_lo
	v_cmp_ne_u32_e32 vcc_lo, 0x80, v2
	s_delay_alu instid0(VALU_DEP_2) | instskip(SKIP_1) | instid1(VALU_DEP_2)
	v_cndmask_b32_e32 v2, 0x80000000, v9, vcc_lo
	v_cmp_lt_u32_e32 vcc_lo, 0xffffff, v10
	v_cndmask_b32_e32 v2, 0, v2, vcc_lo
	s_delay_alu instid0(VALU_DEP_1) | instskip(NEXT) | instid1(VALU_DEP_1)
	v_mul_f32_e32 v8, v2, v8
	v_and_b32_e32 v12, 0x7f800000, v8
	v_and_b32_e32 v2, 0x7fffff, v8
	v_lshrrev_b32_e32 v9, 24, v8
	s_delay_alu instid0(VALU_DEP_3)
	v_cmpx_ne_u64_e32 0x7f800000, v[12:13]
	s_xor_b32 s15, exec_lo, s14
	s_cbranch_execz .LBB2_3112
; %bb.3099:                             ;   in Loop: Header=BB2_2704 Depth=3
	v_and_b32_e32 v12, 0x7fffffff, v8
	v_mov_b32_e32 v13, v3
	v_and_b32_e32 v60, 0x80, v9
                                        ; implicit-def: $vgpr93
	s_mov_b32 s14, exec_lo
	s_delay_alu instid0(VALU_DEP_2)
	v_cmpx_gt_u64_e32 0x47600001, v[12:13]
	s_xor_b32 s42, exec_lo, s14
	s_cbranch_execz .LBB2_3109
; %bb.3100:                             ;   in Loop: Header=BB2_2704 Depth=3
	v_mov_b32_e32 v93, 0
	s_mov_b32 s43, exec_lo
	v_cmpx_ne_u32_e32 0, v8
	s_cbranch_execz .LBB2_3108
; %bb.3101:                             ;   in Loop: Header=BB2_2704 Depth=3
	v_bfe_u32 v61, v8, 23, 8
	v_or_b32_e32 v12, 0x800000, v2
	s_delay_alu instid0(VALU_DEP_2) | instskip(SKIP_1) | instid1(VALU_DEP_2)
	v_sub_nc_u32_e32 v8, 0x71, v61
	v_cmp_gt_u32_e32 vcc_lo, 0x72, v61
	v_cndmask_b32_e32 v8, 0, v8, vcc_lo
	v_cmp_eq_u32_e32 vcc_lo, 0, v61
	s_delay_alu instid0(VALU_DEP_2) | instskip(NEXT) | instid1(VALU_DEP_1)
	v_cndmask_b32_e64 v93, v8, 0x70, vcc_lo
	v_dual_cndmask_b32 v2, v12, v2, vcc_lo :: v_dual_add_nc_u32 v8, 21, v93
	v_add_nc_u32_e32 v13, 20, v93
	s_delay_alu instid0(VALU_DEP_2) | instskip(NEXT) | instid1(VALU_DEP_2)
	v_lshlrev_b64_e64 v[8:9], v8, -1
	v_lshlrev_b64_e64 v[12:13], v13, 1
	s_delay_alu instid0(VALU_DEP_2) | instskip(NEXT) | instid1(VALU_DEP_3)
	v_bfi_b32 v95, v9, 0, 0
	v_bfi_b32 v94, v8, 0, v2
	v_lshrrev_b64 v[8:9], v93, v[2:3]
	s_delay_alu instid0(VALU_DEP_2) | instskip(NEXT) | instid1(VALU_DEP_2)
	v_cmp_eq_u64_e64 s14, v[94:95], v[12:13]
	v_mov_b64_e32 v[12:13], v[8:9]
	s_and_saveexec_b32 s75, s14
; %bb.3102:                             ;   in Loop: Header=BB2_2704 Depth=3
	v_bfe_u32 v2, v8, 21, 1
	s_delay_alu instid0(VALU_DEP_1) | instskip(NEXT) | instid1(VALU_DEP_1)
	v_add_nc_u64_e32 v[12:13], v[8:9], v[2:3]
	v_add_nc_u64_e32 v[12:13], -1, v[12:13]
; %bb.3103:                             ;   in Loop: Header=BB2_2704 Depth=3
	s_or_b32 exec_lo, exec_lo, s75
	v_add_nc_u32_e32 v2, 0xffffff81, v61
	v_lshrrev_b32_e32 v9, 23, v8
	s_mov_b32 s14, exec_lo
	s_delay_alu instid0(VALU_DEP_2) | instskip(NEXT) | instid1(VALU_DEP_1)
	v_cndmask_b32_e64 v2, v2, 0xffffff82, vcc_lo
	v_add3_u32 v13, v93, v2, v9
	v_and_b32_e32 v2, 0x1fffff, v12
                                        ; implicit-def: $vgpr12
	s_delay_alu instid0(VALU_DEP_1) | instskip(NEXT) | instid1(VALU_DEP_1)
	v_dual_add_nc_u32 v61, 14, v13 :: v_dual_add_nc_u32 v2, v2, v8
                                        ; implicit-def: $vgpr8_vgpr9
	v_cmpx_ne_u32_e32 0, v61
	s_xor_b32 s14, exec_lo, s14
; %bb.3104:                             ;   in Loop: Header=BB2_2704 Depth=3
	s_delay_alu instid0(VALU_DEP_2) | instskip(SKIP_1) | instid1(VALU_DEP_1)
	v_cmp_lt_u64_e32 vcc_lo, 0xffffff, v[2:3]
	v_add_nc_u32_e32 v8, 15, v13
	v_cndmask_b32_e32 v12, v61, v8, vcc_lo
	v_cndmask_b32_e64 v8, 0, 1, vcc_lo
	s_delay_alu instid0(VALU_DEP_1)
	v_lshrrev_b64 v[8:9], v8, v[2:3]
; %bb.3105:                             ;   in Loop: Header=BB2_2704 Depth=3
	s_and_not1_saveexec_b32 s14, s14
; %bb.3106:                             ;   in Loop: Header=BB2_2704 Depth=3
	v_mov_b64_e32 v[8:9], v[2:3]
	v_bfe_u32 v12, v2, 23, 1
; %bb.3107:                             ;   in Loop: Header=BB2_2704 Depth=3
	s_or_b32 exec_lo, exec_lo, s14
	s_delay_alu instid0(VALU_DEP_2) | instskip(NEXT) | instid1(VALU_DEP_2)
	v_lshrrev_b64 v[8:9], 21, v[8:9]
	v_cmp_gt_i32_e32 vcc_lo, 32, v12
	v_min_i32_e32 v2, 31, v12
	v_cmp_eq_u32_e64 s14, 0, v12
	s_delay_alu instid0(VALU_DEP_2) | instskip(SKIP_1) | instid1(VALU_DEP_2)
	v_dual_cndmask_b32 v9, 0, v9 :: v_dual_lshlrev_b32 v2, 2, v2
	v_cndmask_b32_e32 v8, 3, v8, vcc_lo
	v_and_b32_e32 v2, 0xfc, v2
	s_delay_alu instid0(VALU_DEP_2) | instskip(NEXT) | instid1(VALU_DEP_2)
	v_cmp_eq_u64_e32 vcc_lo, 0, v[8:9]
	v_and_or_b32 v2, v8, 3, v2
	s_and_b32 s14, s14, vcc_lo
	s_delay_alu instid0(VALU_DEP_1) | instid1(SALU_CYCLE_1)
	v_cndmask_b32_e64 v2, v2, 0, s14
	s_delay_alu instid0(VALU_DEP_1)
	v_or_b32_e32 v93, v2, v60
.LBB2_3108:                             ;   in Loop: Header=BB2_2704 Depth=3
	s_or_b32 exec_lo, exec_lo, s43
                                        ; implicit-def: $vgpr60
.LBB2_3109:                             ;   in Loop: Header=BB2_2704 Depth=3
	s_and_not1_saveexec_b32 s14, s42
; %bb.3110:                             ;   in Loop: Header=BB2_2704 Depth=3
	v_or_b32_e32 v93, 0x7b, v60
; %bb.3111:                             ;   in Loop: Header=BB2_2704 Depth=3
	s_or_b32 exec_lo, exec_lo, s14
                                        ; implicit-def: $vgpr8
                                        ; implicit-def: $vgpr9
.LBB2_3112:                             ;   in Loop: Header=BB2_2704 Depth=3
	s_and_not1_saveexec_b32 s14, s15
	s_cbranch_execz .LBB2_3118
; %bb.3113:                             ;   in Loop: Header=BB2_2704 Depth=3
	s_mov_b32 s15, exec_lo
                                        ; implicit-def: $vgpr93
	v_cmpx_ne_u64_e32 0, v[2:3]
	s_xor_b32 s15, exec_lo, s15
; %bb.3114:                             ;   in Loop: Header=BB2_2704 Depth=3
	v_or_b32_e32 v93, 0x7f, v9
                                        ; implicit-def: $vgpr8
; %bb.3115:                             ;   in Loop: Header=BB2_2704 Depth=3
	s_and_not1_saveexec_b32 s15, s15
; %bb.3116:                             ;   in Loop: Header=BB2_2704 Depth=3
	v_cmp_lt_i32_e32 vcc_lo, -1, v8
	v_cndmask_b32_e32 v93, 0xfc, v110, vcc_lo
; %bb.3117:                             ;   in Loop: Header=BB2_2704 Depth=3
	s_or_b32 exec_lo, exec_lo, s15
.LBB2_3118:                             ;   in Loop: Header=BB2_2704 Depth=3
	s_delay_alu instid0(SALU_CYCLE_1) | instskip(SKIP_3) | instid1(VALU_DEP_2)
	s_or_b32 exec_lo, exec_lo, s14
	v_and_b32_e32 v8, 0xff, v15
	v_dual_mov_b32 v2, v15 :: v_dual_mov_b32 v12, 0
	s_mov_b32 s14, exec_lo
	v_cmpx_ne_u16_e32 0, v8
	s_cbranch_execz .LBB2_3128
; %bb.3119:                             ;   in Loop: Header=BB2_2704 Depth=3
	v_bfrev_b32_e32 v12, 1
	s_mov_b32 s15, exec_lo
	v_cmpx_ne_u16_e32 0x80, v8
	s_cbranch_execz .LBB2_3127
; %bb.3120:                             ;   in Loop: Header=BB2_2704 Depth=3
	v_and_b32_e32 v9, 0x7c, v15
	v_and_b32_e32 v8, 3, v15
	s_mov_b32 s42, exec_lo
                                        ; implicit-def: $vgpr12
	s_delay_alu instid0(VALU_DEP_2)
	v_cmpx_ne_u32_e32 0x7c, v9
	s_xor_b32 s42, exec_lo, s42
	s_cbranch_execz .LBB2_3124
; %bb.3121:                             ;   in Loop: Header=BB2_2704 Depth=3
	v_bfe_u32 v9, v15, 2, 5
	s_mov_b32 s43, exec_lo
	s_delay_alu instid0(VALU_DEP_1)
	v_cmpx_eq_u32_e32 0, v9
; %bb.3122:                             ;   in Loop: Header=BB2_2704 Depth=3
	v_clz_i32_u32_e32 v8, v8
	s_delay_alu instid0(VALU_DEP_1) | instskip(NEXT) | instid1(VALU_DEP_1)
	v_min_u32_e32 v12, 32, v8
	v_subrev_nc_u32_e32 v8, 29, v12
	s_delay_alu instid0(VALU_DEP_1) | instskip(SKIP_1) | instid1(VALU_DEP_2)
	v_lshlrev_b64_e32 v[8:9], v8, v[2:3]
	v_sub_nc_u32_e32 v9, 30, v12
	v_and_b32_e32 v8, 3, v8
; %bb.3123:                             ;   in Loop: Header=BB2_2704 Depth=3
	s_or_b32 exec_lo, exec_lo, s43
	v_lshlrev_b32_e32 v12, 24, v15
	s_delay_alu instid0(VALU_DEP_1) | instskip(NEXT) | instid1(VALU_DEP_1)
	v_and_b32_e32 v12, 0x80000000, v12
	v_lshl_add_u32 v9, v9, 23, v12
	s_delay_alu instid0(VALU_DEP_1) | instskip(NEXT) | instid1(VALU_DEP_1)
	v_lshl_or_b32 v8, v8, 21, v9
	v_add_nc_u32_e32 v12, 0x38000000, v8
                                        ; implicit-def: $vgpr8
.LBB2_3124:                             ;   in Loop: Header=BB2_2704 Depth=3
	s_and_not1_saveexec_b32 s42, s42
; %bb.3125:                             ;   in Loop: Header=BB2_2704 Depth=3
	v_bfe_i32 v9, v15, 0, 8
	s_delay_alu instid0(VALU_DEP_1) | instskip(SKIP_2) | instid1(VALU_DEP_2)
	v_cmp_lt_i16_e32 vcc_lo, -1, v9
	v_cndmask_b32_e32 v9, 0xff800000, v109, vcc_lo
	v_cmp_eq_u32_e32 vcc_lo, 0, v8
	v_cndmask_b32_e32 v12, 0x7f800001, v9, vcc_lo
; %bb.3126:                             ;   in Loop: Header=BB2_2704 Depth=3
	s_or_b32 exec_lo, exec_lo, s42
.LBB2_3127:                             ;   in Loop: Header=BB2_2704 Depth=3
	s_delay_alu instid0(SALU_CYCLE_1)
	s_or_b32 exec_lo, exec_lo, s15
.LBB2_3128:                             ;   in Loop: Header=BB2_2704 Depth=3
	s_delay_alu instid0(SALU_CYCLE_1) | instskip(SKIP_4) | instid1(VALU_DEP_2)
	s_or_b32 exec_lo, exec_lo, s14
	v_and_b32_e32 v9, 0xff, v11
	v_mov_b32_e32 v8, v11
	s_mov_b32 s15, 0
	s_mov_b32 s14, exec_lo
	v_cmpx_lt_i16_e32 0x7f, v9
	s_xor_b32 s14, exec_lo, s14
	s_cbranch_execz .LBB2_3277
; %bb.3129:                             ;   in Loop: Header=BB2_2704 Depth=3
	s_mov_b32 s15, -1
	s_mov_b32 s42, exec_lo
	v_cmpx_eq_u16_e32 0x80, v9
; %bb.3130:                             ;   in Loop: Header=BB2_2704 Depth=3
	s_xor_b32 s15, exec_lo, -1
; %bb.3131:                             ;   in Loop: Header=BB2_2704 Depth=3
	s_or_b32 exec_lo, exec_lo, s42
	s_delay_alu instid0(SALU_CYCLE_1)
	s_and_b32 s15, s15, exec_lo
                                        ; implicit-def: $vgpr9
	s_or_saveexec_b32 s14, s14
	v_bfrev_b32_e32 v13, 1
	s_xor_b32 exec_lo, exec_lo, s14
	s_cbranch_execnz .LBB2_3278
.LBB2_3132:                             ;   in Loop: Header=BB2_2704 Depth=3
	s_or_b32 exec_lo, exec_lo, s14
	v_mov_b32_e32 v9, v3
	s_and_saveexec_b32 s14, s15
	s_cbranch_execz .LBB2_3134
.LBB2_3133:                             ;   in Loop: Header=BB2_2704 Depth=3
	v_and_b32_e32 v13, 3, v11
	s_delay_alu instid0(VALU_DEP_1) | instskip(NEXT) | instid1(VALU_DEP_1)
	v_clz_i32_u32_e32 v20, v13
	v_min_u32_e32 v20, 32, v20
	s_delay_alu instid0(VALU_DEP_1) | instskip(SKIP_1) | instid1(VALU_DEP_2)
	v_subrev_nc_u32_e32 v21, 29, v20
	v_sub_nc_u32_e32 v20, 30, v20
	v_lshlrev_b64_e32 v[60:61], v21, v[8:9]
	v_bfe_u32 v21, v11, 2, 5
	v_lshlrev_b32_e32 v9, 24, v11
	s_delay_alu instid0(VALU_DEP_2) | instskip(NEXT) | instid1(VALU_DEP_2)
	v_cmp_eq_u32_e32 vcc_lo, 0, v21
	v_and_b32_e32 v9, 0x80000000, v9
	v_and_b32_e32 v60, 3, v60
	v_cndmask_b32_e32 v20, v21, v20, vcc_lo
	v_bfe_i32 v21, v11, 0, 8
	s_delay_alu instid0(VALU_DEP_3) | instskip(NEXT) | instid1(VALU_DEP_3)
	v_cndmask_b32_e32 v60, v13, v60, vcc_lo
	v_lshl_add_u32 v9, v20, 23, v9
	s_delay_alu instid0(VALU_DEP_3) | instskip(SKIP_1) | instid1(VALU_DEP_3)
	v_cmp_lt_i16_e32 vcc_lo, -1, v21
	v_and_b32_e32 v21, 0x7c, v11
	v_lshl_or_b32 v9, v60, 21, v9
	v_cndmask_b32_e32 v20, 0xff800000, v109, vcc_lo
	v_cmp_eq_u32_e32 vcc_lo, 0, v13
	s_delay_alu instid0(VALU_DEP_3) | instskip(NEXT) | instid1(VALU_DEP_3)
	v_add_nc_u32_e32 v9, 0x38000000, v9
	v_cndmask_b32_e32 v13, 0x7f800001, v20, vcc_lo
	v_cmp_eq_u32_e32 vcc_lo, 0x7c, v21
	s_delay_alu instid0(VALU_DEP_2)
	v_cndmask_b32_e32 v13, v9, v13, vcc_lo
.LBB2_3134:                             ;   in Loop: Header=BB2_2704 Depth=3
	s_or_b32 exec_lo, exec_lo, s14
	s_delay_alu instid0(VALU_DEP_1) | instskip(SKIP_2) | instid1(VALU_DEP_2)
	v_dual_mul_f32 v61, v12, v13 :: v_dual_mov_b32 v95, v3
	v_mov_b32_e32 v13, v3
                                        ; implicit-def: $vgpr60
	s_mov_b32 s14, exec_lo
	v_and_b32_e32 v94, 0x7f800000, v61
	v_and_b32_e32 v12, 0x7fffff, v61
	v_lshrrev_b32_e32 v9, 24, v61
	s_delay_alu instid0(VALU_DEP_3)
	v_cmpx_ne_u64_e32 0x7f800000, v[94:95]
	s_xor_b32 s15, exec_lo, s14
	s_cbranch_execz .LBB2_3148
; %bb.3135:                             ;   in Loop: Header=BB2_2704 Depth=3
	v_and_b32_e32 v94, 0x7fffffff, v61
	v_mov_b32_e32 v95, v3
	v_and_b32_e32 v9, 0x80, v9
                                        ; implicit-def: $vgpr60
	s_mov_b32 s14, exec_lo
	s_delay_alu instid0(VALU_DEP_2)
	v_cmpx_gt_u64_e32 0x47600001, v[94:95]
	s_xor_b32 s42, exec_lo, s14
	s_cbranch_execz .LBB2_3145
; %bb.3136:                             ;   in Loop: Header=BB2_2704 Depth=3
	v_mov_b32_e32 v60, 0
	s_mov_b32 s43, exec_lo
	v_cmpx_ne_u32_e32 0, v61
	s_cbranch_execz .LBB2_3144
; %bb.3137:                             ;   in Loop: Header=BB2_2704 Depth=3
	v_bfe_u32 v94, v61, 23, 8
	v_or_b32_e32 v21, 0x800000, v12
	s_delay_alu instid0(VALU_DEP_2) | instskip(SKIP_2) | instid1(VALU_DEP_2)
	v_cmp_gt_u32_e64 s14, 0x72, v94
	v_sub_nc_u32_e32 v20, 0x71, v94
	v_cmp_eq_u32_e32 vcc_lo, 0, v94
	v_cndmask_b32_e64 v20, 0, v20, s14
	s_delay_alu instid0(VALU_DEP_1) | instskip(NEXT) | instid1(VALU_DEP_1)
	v_cndmask_b32_e64 v95, v20, 0x70, vcc_lo
	v_dual_cndmask_b32 v12, v21, v12, vcc_lo :: v_dual_add_nc_u32 v20, 21, v95
	s_delay_alu instid0(VALU_DEP_1) | instskip(SKIP_1) | instid1(VALU_DEP_1)
	v_lshlrev_b64_e64 v[60:61], v20, -1
	v_add_nc_u32_e32 v20, 20, v95
	v_lshlrev_b64_e64 v[104:105], v20, 1
	s_delay_alu instid0(VALU_DEP_3) | instskip(SKIP_2) | instid1(VALU_DEP_1)
	v_bfi_b32 v60, v60, 0, v12
	v_lshrrev_b64 v[12:13], v95, v[12:13]
	v_bfi_b32 v61, v61, 0, 0
	v_cmp_eq_u64_e64 s14, v[60:61], v[104:105]
	s_delay_alu instid0(VALU_DEP_3)
	v_mov_b64_e32 v[60:61], v[12:13]
	s_and_saveexec_b32 s75, s14
; %bb.3138:                             ;   in Loop: Header=BB2_2704 Depth=3
	v_bfe_u32 v60, v12, 21, 1
	v_mov_b32_e32 v61, v3
	s_delay_alu instid0(VALU_DEP_1) | instskip(NEXT) | instid1(VALU_DEP_1)
	v_add_nc_u64_e32 v[60:61], v[12:13], v[60:61]
	v_add_nc_u64_e32 v[60:61], -1, v[60:61]
; %bb.3139:                             ;   in Loop: Header=BB2_2704 Depth=3
	s_or_b32 exec_lo, exec_lo, s75
	v_add_nc_u32_e32 v13, 0xffffff81, v94
	v_lshrrev_b32_e32 v20, 23, v12
	s_mov_b32 s14, exec_lo
	s_delay_alu instid0(VALU_DEP_2) | instskip(NEXT) | instid1(VALU_DEP_1)
	v_cndmask_b32_e64 v13, v13, 0xffffff82, vcc_lo
	v_add3_u32 v61, v95, v13, v20
	v_and_b32_e32 v13, 0x1fffff, v60
                                        ; implicit-def: $vgpr60
	s_delay_alu instid0(VALU_DEP_1) | instskip(SKIP_1) | instid1(VALU_DEP_2)
	v_dual_add_nc_u32 v94, 14, v61 :: v_dual_add_nc_u32 v12, v13, v12
	v_mov_b32_e32 v13, v3
	v_cmpx_ne_u32_e32 0, v94
	s_xor_b32 s14, exec_lo, s14
; %bb.3140:                             ;   in Loop: Header=BB2_2704 Depth=3
	s_delay_alu instid0(VALU_DEP_2) | instskip(SKIP_1) | instid1(VALU_DEP_1)
	v_cmp_lt_u64_e32 vcc_lo, 0xffffff, v[12:13]
	v_add_nc_u32_e32 v20, 15, v61
	v_cndmask_b32_e32 v60, v94, v20, vcc_lo
	v_cndmask_b32_e64 v20, 0, 1, vcc_lo
	s_delay_alu instid0(VALU_DEP_1)
	v_lshrrev_b64 v[12:13], v20, v[12:13]
; %bb.3141:                             ;   in Loop: Header=BB2_2704 Depth=3
	s_and_not1_saveexec_b32 s14, s14
; %bb.3142:                             ;   in Loop: Header=BB2_2704 Depth=3
	s_delay_alu instid0(VALU_DEP_1)
	v_bfe_u32 v60, v12, 23, 1
; %bb.3143:                             ;   in Loop: Header=BB2_2704 Depth=3
	s_or_b32 exec_lo, exec_lo, s14
	s_delay_alu instid0(VALU_DEP_2) | instskip(NEXT) | instid1(VALU_DEP_2)
	v_lshrrev_b64 v[12:13], 21, v[12:13]
	v_cmp_gt_i32_e32 vcc_lo, 32, v60
	v_min_i32_e32 v20, 31, v60
	v_cmp_eq_u32_e64 s14, 0, v60
	s_delay_alu instid0(VALU_DEP_2) | instskip(SKIP_1) | instid1(VALU_DEP_2)
	v_dual_cndmask_b32 v13, 0, v13 :: v_dual_lshlrev_b32 v20, 2, v20
	v_cndmask_b32_e32 v12, 3, v12, vcc_lo
	v_and_b32_e32 v20, 0xfc, v20
	s_delay_alu instid0(VALU_DEP_2) | instskip(NEXT) | instid1(VALU_DEP_2)
	v_cmp_eq_u64_e32 vcc_lo, 0, v[12:13]
	v_and_or_b32 v12, v12, 3, v20
	s_and_b32 s14, s14, vcc_lo
	s_delay_alu instid0(VALU_DEP_1) | instid1(SALU_CYCLE_1)
	v_cndmask_b32_e64 v12, v12, 0, s14
	s_delay_alu instid0(VALU_DEP_1)
	v_or_b32_e32 v60, v12, v9
.LBB2_3144:                             ;   in Loop: Header=BB2_2704 Depth=3
	s_or_b32 exec_lo, exec_lo, s43
                                        ; implicit-def: $vgpr9
.LBB2_3145:                             ;   in Loop: Header=BB2_2704 Depth=3
	s_and_not1_saveexec_b32 s14, s42
; %bb.3146:                             ;   in Loop: Header=BB2_2704 Depth=3
	v_or_b32_e32 v60, 0x7b, v9
; %bb.3147:                             ;   in Loop: Header=BB2_2704 Depth=3
	s_or_b32 exec_lo, exec_lo, s14
                                        ; implicit-def: $vgpr61
                                        ; implicit-def: $vgpr12_vgpr13
                                        ; implicit-def: $vgpr9
.LBB2_3148:                             ;   in Loop: Header=BB2_2704 Depth=3
	s_and_not1_saveexec_b32 s14, s15
	s_cbranch_execz .LBB2_3154
; %bb.3149:                             ;   in Loop: Header=BB2_2704 Depth=3
	s_mov_b32 s15, exec_lo
                                        ; implicit-def: $vgpr60
	v_cmpx_ne_u64_e32 0, v[12:13]
	s_xor_b32 s15, exec_lo, s15
; %bb.3150:                             ;   in Loop: Header=BB2_2704 Depth=3
	v_or_b32_e32 v60, 0x7f, v9
                                        ; implicit-def: $vgpr61
; %bb.3151:                             ;   in Loop: Header=BB2_2704 Depth=3
	s_and_not1_saveexec_b32 s15, s15
; %bb.3152:                             ;   in Loop: Header=BB2_2704 Depth=3
	v_cmp_lt_i32_e32 vcc_lo, -1, v61
	v_cndmask_b32_e32 v60, 0xfc, v110, vcc_lo
; %bb.3153:                             ;   in Loop: Header=BB2_2704 Depth=3
	s_or_b32 exec_lo, exec_lo, s15
.LBB2_3154:                             ;   in Loop: Header=BB2_2704 Depth=3
	s_delay_alu instid0(SALU_CYCLE_1) | instskip(SKIP_3) | instid1(VALU_DEP_2)
	s_or_b32 exec_lo, exec_lo, s14
	v_lshrrev_b16 v12, 8, v2
	v_mov_b32_e32 v9, 0
	s_mov_b32 s14, exec_lo
	v_cmpx_ne_u16_e32 0, v12
	s_cbranch_execz .LBB2_3164
; %bb.3155:                             ;   in Loop: Header=BB2_2704 Depth=3
	v_bfrev_b32_e32 v9, 1
	s_mov_b32 s15, exec_lo
	v_cmpx_ne_u16_e32 0x80, v12
	s_cbranch_execz .LBB2_3163
; %bb.3156:                             ;   in Loop: Header=BB2_2704 Depth=3
	v_and_b32_e32 v61, 0xffff, v12
	s_delay_alu instid0(VALU_DEP_1) | instskip(SKIP_1) | instid1(VALU_DEP_2)
	v_and_b32_e32 v9, 0x7c, v61
	v_and_b32_e32 v13, 3, v61
	v_cmp_ne_u32_e32 vcc_lo, 0x7c, v9
                                        ; implicit-def: $vgpr9
	s_and_saveexec_b32 s42, vcc_lo
	s_delay_alu instid0(SALU_CYCLE_1)
	s_xor_b32 s42, exec_lo, s42
	s_cbranch_execz .LBB2_3160
; %bb.3157:                             ;   in Loop: Header=BB2_2704 Depth=3
	v_bfe_u32 v9, v61, 2, 5
	s_mov_b32 s43, exec_lo
	s_delay_alu instid0(VALU_DEP_1)
	v_cmpx_eq_u32_e32 0, v9
	s_cbranch_execz .LBB2_3159
; %bb.3158:                             ;   in Loop: Header=BB2_2704 Depth=3
	v_clz_i32_u32_e32 v9, v13
	s_delay_alu instid0(VALU_DEP_1) | instskip(SKIP_1) | instid1(VALU_DEP_2)
	v_min_u32_e32 v9, 32, v9
	v_mov_b32_e32 v13, v3
	v_subrev_nc_u32_e32 v20, 29, v9
	v_sub_nc_u32_e32 v9, 30, v9
	s_delay_alu instid0(VALU_DEP_2) | instskip(NEXT) | instid1(VALU_DEP_1)
	v_lshlrev_b64_e32 v[12:13], v20, v[12:13]
	v_and_b32_e32 v13, 3, v12
.LBB2_3159:                             ;   in Loop: Header=BB2_2704 Depth=3
	s_or_b32 exec_lo, exec_lo, s43
	v_lshlrev_b32_e32 v2, 16, v2
	s_delay_alu instid0(VALU_DEP_1) | instskip(NEXT) | instid1(VALU_DEP_1)
	v_and_b32_e32 v2, 0x80000000, v2
	v_lshl_add_u32 v2, v9, 23, v2
	s_delay_alu instid0(VALU_DEP_1) | instskip(NEXT) | instid1(VALU_DEP_1)
	v_lshl_or_b32 v2, v13, 21, v2
                                        ; implicit-def: $vgpr13
	v_add_nc_u32_e32 v9, 0x38000000, v2
.LBB2_3160:                             ;   in Loop: Header=BB2_2704 Depth=3
	s_and_not1_saveexec_b32 s42, s42
; %bb.3161:                             ;   in Loop: Header=BB2_2704 Depth=3
	v_cmp_lt_i16_e32 vcc_lo, -1, v2
	v_cndmask_b32_e32 v2, 0xff800000, v109, vcc_lo
	v_cmp_eq_u32_e32 vcc_lo, 0, v13
	s_delay_alu instid0(VALU_DEP_2)
	v_cndmask_b32_e32 v9, 0x7f800001, v2, vcc_lo
; %bb.3162:                             ;   in Loop: Header=BB2_2704 Depth=3
	s_or_b32 exec_lo, exec_lo, s42
.LBB2_3163:                             ;   in Loop: Header=BB2_2704 Depth=3
	s_delay_alu instid0(SALU_CYCLE_1)
	s_or_b32 exec_lo, exec_lo, s15
.LBB2_3164:                             ;   in Loop: Header=BB2_2704 Depth=3
	s_delay_alu instid0(SALU_CYCLE_1) | instskip(SKIP_3) | instid1(VALU_DEP_1)
	s_or_b32 exec_lo, exec_lo, s14
	v_lshrrev_b16 v2, 8, v8
	s_mov_b32 s15, 0
	s_mov_b32 s14, exec_lo
	v_cmpx_lt_i16_e32 0x7f, v2
	s_xor_b32 s14, exec_lo, s14
	s_cbranch_execz .LBB2_3279
; %bb.3165:                             ;   in Loop: Header=BB2_2704 Depth=3
	s_mov_b32 s15, -1
	s_mov_b32 s42, exec_lo
	v_cmpx_eq_u16_e32 0x80, v2
; %bb.3166:                             ;   in Loop: Header=BB2_2704 Depth=3
	s_xor_b32 s15, exec_lo, -1
; %bb.3167:                             ;   in Loop: Header=BB2_2704 Depth=3
	s_or_b32 exec_lo, exec_lo, s42
	s_delay_alu instid0(SALU_CYCLE_1)
	s_and_b32 s15, s15, exec_lo
	s_or_saveexec_b32 s14, s14
	v_bfrev_b32_e32 v12, 1
	s_xor_b32 exec_lo, exec_lo, s14
	s_cbranch_execnz .LBB2_3280
.LBB2_3168:                             ;   in Loop: Header=BB2_2704 Depth=3
	s_or_b32 exec_lo, exec_lo, s14
	s_and_saveexec_b32 s14, s15
	s_cbranch_execz .LBB2_3170
.LBB2_3169:                             ;   in Loop: Header=BB2_2704 Depth=3
	v_and_b32_e32 v20, 0xffff, v2
	s_delay_alu instid0(VALU_DEP_1) | instskip(NEXT) | instid1(VALU_DEP_1)
	v_and_b32_e32 v21, 3, v20
	v_clz_i32_u32_e32 v12, v21
	s_delay_alu instid0(VALU_DEP_1) | instskip(NEXT) | instid1(VALU_DEP_1)
	v_min_u32_e32 v61, 32, v12
	v_subrev_nc_u32_e32 v12, 29, v61
	s_delay_alu instid0(VALU_DEP_1) | instskip(SKIP_2) | instid1(VALU_DEP_2)
	v_lshlrev_b64_e32 v[12:13], v12, v[2:3]
	v_bfe_u32 v13, v20, 2, 5
	v_dual_lshlrev_b32 v2, 24, v2 :: v_dual_sub_nc_u32 v61, 30, v61
	v_cmp_eq_u32_e32 vcc_lo, 0, v13
	s_delay_alu instid0(VALU_DEP_2) | instskip(NEXT) | instid1(VALU_DEP_3)
	v_and_b32_e32 v2, 0x80000000, v2
	v_dual_cndmask_b32 v13, v13, v61, vcc_lo :: v_dual_bitop2_b32 v12, 3, v12 bitop3:0x40
	s_delay_alu instid0(VALU_DEP_1) | instskip(SKIP_1) | instid1(VALU_DEP_3)
	v_cndmask_b32_e32 v12, v21, v12, vcc_lo
	v_cmp_lt_i16_e32 vcc_lo, -1, v8
	v_lshl_add_u32 v2, v13, 23, v2
	v_cndmask_b32_e32 v8, 0xff800000, v109, vcc_lo
	v_cmp_eq_u32_e32 vcc_lo, 0, v21
	s_delay_alu instid0(VALU_DEP_3) | instskip(SKIP_1) | instid1(VALU_DEP_4)
	v_lshl_or_b32 v2, v12, 21, v2
	v_and_b32_e32 v12, 0x7c, v20
	v_cndmask_b32_e32 v8, 0x7f800001, v8, vcc_lo
	s_delay_alu instid0(VALU_DEP_3) | instskip(NEXT) | instid1(VALU_DEP_3)
	v_add_nc_u32_e32 v2, 0x38000000, v2
	v_cmp_eq_u32_e32 vcc_lo, 0x7c, v12
	s_delay_alu instid0(VALU_DEP_2)
	v_cndmask_b32_e32 v12, v2, v8, vcc_lo
.LBB2_3170:                             ;   in Loop: Header=BB2_2704 Depth=3
	s_or_b32 exec_lo, exec_lo, s14
	s_delay_alu instid0(VALU_DEP_1) | instskip(SKIP_1) | instid1(VALU_DEP_1)
	v_dual_mul_f32 v8, v9, v12 :: v_dual_mov_b32 v13, v3
                                        ; implicit-def: $vgpr61
	s_mov_b32 s14, exec_lo
	v_and_b32_e32 v12, 0x7f800000, v8
	v_and_b32_e32 v2, 0x7fffff, v8
	v_lshrrev_b32_e32 v9, 24, v8
	s_delay_alu instid0(VALU_DEP_3)
	v_cmpx_ne_u64_e32 0x7f800000, v[12:13]
	s_xor_b32 s15, exec_lo, s14
	s_cbranch_execz .LBB2_3184
; %bb.3171:                             ;   in Loop: Header=BB2_2704 Depth=3
	v_and_b32_e32 v12, 0x7fffffff, v8
	v_mov_b32_e32 v13, v3
	v_and_b32_e32 v94, 0x80, v9
                                        ; implicit-def: $vgpr61
	s_mov_b32 s14, exec_lo
	s_delay_alu instid0(VALU_DEP_2)
	v_cmpx_gt_u64_e32 0x47600001, v[12:13]
	s_xor_b32 s42, exec_lo, s14
	s_cbranch_execz .LBB2_3181
; %bb.3172:                             ;   in Loop: Header=BB2_2704 Depth=3
	v_mov_b32_e32 v61, 0
	s_mov_b32 s43, exec_lo
	v_cmpx_ne_u32_e32 0, v8
	s_cbranch_execz .LBB2_3180
; %bb.3173:                             ;   in Loop: Header=BB2_2704 Depth=3
	v_bfe_u32 v61, v8, 23, 8
	v_or_b32_e32 v12, 0x800000, v2
	s_delay_alu instid0(VALU_DEP_2) | instskip(SKIP_1) | instid1(VALU_DEP_2)
	v_sub_nc_u32_e32 v8, 0x71, v61
	v_cmp_gt_u32_e32 vcc_lo, 0x72, v61
	v_cndmask_b32_e32 v8, 0, v8, vcc_lo
	v_cmp_eq_u32_e32 vcc_lo, 0, v61
	s_delay_alu instid0(VALU_DEP_2) | instskip(NEXT) | instid1(VALU_DEP_1)
	v_cndmask_b32_e64 v95, v8, 0x70, vcc_lo
	v_dual_cndmask_b32 v2, v12, v2, vcc_lo :: v_dual_add_nc_u32 v8, 21, v95
	v_add_nc_u32_e32 v13, 20, v95
	s_delay_alu instid0(VALU_DEP_2) | instskip(NEXT) | instid1(VALU_DEP_2)
	v_lshlrev_b64_e64 v[8:9], v8, -1
	v_lshlrev_b64_e64 v[12:13], v13, 1
	s_delay_alu instid0(VALU_DEP_2) | instskip(NEXT) | instid1(VALU_DEP_3)
	v_bfi_b32 v105, v9, 0, 0
	v_bfi_b32 v104, v8, 0, v2
	v_lshrrev_b64 v[8:9], v95, v[2:3]
	s_delay_alu instid0(VALU_DEP_2) | instskip(NEXT) | instid1(VALU_DEP_2)
	v_cmp_eq_u64_e64 s14, v[104:105], v[12:13]
	v_mov_b64_e32 v[12:13], v[8:9]
	s_and_saveexec_b32 s75, s14
; %bb.3174:                             ;   in Loop: Header=BB2_2704 Depth=3
	v_bfe_u32 v2, v8, 21, 1
	s_delay_alu instid0(VALU_DEP_1) | instskip(NEXT) | instid1(VALU_DEP_1)
	v_add_nc_u64_e32 v[12:13], v[8:9], v[2:3]
	v_add_nc_u64_e32 v[12:13], -1, v[12:13]
; %bb.3175:                             ;   in Loop: Header=BB2_2704 Depth=3
	s_or_b32 exec_lo, exec_lo, s75
	v_add_nc_u32_e32 v2, 0xffffff81, v61
	v_lshrrev_b32_e32 v9, 23, v8
	s_mov_b32 s14, exec_lo
	s_delay_alu instid0(VALU_DEP_2) | instskip(NEXT) | instid1(VALU_DEP_1)
	v_cndmask_b32_e64 v2, v2, 0xffffff82, vcc_lo
	v_add3_u32 v13, v95, v2, v9
	v_and_b32_e32 v2, 0x1fffff, v12
                                        ; implicit-def: $vgpr12
	s_delay_alu instid0(VALU_DEP_1) | instskip(NEXT) | instid1(VALU_DEP_1)
	v_dual_add_nc_u32 v61, 14, v13 :: v_dual_add_nc_u32 v2, v2, v8
                                        ; implicit-def: $vgpr8_vgpr9
	v_cmpx_ne_u32_e32 0, v61
	s_xor_b32 s14, exec_lo, s14
; %bb.3176:                             ;   in Loop: Header=BB2_2704 Depth=3
	s_delay_alu instid0(VALU_DEP_2) | instskip(SKIP_1) | instid1(VALU_DEP_1)
	v_cmp_lt_u64_e32 vcc_lo, 0xffffff, v[2:3]
	v_add_nc_u32_e32 v8, 15, v13
	v_cndmask_b32_e32 v12, v61, v8, vcc_lo
	v_cndmask_b32_e64 v8, 0, 1, vcc_lo
	s_delay_alu instid0(VALU_DEP_1)
	v_lshrrev_b64 v[8:9], v8, v[2:3]
; %bb.3177:                             ;   in Loop: Header=BB2_2704 Depth=3
	s_and_not1_saveexec_b32 s14, s14
; %bb.3178:                             ;   in Loop: Header=BB2_2704 Depth=3
	v_mov_b64_e32 v[8:9], v[2:3]
	v_bfe_u32 v12, v2, 23, 1
; %bb.3179:                             ;   in Loop: Header=BB2_2704 Depth=3
	s_or_b32 exec_lo, exec_lo, s14
	s_delay_alu instid0(VALU_DEP_2) | instskip(NEXT) | instid1(VALU_DEP_2)
	v_lshrrev_b64 v[8:9], 21, v[8:9]
	v_cmp_gt_i32_e32 vcc_lo, 32, v12
	v_min_i32_e32 v2, 31, v12
	v_cmp_eq_u32_e64 s14, 0, v12
	s_delay_alu instid0(VALU_DEP_2) | instskip(SKIP_1) | instid1(VALU_DEP_2)
	v_dual_cndmask_b32 v9, 0, v9 :: v_dual_lshlrev_b32 v2, 2, v2
	v_cndmask_b32_e32 v8, 3, v8, vcc_lo
	v_and_b32_e32 v2, 0xfc, v2
	s_delay_alu instid0(VALU_DEP_2) | instskip(NEXT) | instid1(VALU_DEP_2)
	v_cmp_eq_u64_e32 vcc_lo, 0, v[8:9]
	v_and_or_b32 v2, v8, 3, v2
	s_and_b32 s14, s14, vcc_lo
	s_delay_alu instid0(VALU_DEP_1) | instid1(SALU_CYCLE_1)
	v_cndmask_b32_e64 v2, v2, 0, s14
	s_delay_alu instid0(VALU_DEP_1)
	v_or_b32_e32 v61, v2, v94
.LBB2_3180:                             ;   in Loop: Header=BB2_2704 Depth=3
	s_or_b32 exec_lo, exec_lo, s43
                                        ; implicit-def: $vgpr94
.LBB2_3181:                             ;   in Loop: Header=BB2_2704 Depth=3
	s_and_not1_saveexec_b32 s14, s42
; %bb.3182:                             ;   in Loop: Header=BB2_2704 Depth=3
	v_or_b32_e32 v61, 0x7b, v94
; %bb.3183:                             ;   in Loop: Header=BB2_2704 Depth=3
	s_or_b32 exec_lo, exec_lo, s14
                                        ; implicit-def: $vgpr8
                                        ; implicit-def: $vgpr9
.LBB2_3184:                             ;   in Loop: Header=BB2_2704 Depth=3
	s_and_not1_saveexec_b32 s14, s15
	s_cbranch_execz .LBB2_3190
; %bb.3185:                             ;   in Loop: Header=BB2_2704 Depth=3
	s_mov_b32 s15, exec_lo
                                        ; implicit-def: $vgpr61
	v_cmpx_ne_u64_e32 0, v[2:3]
	s_xor_b32 s15, exec_lo, s15
; %bb.3186:                             ;   in Loop: Header=BB2_2704 Depth=3
	v_or_b32_e32 v61, 0x7f, v9
                                        ; implicit-def: $vgpr8
; %bb.3187:                             ;   in Loop: Header=BB2_2704 Depth=3
	s_and_not1_saveexec_b32 s15, s15
; %bb.3188:                             ;   in Loop: Header=BB2_2704 Depth=3
	v_cmp_lt_i32_e32 vcc_lo, -1, v8
	v_cndmask_b32_e32 v61, 0xfc, v110, vcc_lo
; %bb.3189:                             ;   in Loop: Header=BB2_2704 Depth=3
	s_or_b32 exec_lo, exec_lo, s15
.LBB2_3190:                             ;   in Loop: Header=BB2_2704 Depth=3
	s_delay_alu instid0(SALU_CYCLE_1) | instskip(SKIP_2) | instid1(VALU_DEP_1)
	s_or_b32 exec_lo, exec_lo, s14
	v_dual_lshrrev_b32 v2, 16, v15 :: v_dual_mov_b32 v8, 0
	s_mov_b32 s14, exec_lo
	v_and_b32_e32 v9, 0xff, v2
	s_delay_alu instid0(VALU_DEP_1)
	v_cmpx_ne_u16_e32 0, v9
	s_cbranch_execz .LBB2_3200
; %bb.3191:                             ;   in Loop: Header=BB2_2704 Depth=3
	v_bfrev_b32_e32 v8, 1
	s_mov_b32 s15, exec_lo
	v_cmpx_ne_u16_e32 0x80, v9
	s_cbranch_execz .LBB2_3199
; %bb.3192:                             ;   in Loop: Header=BB2_2704 Depth=3
	v_and_b32_e32 v8, 0x7c0000, v15
	v_bfe_u32 v9, v15, 16, 2
	s_delay_alu instid0(VALU_DEP_2) | instskip(SKIP_1) | instid1(SALU_CYCLE_1)
	v_cmp_ne_u32_e32 vcc_lo, 0x7c0000, v8
                                        ; implicit-def: $vgpr8
	s_and_saveexec_b32 s42, vcc_lo
	s_xor_b32 s42, exec_lo, s42
	s_cbranch_execz .LBB2_3196
; %bb.3193:                             ;   in Loop: Header=BB2_2704 Depth=3
	v_bfe_u32 v8, v15, 18, 5
	s_mov_b32 s43, exec_lo
	s_delay_alu instid0(VALU_DEP_1)
	v_cmpx_eq_u32_e32 0, v8
; %bb.3194:                             ;   in Loop: Header=BB2_2704 Depth=3
	v_clz_i32_u32_e32 v8, v9
	s_delay_alu instid0(VALU_DEP_1) | instskip(NEXT) | instid1(VALU_DEP_1)
	v_min_u32_e32 v8, 32, v8
	v_subrev_nc_u32_e32 v9, 29, v8
	v_sub_nc_u32_e32 v8, 30, v8
	s_delay_alu instid0(VALU_DEP_2) | instskip(NEXT) | instid1(VALU_DEP_1)
	v_lshlrev_b64_e32 v[12:13], v9, v[2:3]
	v_and_b32_e32 v9, 3, v12
; %bb.3195:                             ;   in Loop: Header=BB2_2704 Depth=3
	s_or_b32 exec_lo, exec_lo, s43
	v_lshlrev_b32_e32 v2, 24, v2
	s_delay_alu instid0(VALU_DEP_1) | instskip(NEXT) | instid1(VALU_DEP_1)
	v_and_b32_e32 v2, 0x80000000, v2
	v_lshl_add_u32 v2, v8, 23, v2
	s_delay_alu instid0(VALU_DEP_1) | instskip(NEXT) | instid1(VALU_DEP_1)
	v_lshl_or_b32 v2, v9, 21, v2
                                        ; implicit-def: $vgpr9
	v_add_nc_u32_e32 v8, 0x38000000, v2
                                        ; implicit-def: $vgpr2
.LBB2_3196:                             ;   in Loop: Header=BB2_2704 Depth=3
	s_and_not1_saveexec_b32 s42, s42
; %bb.3197:                             ;   in Loop: Header=BB2_2704 Depth=3
	v_bfe_i32 v2, v2, 0, 8
	s_delay_alu instid0(VALU_DEP_1) | instskip(SKIP_2) | instid1(VALU_DEP_2)
	v_cmp_lt_i16_e32 vcc_lo, -1, v2
	v_cndmask_b32_e32 v2, 0xff800000, v109, vcc_lo
	v_cmp_eq_u32_e32 vcc_lo, 0, v9
	v_cndmask_b32_e32 v8, 0x7f800001, v2, vcc_lo
; %bb.3198:                             ;   in Loop: Header=BB2_2704 Depth=3
	s_or_b32 exec_lo, exec_lo, s42
.LBB2_3199:                             ;   in Loop: Header=BB2_2704 Depth=3
	s_delay_alu instid0(SALU_CYCLE_1)
	s_or_b32 exec_lo, exec_lo, s15
.LBB2_3200:                             ;   in Loop: Header=BB2_2704 Depth=3
	s_delay_alu instid0(SALU_CYCLE_1) | instskip(SKIP_3) | instid1(VALU_DEP_1)
	s_or_b32 exec_lo, exec_lo, s14
	v_lshrrev_b32_e32 v2, 16, v11
	s_mov_b32 s15, 0
	s_mov_b32 s14, exec_lo
	v_and_b32_e32 v12, 0xff, v2
	s_delay_alu instid0(VALU_DEP_1)
	v_cmpx_lt_i16_e32 0x7f, v12
	s_xor_b32 s14, exec_lo, s14
	s_cbranch_execz .LBB2_3281
; %bb.3201:                             ;   in Loop: Header=BB2_2704 Depth=3
	s_mov_b32 s15, -1
	s_mov_b32 s42, exec_lo
	v_cmpx_eq_u16_e32 0x80, v12
; %bb.3202:                             ;   in Loop: Header=BB2_2704 Depth=3
	s_xor_b32 s15, exec_lo, -1
; %bb.3203:                             ;   in Loop: Header=BB2_2704 Depth=3
	s_or_b32 exec_lo, exec_lo, s42
	s_delay_alu instid0(SALU_CYCLE_1)
	s_and_b32 s15, s15, exec_lo
                                        ; implicit-def: $vgpr12
	s_or_saveexec_b32 s14, s14
	v_bfrev_b32_e32 v9, 1
	s_xor_b32 exec_lo, exec_lo, s14
	s_cbranch_execnz .LBB2_3282
.LBB2_3204:                             ;   in Loop: Header=BB2_2704 Depth=3
	s_or_b32 exec_lo, exec_lo, s14
	s_and_saveexec_b32 s14, s15
	s_cbranch_execz .LBB2_3206
.LBB2_3205:                             ;   in Loop: Header=BB2_2704 Depth=3
	v_and_b32_e32 v9, 3, v2
	v_bfe_u32 v21, v11, 18, 5
	s_delay_alu instid0(VALU_DEP_2) | instskip(NEXT) | instid1(VALU_DEP_2)
	v_clz_i32_u32_e32 v12, v9
	v_cmp_eq_u32_e32 vcc_lo, 0, v21
	s_delay_alu instid0(VALU_DEP_2) | instskip(NEXT) | instid1(VALU_DEP_1)
	v_min_u32_e32 v20, 32, v12
	v_subrev_nc_u32_e32 v12, 29, v20
	v_sub_nc_u32_e32 v20, 30, v20
	s_delay_alu instid0(VALU_DEP_2) | instskip(NEXT) | instid1(VALU_DEP_2)
	v_lshlrev_b64_e32 v[12:13], v12, v[2:3]
	v_dual_cndmask_b32 v20, v21, v20 :: v_dual_lshlrev_b32 v13, 24, v2
	v_bfe_i32 v2, v2, 0, 8
	s_delay_alu instid0(VALU_DEP_2) | instskip(NEXT) | instid1(VALU_DEP_4)
	v_and_b32_e32 v13, 0x80000000, v13
	v_and_b32_e32 v12, 3, v12
	s_delay_alu instid0(VALU_DEP_2) | instskip(NEXT) | instid1(VALU_DEP_2)
	v_lshl_add_u32 v13, v20, 23, v13
	v_cndmask_b32_e32 v12, v9, v12, vcc_lo
	v_cmp_lt_i16_e32 vcc_lo, -1, v2
	s_delay_alu instid0(VALU_DEP_2) | instskip(SKIP_3) | instid1(VALU_DEP_4)
	v_lshl_or_b32 v12, v12, 21, v13
	v_cndmask_b32_e32 v2, 0xff800000, v109, vcc_lo
	v_and_b32_e32 v13, 0x7c0000, v11
	v_cmp_eq_u32_e32 vcc_lo, 0, v9
	v_add_nc_u32_e32 v9, 0x38000000, v12
	s_delay_alu instid0(VALU_DEP_4) | instskip(NEXT) | instid1(VALU_DEP_4)
	v_cndmask_b32_e32 v2, 0x7f800001, v2, vcc_lo
	v_cmp_eq_u32_e32 vcc_lo, 0x7c0000, v13
	s_delay_alu instid0(VALU_DEP_2)
	v_cndmask_b32_e32 v9, v9, v2, vcc_lo
.LBB2_3206:                             ;   in Loop: Header=BB2_2704 Depth=3
	s_or_b32 exec_lo, exec_lo, s14
	s_delay_alu instid0(VALU_DEP_1) | instskip(NEXT) | instid1(VALU_DEP_1)
	v_dual_mul_f32 v8, v8, v9 :: v_dual_mov_b32 v13, v3
	v_and_b32_e32 v12, 0x7f800000, v8
	v_and_b32_e32 v2, 0x7fffff, v8
	v_lshrrev_b32_e32 v9, 24, v8
	s_delay_alu instid0(VALU_DEP_3) | instskip(SKIP_1) | instid1(SALU_CYCLE_1)
	v_cmp_ne_u64_e32 vcc_lo, 0x7f800000, v[12:13]
                                        ; implicit-def: $vgpr12
	s_and_saveexec_b32 s14, vcc_lo
	s_xor_b32 s15, exec_lo, s14
	s_cbranch_execz .LBB2_3220
; %bb.3207:                             ;   in Loop: Header=BB2_2704 Depth=3
	v_and_b32_e32 v12, 0x7fffffff, v8
	v_mov_b32_e32 v13, v3
	v_and_b32_e32 v94, 0x80, v9
	s_delay_alu instid0(VALU_DEP_2) | instskip(SKIP_1) | instid1(SALU_CYCLE_1)
	v_cmp_gt_u64_e32 vcc_lo, 0x47600001, v[12:13]
                                        ; implicit-def: $vgpr12
	s_and_saveexec_b32 s14, vcc_lo
	s_xor_b32 s42, exec_lo, s14
	s_cbranch_execz .LBB2_3217
; %bb.3208:                             ;   in Loop: Header=BB2_2704 Depth=3
	v_mov_b32_e32 v12, 0
	s_mov_b32 s43, exec_lo
	v_cmpx_ne_u32_e32 0, v8
	s_cbranch_execz .LBB2_3216
; %bb.3209:                             ;   in Loop: Header=BB2_2704 Depth=3
	v_bfe_u32 v95, v8, 23, 8
	v_or_b32_e32 v12, 0x800000, v2
	s_delay_alu instid0(VALU_DEP_2) | instskip(SKIP_1) | instid1(VALU_DEP_2)
	v_sub_nc_u32_e32 v8, 0x71, v95
	v_cmp_gt_u32_e32 vcc_lo, 0x72, v95
	v_cndmask_b32_e32 v8, 0, v8, vcc_lo
	v_cmp_eq_u32_e32 vcc_lo, 0, v95
	v_cndmask_b32_e32 v2, v12, v2, vcc_lo
	s_delay_alu instid0(VALU_DEP_3) | instskip(NEXT) | instid1(VALU_DEP_1)
	v_cndmask_b32_e64 v104, v8, 0x70, vcc_lo
	v_dual_add_nc_u32 v8, 21, v104 :: v_dual_add_nc_u32 v13, 20, v104
	s_delay_alu instid0(VALU_DEP_1) | instskip(NEXT) | instid1(VALU_DEP_2)
	v_lshlrev_b64_e64 v[8:9], v8, -1
	v_lshlrev_b64_e64 v[12:13], v13, 1
	s_delay_alu instid0(VALU_DEP_2) | instskip(NEXT) | instid1(VALU_DEP_3)
	v_bfi_b32 v125, v9, 0, 0
	v_bfi_b32 v124, v8, 0, v2
	v_lshrrev_b64 v[8:9], v104, v[2:3]
	s_delay_alu instid0(VALU_DEP_2) | instskip(NEXT) | instid1(VALU_DEP_2)
	v_cmp_eq_u64_e64 s14, v[124:125], v[12:13]
	v_mov_b64_e32 v[12:13], v[8:9]
	s_and_saveexec_b32 s75, s14
; %bb.3210:                             ;   in Loop: Header=BB2_2704 Depth=3
	v_bfe_u32 v2, v8, 21, 1
	s_delay_alu instid0(VALU_DEP_1) | instskip(NEXT) | instid1(VALU_DEP_1)
	v_add_nc_u64_e32 v[12:13], v[8:9], v[2:3]
	v_add_nc_u64_e32 v[12:13], -1, v[12:13]
; %bb.3211:                             ;   in Loop: Header=BB2_2704 Depth=3
	s_or_b32 exec_lo, exec_lo, s75
	v_add_nc_u32_e32 v2, 0xffffff81, v95
	v_lshrrev_b32_e32 v9, 23, v8
	s_mov_b32 s14, exec_lo
	s_delay_alu instid0(VALU_DEP_2) | instskip(NEXT) | instid1(VALU_DEP_1)
	v_cndmask_b32_e64 v2, v2, 0xffffff82, vcc_lo
	v_add3_u32 v13, v104, v2, v9
	v_and_b32_e32 v2, 0x1fffff, v12
                                        ; implicit-def: $vgpr12
	s_delay_alu instid0(VALU_DEP_1) | instskip(NEXT) | instid1(VALU_DEP_1)
	v_dual_add_nc_u32 v95, 14, v13 :: v_dual_add_nc_u32 v2, v2, v8
                                        ; implicit-def: $vgpr8_vgpr9
	v_cmpx_ne_u32_e32 0, v95
	s_xor_b32 s14, exec_lo, s14
; %bb.3212:                             ;   in Loop: Header=BB2_2704 Depth=3
	s_delay_alu instid0(VALU_DEP_2) | instskip(SKIP_1) | instid1(VALU_DEP_1)
	v_cmp_lt_u64_e32 vcc_lo, 0xffffff, v[2:3]
	v_add_nc_u32_e32 v8, 15, v13
	v_cndmask_b32_e32 v12, v95, v8, vcc_lo
	v_cndmask_b32_e64 v8, 0, 1, vcc_lo
	s_delay_alu instid0(VALU_DEP_1)
	v_lshrrev_b64 v[8:9], v8, v[2:3]
; %bb.3213:                             ;   in Loop: Header=BB2_2704 Depth=3
	s_and_not1_saveexec_b32 s14, s14
; %bb.3214:                             ;   in Loop: Header=BB2_2704 Depth=3
	v_mov_b64_e32 v[8:9], v[2:3]
	v_bfe_u32 v12, v2, 23, 1
; %bb.3215:                             ;   in Loop: Header=BB2_2704 Depth=3
	s_or_b32 exec_lo, exec_lo, s14
	s_delay_alu instid0(VALU_DEP_2) | instskip(NEXT) | instid1(VALU_DEP_2)
	v_lshrrev_b64 v[8:9], 21, v[8:9]
	v_cmp_gt_i32_e32 vcc_lo, 32, v12
	v_min_i32_e32 v2, 31, v12
	v_cmp_eq_u32_e64 s14, 0, v12
	s_delay_alu instid0(VALU_DEP_2) | instskip(SKIP_1) | instid1(VALU_DEP_2)
	v_dual_cndmask_b32 v9, 0, v9 :: v_dual_lshlrev_b32 v2, 2, v2
	v_cndmask_b32_e32 v8, 3, v8, vcc_lo
	v_and_b32_e32 v2, 0xfc, v2
	s_delay_alu instid0(VALU_DEP_2) | instskip(NEXT) | instid1(VALU_DEP_2)
	v_cmp_eq_u64_e32 vcc_lo, 0, v[8:9]
	v_and_or_b32 v2, v8, 3, v2
	s_and_b32 s14, s14, vcc_lo
	s_delay_alu instid0(VALU_DEP_1) | instid1(SALU_CYCLE_1)
	v_cndmask_b32_e64 v2, v2, 0, s14
	s_delay_alu instid0(VALU_DEP_1)
	v_or_b32_e32 v12, v2, v94
.LBB2_3216:                             ;   in Loop: Header=BB2_2704 Depth=3
	s_or_b32 exec_lo, exec_lo, s43
                                        ; implicit-def: $vgpr94
.LBB2_3217:                             ;   in Loop: Header=BB2_2704 Depth=3
	s_and_not1_saveexec_b32 s14, s42
; %bb.3218:                             ;   in Loop: Header=BB2_2704 Depth=3
	v_or_b32_e32 v12, 0x7b, v94
; %bb.3219:                             ;   in Loop: Header=BB2_2704 Depth=3
	s_or_b32 exec_lo, exec_lo, s14
                                        ; implicit-def: $vgpr8
                                        ; implicit-def: $vgpr9
.LBB2_3220:                             ;   in Loop: Header=BB2_2704 Depth=3
	s_and_not1_saveexec_b32 s14, s15
	s_cbranch_execz .LBB2_3226
; %bb.3221:                             ;   in Loop: Header=BB2_2704 Depth=3
	s_mov_b32 s15, exec_lo
                                        ; implicit-def: $vgpr12
	v_cmpx_ne_u64_e32 0, v[2:3]
	s_xor_b32 s15, exec_lo, s15
; %bb.3222:                             ;   in Loop: Header=BB2_2704 Depth=3
	v_or_b32_e32 v12, 0x7f, v9
                                        ; implicit-def: $vgpr8
; %bb.3223:                             ;   in Loop: Header=BB2_2704 Depth=3
	s_and_not1_saveexec_b32 s15, s15
; %bb.3224:                             ;   in Loop: Header=BB2_2704 Depth=3
	v_cmp_lt_i32_e32 vcc_lo, -1, v8
	v_cndmask_b32_e32 v12, 0xfc, v110, vcc_lo
; %bb.3225:                             ;   in Loop: Header=BB2_2704 Depth=3
	s_or_b32 exec_lo, exec_lo, s15
.LBB2_3226:                             ;   in Loop: Header=BB2_2704 Depth=3
	s_delay_alu instid0(SALU_CYCLE_1)
	s_or_b32 exec_lo, exec_lo, s14
	v_mov_b32_e32 v8, 0
	s_mov_b32 s14, exec_lo
	v_cmpx_lt_u64_e64 s[22:23], v[14:15]
	s_cbranch_execz .LBB2_3236
; %bb.3227:                             ;   in Loop: Header=BB2_2704 Depth=3
	v_lshrrev_b32_e32 v2, 24, v15
	v_bfrev_b32_e32 v8, 1
	s_mov_b32 s15, exec_lo
	s_delay_alu instid0(VALU_DEP_2)
	v_cmpx_ne_u32_e32 0x80, v2
	s_cbranch_execz .LBB2_3235
; %bb.3228:                             ;   in Loop: Header=BB2_2704 Depth=3
	v_and_b32_e32 v8, 0x7c000000, v15
	v_bfe_u32 v9, v15, 24, 2
	s_delay_alu instid0(VALU_DEP_2) | instskip(SKIP_1) | instid1(SALU_CYCLE_1)
	v_cmp_ne_u32_e32 vcc_lo, 0x7c000000, v8
                                        ; implicit-def: $vgpr8
	s_and_saveexec_b32 s42, vcc_lo
	s_xor_b32 s42, exec_lo, s42
	s_cbranch_execz .LBB2_3232
; %bb.3229:                             ;   in Loop: Header=BB2_2704 Depth=3
	v_bfe_u32 v8, v15, 26, 5
	s_mov_b32 s43, exec_lo
	s_delay_alu instid0(VALU_DEP_1)
	v_cmpx_eq_u32_e32 0, v8
; %bb.3230:                             ;   in Loop: Header=BB2_2704 Depth=3
	v_clz_i32_u32_e32 v8, v9
	s_delay_alu instid0(VALU_DEP_1) | instskip(NEXT) | instid1(VALU_DEP_1)
	v_min_u32_e32 v8, 32, v8
	v_subrev_nc_u32_e32 v9, 29, v8
	s_delay_alu instid0(VALU_DEP_1) | instskip(NEXT) | instid1(VALU_DEP_1)
	v_lshlrev_b64_e32 v[94:95], v9, v[2:3]
	v_dual_sub_nc_u32 v8, 30, v8 :: v_dual_bitop2_b32 v9, 3, v94 bitop3:0x40
; %bb.3231:                             ;   in Loop: Header=BB2_2704 Depth=3
	s_or_b32 exec_lo, exec_lo, s43
	v_and_b32_e32 v2, 0x80000000, v15
                                        ; implicit-def: $vgpr14_vgpr15
	s_delay_alu instid0(VALU_DEP_1) | instskip(NEXT) | instid1(VALU_DEP_1)
	v_lshl_add_u32 v2, v8, 23, v2
	v_lshl_or_b32 v2, v9, 21, v2
                                        ; implicit-def: $vgpr9
	s_delay_alu instid0(VALU_DEP_1)
	v_add_nc_u32_e32 v8, 0x38000000, v2
.LBB2_3232:                             ;   in Loop: Header=BB2_2704 Depth=3
	s_and_not1_saveexec_b32 s42, s42
; %bb.3233:                             ;   in Loop: Header=BB2_2704 Depth=3
	v_cmp_lt_i64_e32 vcc_lo, -1, v[14:15]
	v_cndmask_b32_e32 v2, 0xff800000, v109, vcc_lo
	v_cmp_eq_u32_e32 vcc_lo, 0, v9
	s_delay_alu instid0(VALU_DEP_2)
	v_cndmask_b32_e32 v8, 0x7f800001, v2, vcc_lo
; %bb.3234:                             ;   in Loop: Header=BB2_2704 Depth=3
	s_or_b32 exec_lo, exec_lo, s42
.LBB2_3235:                             ;   in Loop: Header=BB2_2704 Depth=3
	s_delay_alu instid0(SALU_CYCLE_1)
	s_or_b32 exec_lo, exec_lo, s15
.LBB2_3236:                             ;   in Loop: Header=BB2_2704 Depth=3
	s_delay_alu instid0(SALU_CYCLE_1) | instskip(SKIP_2) | instid1(VALU_DEP_2)
	s_or_b32 exec_lo, exec_lo, s14
	v_bfe_u32 v9, v11, 24, 2
	v_bfe_u32 v20, v11, 26, 5
	v_clz_i32_u32_e32 v2, v9
	s_delay_alu instid0(VALU_DEP_2) | instskip(NEXT) | instid1(VALU_DEP_2)
	v_cmp_eq_u32_e32 vcc_lo, 0, v20
	v_min_u32_e32 v13, 32, v2
	v_lshrrev_b32_e32 v2, 24, v11
	s_delay_alu instid0(VALU_DEP_2) | instskip(SKIP_1) | instid1(VALU_DEP_2)
	v_subrev_nc_u32_e32 v14, 29, v13
	v_sub_nc_u32_e32 v13, 30, v13
	v_lshlrev_b64_e32 v[14:15], v14, v[2:3]
	s_delay_alu instid0(VALU_DEP_2) | instskip(SKIP_1) | instid1(VALU_DEP_3)
	v_cndmask_b32_e32 v13, v20, v13, vcc_lo
	v_and_b32_e32 v15, 0x80000000, v11
	v_and_b32_e32 v14, 3, v14
	s_delay_alu instid0(VALU_DEP_2) | instskip(NEXT) | instid1(VALU_DEP_2)
	v_lshl_add_u32 v13, v13, 23, v15
	v_cndmask_b32_e32 v14, v9, v14, vcc_lo
	v_cmp_lt_i64_e32 vcc_lo, -1, v[10:11]
	s_delay_alu instid0(VALU_DEP_2) | instskip(SKIP_3) | instid1(VALU_DEP_4)
	v_lshl_or_b32 v13, v14, 21, v13
	v_and_b32_e32 v14, 0x7c000000, v11
	v_cndmask_b32_e32 v15, 0xff800000, v109, vcc_lo
	v_cmp_eq_u32_e32 vcc_lo, 0, v9
	v_add_nc_u32_e32 v13, 0x38000000, v13
	s_delay_alu instid0(VALU_DEP_3) | instskip(SKIP_1) | instid1(VALU_DEP_2)
	v_cndmask_b32_e32 v9, 0x7f800001, v15, vcc_lo
	v_cmp_eq_u32_e32 vcc_lo, 0x7c000000, v14
	v_cndmask_b32_e32 v9, v13, v9, vcc_lo
	v_cmp_ne_u32_e32 vcc_lo, 0x80, v2
	s_delay_alu instid0(VALU_DEP_2) | instskip(SKIP_1) | instid1(VALU_DEP_2)
	v_cndmask_b32_e32 v2, 0x80000000, v9, vcc_lo
	v_cmp_lt_u64_e32 vcc_lo, s[22:23], v[10:11]
	v_dual_mov_b32 v11, v3 :: v_dual_cndmask_b32 v2, 0, v2
	s_delay_alu instid0(VALU_DEP_1) | instskip(NEXT) | instid1(VALU_DEP_1)
	v_mul_f32_e32 v9, v2, v8
                                        ; implicit-def: $vgpr8
	v_and_b32_e32 v10, 0x7f800000, v9
	v_and_b32_e32 v2, 0x7fffff, v9
	s_delay_alu instid0(VALU_DEP_2) | instskip(SKIP_2) | instid1(SALU_CYCLE_1)
	v_cmp_ne_u64_e32 vcc_lo, 0x7f800000, v[10:11]
	v_lshrrev_b32_e32 v10, 24, v9
	s_and_saveexec_b32 s14, vcc_lo
	s_xor_b32 s15, exec_lo, s14
	s_cbranch_execz .LBB2_3250
; %bb.3237:                             ;   in Loop: Header=BB2_2704 Depth=3
	v_and_b32_e32 v14, 0x7fffffff, v9
	v_mov_b32_e32 v15, v3
	v_and_b32_e32 v13, 0x80, v10
                                        ; implicit-def: $vgpr8
	s_mov_b32 s14, exec_lo
	s_delay_alu instid0(VALU_DEP_2)
	v_cmpx_gt_u64_e32 0x47600001, v[14:15]
	s_xor_b32 s42, exec_lo, s14
	s_cbranch_execz .LBB2_3247
; %bb.3238:                             ;   in Loop: Header=BB2_2704 Depth=3
	v_mov_b32_e32 v8, 0
	s_mov_b32 s43, exec_lo
	v_cmpx_ne_u32_e32 0, v9
	s_cbranch_execz .LBB2_3246
; %bb.3239:                             ;   in Loop: Header=BB2_2704 Depth=3
	v_bfe_u32 v14, v9, 23, 8
	v_or_b32_e32 v10, 0x800000, v2
	s_delay_alu instid0(VALU_DEP_2) | instskip(SKIP_1) | instid1(VALU_DEP_2)
	v_sub_nc_u32_e32 v8, 0x71, v14
	v_cmp_gt_u32_e32 vcc_lo, 0x72, v14
	v_cndmask_b32_e32 v8, 0, v8, vcc_lo
	v_cmp_eq_u32_e32 vcc_lo, 0, v14
	s_delay_alu instid0(VALU_DEP_2) | instskip(NEXT) | instid1(VALU_DEP_1)
	v_cndmask_b32_e64 v15, v8, 0x70, vcc_lo
	v_dual_cndmask_b32 v2, v10, v2, vcc_lo :: v_dual_add_nc_u32 v8, 21, v15
	v_add_nc_u32_e32 v11, 20, v15
	s_delay_alu instid0(VALU_DEP_2) | instskip(NEXT) | instid1(VALU_DEP_2)
	v_lshlrev_b64_e64 v[8:9], v8, -1
	v_lshlrev_b64_e64 v[10:11], v11, 1
	s_delay_alu instid0(VALU_DEP_2) | instskip(NEXT) | instid1(VALU_DEP_3)
	v_bfi_b32 v95, v9, 0, 0
	v_bfi_b32 v94, v8, 0, v2
	v_lshrrev_b64 v[8:9], v15, v[2:3]
	s_delay_alu instid0(VALU_DEP_2) | instskip(NEXT) | instid1(VALU_DEP_2)
	v_cmp_eq_u64_e64 s14, v[94:95], v[10:11]
	v_mov_b64_e32 v[10:11], v[8:9]
	s_and_saveexec_b32 s75, s14
; %bb.3240:                             ;   in Loop: Header=BB2_2704 Depth=3
	v_bfe_u32 v2, v8, 21, 1
	s_delay_alu instid0(VALU_DEP_1) | instskip(NEXT) | instid1(VALU_DEP_1)
	v_add_nc_u64_e32 v[10:11], v[8:9], v[2:3]
	v_add_nc_u64_e32 v[10:11], -1, v[10:11]
; %bb.3241:                             ;   in Loop: Header=BB2_2704 Depth=3
	s_or_b32 exec_lo, exec_lo, s75
	v_add_nc_u32_e32 v2, 0xffffff81, v14
	v_lshrrev_b32_e32 v9, 23, v8
	s_mov_b32 s14, exec_lo
	s_delay_alu instid0(VALU_DEP_2) | instskip(NEXT) | instid1(VALU_DEP_1)
	v_cndmask_b32_e64 v2, v2, 0xffffff82, vcc_lo
	v_add3_u32 v11, v15, v2, v9
	v_and_b32_e32 v2, 0x1fffff, v10
                                        ; implicit-def: $vgpr10
	s_delay_alu instid0(VALU_DEP_1) | instskip(NEXT) | instid1(VALU_DEP_1)
	v_dual_add_nc_u32 v14, 14, v11 :: v_dual_add_nc_u32 v2, v2, v8
                                        ; implicit-def: $vgpr8_vgpr9
	v_cmpx_ne_u32_e32 0, v14
	s_xor_b32 s14, exec_lo, s14
; %bb.3242:                             ;   in Loop: Header=BB2_2704 Depth=3
	s_delay_alu instid0(VALU_DEP_2) | instskip(SKIP_1) | instid1(VALU_DEP_1)
	v_cmp_lt_u64_e32 vcc_lo, 0xffffff, v[2:3]
	v_add_nc_u32_e32 v8, 15, v11
	v_cndmask_b32_e32 v10, v14, v8, vcc_lo
	v_cndmask_b32_e64 v8, 0, 1, vcc_lo
	s_delay_alu instid0(VALU_DEP_1)
	v_lshrrev_b64 v[8:9], v8, v[2:3]
; %bb.3243:                             ;   in Loop: Header=BB2_2704 Depth=3
	s_and_not1_saveexec_b32 s14, s14
; %bb.3244:                             ;   in Loop: Header=BB2_2704 Depth=3
	v_mov_b64_e32 v[8:9], v[2:3]
	v_bfe_u32 v10, v2, 23, 1
; %bb.3245:                             ;   in Loop: Header=BB2_2704 Depth=3
	s_or_b32 exec_lo, exec_lo, s14
	s_delay_alu instid0(VALU_DEP_2) | instskip(NEXT) | instid1(VALU_DEP_2)
	v_lshrrev_b64 v[8:9], 21, v[8:9]
	v_cmp_gt_i32_e32 vcc_lo, 32, v10
	v_min_i32_e32 v2, 31, v10
	v_cmp_eq_u32_e64 s14, 0, v10
	s_delay_alu instid0(VALU_DEP_2) | instskip(SKIP_1) | instid1(VALU_DEP_2)
	v_dual_cndmask_b32 v9, 0, v9 :: v_dual_lshlrev_b32 v2, 2, v2
	v_cndmask_b32_e32 v8, 3, v8, vcc_lo
	v_and_b32_e32 v2, 0xfc, v2
	s_delay_alu instid0(VALU_DEP_2) | instskip(NEXT) | instid1(VALU_DEP_2)
	v_cmp_eq_u64_e32 vcc_lo, 0, v[8:9]
	v_and_or_b32 v2, v8, 3, v2
	s_and_b32 s14, s14, vcc_lo
	s_delay_alu instid0(VALU_DEP_1) | instid1(SALU_CYCLE_1)
	v_cndmask_b32_e64 v2, v2, 0, s14
	s_delay_alu instid0(VALU_DEP_1)
	v_or_b32_e32 v8, v2, v13
.LBB2_3246:                             ;   in Loop: Header=BB2_2704 Depth=3
	s_or_b32 exec_lo, exec_lo, s43
                                        ; implicit-def: $vgpr13
.LBB2_3247:                             ;   in Loop: Header=BB2_2704 Depth=3
	s_and_not1_saveexec_b32 s14, s42
; %bb.3248:                             ;   in Loop: Header=BB2_2704 Depth=3
	v_or_b32_e32 v8, 0x7b, v13
; %bb.3249:                             ;   in Loop: Header=BB2_2704 Depth=3
	s_or_b32 exec_lo, exec_lo, s14
                                        ; implicit-def: $vgpr9
                                        ; implicit-def: $vgpr10
.LBB2_3250:                             ;   in Loop: Header=BB2_2704 Depth=3
	s_and_not1_saveexec_b32 s14, s15
	s_cbranch_execz .LBB2_3256
; %bb.3251:                             ;   in Loop: Header=BB2_2704 Depth=3
	s_mov_b32 s15, exec_lo
                                        ; implicit-def: $vgpr8
	v_cmpx_ne_u64_e32 0, v[2:3]
	s_xor_b32 s15, exec_lo, s15
; %bb.3252:                             ;   in Loop: Header=BB2_2704 Depth=3
	v_or_b32_e32 v8, 0x7f, v10
                                        ; implicit-def: $vgpr9
; %bb.3253:                             ;   in Loop: Header=BB2_2704 Depth=3
	s_and_not1_saveexec_b32 s15, s15
; %bb.3254:                             ;   in Loop: Header=BB2_2704 Depth=3
	v_cmp_lt_i32_e32 vcc_lo, -1, v9
	v_cndmask_b32_e32 v8, 0xfc, v110, vcc_lo
; %bb.3255:                             ;   in Loop: Header=BB2_2704 Depth=3
	s_or_b32 exec_lo, exec_lo, s15
.LBB2_3256:                             ;   in Loop: Header=BB2_2704 Depth=3
	s_delay_alu instid0(SALU_CYCLE_1)
	s_or_b32 exec_lo, exec_lo, s14
	v_lshl_or_b32 v2, v73, 8, v72
	v_dual_lshlrev_b32 v9, 16, v62 :: v_dual_lshlrev_b32 v14, 24, v91
	v_dual_lshlrev_b32 v10, 24, v18 :: v_dual_lshlrev_b32 v18, 16, v92
	v_lshl_or_b32 v11, v89, 8, v88
	v_lshlrev_b32_e32 v13, 16, v90
	v_lshl_or_b32 v15, v63, 8, v19
	v_dual_lshlrev_b32 v19, 24, v93 :: v_dual_lshlrev_b32 v20, 24, v8
	v_lshlrev_b32_e32 v12, 16, v12
	v_lshl_or_b32 v21, v61, 8, v60
	v_or3_b32 v9, v2, v9, v10
	v_or3_b32 v8, v11, v13, v14
	;; [unrolled: 1-line block ×3, first 2 shown]
	s_mov_b64 s[42:43], 0
	v_or3_b32 v11, v21, v12, v20
	s_mov_b32 s75, -1
.LBB2_3257:                             ;   Parent Loop BB2_47 Depth=1
                                        ;     Parent Loop BB2_2043 Depth=2
                                        ;       Parent Loop BB2_2704 Depth=3
                                        ; =>      This Inner Loop Header: Depth=4
	s_cmp_eq_u32 s42, 1
	s_cselect_b32 vcc_lo, -1, 0
	s_cmp_eq_u32 s42, 0
	s_wait_xcnt 0x0
	v_dual_cndmask_b32 v13, v45, v47 :: v_dual_cndmask_b32 v12, v44, v46
	s_cselect_b32 s14, -1, 0
	s_and_b32 s15, exec_lo, s75
	s_mov_b64 s[42:43], 1
	s_mov_b32 s75, 0
	v_add_nc_u64_e32 v[14:15], 0x200, v[12:13]
	global_store_b128 v[12:13], v[8:11], off th:TH_STORE_NT
	v_dual_cndmask_b32 v47, v47, v15 :: v_dual_cndmask_b32 v46, v46, v14
	v_dual_cndmask_b32 v45, v45, v15, s14 :: v_dual_cndmask_b32 v44, v44, v14, s14
	s_mov_b32 vcc_lo, s15
	s_cbranch_vccnz .LBB2_3257
; %bb.3258:                             ;   in Loop: Header=BB2_2704 Depth=3
	v_dual_sub_nc_u32 v79, v79, v66 :: v_dual_sub_nc_u32 v78, v78, v36
	v_add_nc_u64_e32 v[56:57], v[56:57], v[84:85]
	v_add_nc_u64_e32 v[58:59], v[58:59], v[84:85]
	;; [unrolled: 1-line block ×3, first 2 shown]
	s_delay_alu instid0(VALU_DEP_4)
	v_cmp_gt_i32_e32 vcc_lo, 16, v79
	v_add_nc_u64_e32 v[46:47], v[46:47], v[80:81]
	s_or_b32 s74, vcc_lo, s74
	s_wait_xcnt 0x0
	s_and_not1_b32 exec_lo, exec_lo, s74
	s_cbranch_execnz .LBB2_2704
	s_branch .LBB2_3283
.LBB2_3259:                             ;   in Loop: Header=BB2_2704 Depth=3
	s_or_saveexec_b32 s14, s14
	v_bfrev_b32_e32 v18, 1
	s_xor_b32 exec_lo, exec_lo, s14
	s_cbranch_execz .LBB2_2718
.LBB2_3260:                             ;   in Loop: Header=BB2_2704 Depth=3
	v_cmp_ne_u16_e32 vcc_lo, 0, v19
	v_mov_b32_e32 v18, 0
	s_and_not1_b32 s15, s15, exec_lo
	s_and_b32 s42, vcc_lo, exec_lo
	s_delay_alu instid0(SALU_CYCLE_1)
	s_or_b32 s15, s15, s42
	s_or_b32 exec_lo, exec_lo, s14
	s_and_saveexec_b32 s14, s15
	s_cbranch_execnz .LBB2_2719
	s_branch .LBB2_2720
.LBB2_3261:                             ;   in Loop: Header=BB2_2704 Depth=3
	s_or_saveexec_b32 s14, s14
	v_bfrev_b32_e32 v19, 1
	s_xor_b32 exec_lo, exec_lo, s14
	s_cbranch_execz .LBB2_2754
.LBB2_3262:                             ;   in Loop: Header=BB2_2704 Depth=3
	v_cmp_ne_u16_e32 vcc_lo, 0, v2
	v_mov_b32_e32 v19, 0
	s_and_not1_b32 s15, s15, exec_lo
	s_and_b32 s42, vcc_lo, exec_lo
	s_delay_alu instid0(SALU_CYCLE_1)
	s_or_b32 s15, s15, s42
	s_or_b32 exec_lo, exec_lo, s14
	s_and_saveexec_b32 s14, s15
	s_cbranch_execnz .LBB2_2755
	s_branch .LBB2_2756
.LBB2_3263:                             ;   in Loop: Header=BB2_2704 Depth=3
	s_or_saveexec_b32 s14, s14
	v_bfrev_b32_e32 v19, 1
	s_xor_b32 exec_lo, exec_lo, s14
	s_cbranch_execz .LBB2_2790
.LBB2_3264:                             ;   in Loop: Header=BB2_2704 Depth=3
	v_cmp_ne_u16_e32 vcc_lo, 0, v60
	v_mov_b32_e32 v19, 0
	s_and_not1_b32 s15, s15, exec_lo
	s_and_b32 s42, vcc_lo, exec_lo
	s_delay_alu instid0(SALU_CYCLE_1)
	s_or_b32 s15, s15, s42
	s_or_b32 exec_lo, exec_lo, s14
	s_and_saveexec_b32 s14, s15
	s_cbranch_execnz .LBB2_2791
	s_branch .LBB2_2792
.LBB2_3265:                             ;   in Loop: Header=BB2_2704 Depth=3
	s_or_saveexec_b32 s14, s14
	v_bfrev_b32_e32 v19, 1
	s_xor_b32 exec_lo, exec_lo, s14
	s_cbranch_execz .LBB2_2856
.LBB2_3266:                             ;   in Loop: Header=BB2_2704 Depth=3
	v_cmp_ne_u16_e32 vcc_lo, 0, v61
	v_mov_b32_e32 v19, 0
	s_and_not1_b32 s15, s15, exec_lo
	s_and_b32 s42, vcc_lo, exec_lo
	s_delay_alu instid0(SALU_CYCLE_1)
	s_or_b32 s15, s15, s42
	s_or_b32 exec_lo, exec_lo, s14
	v_mov_b32_e32 v61, v3
	s_and_saveexec_b32 s14, s15
	s_cbranch_execnz .LBB2_2857
	s_branch .LBB2_2858
.LBB2_3267:                             ;   in Loop: Header=BB2_2704 Depth=3
	s_or_saveexec_b32 s14, s14
	v_bfrev_b32_e32 v19, 1
	s_xor_b32 exec_lo, exec_lo, s14
	s_cbranch_execz .LBB2_2892
.LBB2_3268:                             ;   in Loop: Header=BB2_2704 Depth=3
	v_cmp_ne_u16_e32 vcc_lo, 0, v2
	v_mov_b32_e32 v19, 0
	s_and_not1_b32 s15, s15, exec_lo
	s_and_b32 s42, vcc_lo, exec_lo
	s_delay_alu instid0(SALU_CYCLE_1)
	s_or_b32 s15, s15, s42
	s_or_b32 exec_lo, exec_lo, s14
	s_and_saveexec_b32 s14, s15
	s_cbranch_execnz .LBB2_2893
	s_branch .LBB2_2894
.LBB2_3269:                             ;   in Loop: Header=BB2_2704 Depth=3
	s_or_saveexec_b32 s14, s14
	v_bfrev_b32_e32 v19, 1
	s_xor_b32 exec_lo, exec_lo, s14
	s_cbranch_execz .LBB2_2928
.LBB2_3270:                             ;   in Loop: Header=BB2_2704 Depth=3
	v_cmp_ne_u16_e32 vcc_lo, 0, v60
	v_mov_b32_e32 v19, 0
	s_and_not1_b32 s15, s15, exec_lo
	s_and_b32 s42, vcc_lo, exec_lo
	s_delay_alu instid0(SALU_CYCLE_1)
	s_or_b32 s15, s15, s42
	s_or_b32 exec_lo, exec_lo, s14
	s_and_saveexec_b32 s14, s15
	s_cbranch_execnz .LBB2_2929
	s_branch .LBB2_2930
.LBB2_3271:                             ;   in Loop: Header=BB2_2704 Depth=3
	s_or_saveexec_b32 s14, s14
	v_bfrev_b32_e32 v8, 1
	s_xor_b32 exec_lo, exec_lo, s14
	s_cbranch_execz .LBB2_2994
.LBB2_3272:                             ;   in Loop: Header=BB2_2704 Depth=3
	v_cmp_ne_u16_e32 vcc_lo, 0, v9
	v_mov_b32_e32 v8, 0
	s_and_not1_b32 s15, s15, exec_lo
	s_and_b32 s42, vcc_lo, exec_lo
	s_delay_alu instid0(SALU_CYCLE_1)
	s_or_b32 s15, s15, s42
	s_or_b32 exec_lo, exec_lo, s14
	s_and_saveexec_b32 s14, s15
	s_cbranch_execnz .LBB2_2995
	s_branch .LBB2_2996
.LBB2_3273:                             ;   in Loop: Header=BB2_2704 Depth=3
	s_or_saveexec_b32 s14, s14
	v_bfrev_b32_e32 v9, 1
	s_xor_b32 exec_lo, exec_lo, s14
	s_cbranch_execz .LBB2_3030
.LBB2_3274:                             ;   in Loop: Header=BB2_2704 Depth=3
	v_cmp_ne_u16_e32 vcc_lo, 0, v2
	v_mov_b32_e32 v9, 0
	s_and_not1_b32 s15, s15, exec_lo
	s_and_b32 s42, vcc_lo, exec_lo
	s_delay_alu instid0(SALU_CYCLE_1)
	s_or_b32 s15, s15, s42
	s_or_b32 exec_lo, exec_lo, s14
	s_and_saveexec_b32 s14, s15
	s_cbranch_execnz .LBB2_3031
	s_branch .LBB2_3032
.LBB2_3275:                             ;   in Loop: Header=BB2_2704 Depth=3
	s_or_saveexec_b32 s14, s14
	v_bfrev_b32_e32 v9, 1
	s_xor_b32 exec_lo, exec_lo, s14
	s_cbranch_execz .LBB2_3066
.LBB2_3276:                             ;   in Loop: Header=BB2_2704 Depth=3
	v_cmp_ne_u16_e32 vcc_lo, 0, v12
	v_mov_b32_e32 v9, 0
	s_and_not1_b32 s15, s15, exec_lo
	s_and_b32 s42, vcc_lo, exec_lo
	s_delay_alu instid0(SALU_CYCLE_1)
	s_or_b32 s15, s15, s42
	s_or_b32 exec_lo, exec_lo, s14
	s_and_saveexec_b32 s14, s15
	s_cbranch_execnz .LBB2_3067
	s_branch .LBB2_3068
.LBB2_3277:                             ;   in Loop: Header=BB2_2704 Depth=3
	s_or_saveexec_b32 s14, s14
	v_bfrev_b32_e32 v13, 1
	s_xor_b32 exec_lo, exec_lo, s14
	s_cbranch_execz .LBB2_3132
.LBB2_3278:                             ;   in Loop: Header=BB2_2704 Depth=3
	v_cmp_ne_u16_e32 vcc_lo, 0, v9
	v_mov_b32_e32 v13, 0
	s_and_not1_b32 s15, s15, exec_lo
	s_and_b32 s42, vcc_lo, exec_lo
	s_delay_alu instid0(SALU_CYCLE_1)
	s_or_b32 s15, s15, s42
	s_or_b32 exec_lo, exec_lo, s14
	v_mov_b32_e32 v9, v3
	s_and_saveexec_b32 s14, s15
	s_cbranch_execnz .LBB2_3133
	s_branch .LBB2_3134
.LBB2_3279:                             ;   in Loop: Header=BB2_2704 Depth=3
	s_or_saveexec_b32 s14, s14
	v_bfrev_b32_e32 v12, 1
	s_xor_b32 exec_lo, exec_lo, s14
	s_cbranch_execz .LBB2_3168
.LBB2_3280:                             ;   in Loop: Header=BB2_2704 Depth=3
	v_cmp_ne_u16_e32 vcc_lo, 0, v2
	v_mov_b32_e32 v12, 0
	s_and_not1_b32 s15, s15, exec_lo
	s_and_b32 s42, vcc_lo, exec_lo
	s_delay_alu instid0(SALU_CYCLE_1)
	s_or_b32 s15, s15, s42
	s_or_b32 exec_lo, exec_lo, s14
	s_and_saveexec_b32 s14, s15
	s_cbranch_execnz .LBB2_3169
	s_branch .LBB2_3170
.LBB2_3281:                             ;   in Loop: Header=BB2_2704 Depth=3
	s_or_saveexec_b32 s14, s14
	v_bfrev_b32_e32 v9, 1
	s_xor_b32 exec_lo, exec_lo, s14
	s_cbranch_execz .LBB2_3204
.LBB2_3282:                             ;   in Loop: Header=BB2_2704 Depth=3
	v_cmp_ne_u16_e32 vcc_lo, 0, v12
	v_mov_b32_e32 v9, 0
	s_and_not1_b32 s15, s15, exec_lo
	s_and_b32 s42, vcc_lo, exec_lo
	s_delay_alu instid0(SALU_CYCLE_1)
	s_or_b32 s15, s15, s42
	s_or_b32 exec_lo, exec_lo, s14
	s_and_saveexec_b32 s14, s15
	s_cbranch_execnz .LBB2_3205
	s_branch .LBB2_3206
.LBB2_3283:                             ;   in Loop: Header=BB2_2043 Depth=2
	s_or_b32 exec_lo, exec_lo, s74
.LBB2_3284:                             ;   in Loop: Header=BB2_2043 Depth=2
	s_delay_alu instid0(SALU_CYCLE_1) | instskip(SKIP_3) | instid1(VALU_DEP_1)
	s_or_b32 exec_lo, exec_lo, s73
	v_dual_mov_b32 v124, 0 :: v_dual_bitop2_b32 v8, 15, v115 bitop3:0x40
	s_mov_b32 s14, 0
	s_mov_b32 s15, exec_lo
                                        ; implicit-def: $vgpr126
                                        ; implicit-def: $vgpr2
	v_cndmask_b32_e64 v125, v76, v8, s13
	s_delay_alu instid0(VALU_DEP_1)
	v_cmpx_ne_u32_e32 0, v125
	s_cbranch_execz .LBB2_3286
; %bb.3285:                             ;   in Loop: Header=BB2_2043 Depth=2
	v_cmp_lt_i32_e32 vcc_lo, 0, v78
	s_mov_b32 s14, exec_lo
	v_sub_nc_u32_e32 v8, v76, v8
	v_cndmask_b32_e32 v2, 0, v36, vcc_lo
	s_delay_alu instid0(VALU_DEP_1) | instskip(NEXT) | instid1(VALU_DEP_1)
	v_dual_cndmask_b32 v8, 0, v8, s13 :: v_dual_sub_nc_u32 v2, v2, v78
	v_add3_u32 v124, v74, v77, v8
	s_delay_alu instid0(VALU_DEP_2) | instskip(NEXT) | instid1(VALU_DEP_1)
	v_lshl_add_u32 v126, v2, 5, v75
	v_ashrrev_i32_e32 v2, 31, v126
	s_delay_alu instid0(VALU_DEP_1) | instskip(NEXT) | instid1(VALU_DEP_1)
	v_lshrrev_b32_e32 v2, 27, v2
	v_add_nc_u32_e32 v2, v126, v2
	s_delay_alu instid0(VALU_DEP_1)
	v_ashrrev_i32_e32 v2, 5, v2
.LBB2_3286:                             ;   in Loop: Header=BB2_2043 Depth=2
	s_or_b32 exec_lo, exec_lo, s15
	s_delay_alu instid0(SALU_CYCLE_1)
	s_and_b32 s14, s14, exec_lo
.LBB2_3287:                             ;   in Loop: Header=BB2_2043 Depth=2
	s_or_b32 exec_lo, exec_lo, s72
	s_and_saveexec_b32 s15, s14
	s_cbranch_execz .LBB2_3694
.LBB2_3288:                             ;   in Loop: Header=BB2_2043 Depth=2
	v_ashrrev_i32_e32 v8, 31, v125
	s_mov_b32 s14, exec_lo
	s_delay_alu instid0(VALU_DEP_1) | instskip(NEXT) | instid1(VALU_DEP_1)
	v_lshrrev_b32_e32 v8, 24, v8
	v_add_nc_u32_e32 v8, v125, v8
	s_delay_alu instid0(VALU_DEP_1) | instskip(NEXT) | instid1(VALU_DEP_1)
	v_dual_ashrrev_i32 v19, 8, v8 :: v_dual_ashrrev_i32 v8, 31, v126
	v_dual_sub_nc_u32 v115, v19, v2 :: v_dual_lshrrev_b32 v18, 27, v8
	s_delay_alu instid0(VALU_DEP_1)
	v_cmpx_lt_i32_e32 0, v115
	s_cbranch_execz .LBB2_3644
; %bb.3289:                             ;   in Loop: Header=BB2_2043 Depth=2
	s_delay_alu instid0(VALU_DEP_2) | instskip(SKIP_4) | instid1(VALU_DEP_1)
	v_add_nc_u32_e32 v8, v126, v18
	s_trap 2
	ds_load_b64 v[14:15], v0
	s_mov_b32 s42, 0
	v_and_b32_e32 v8, 0xffffffe0, v8
	v_dual_lshlrev_b32 v2, 8, v2 :: v_dual_sub_nc_u32 v8, v126, v8
	s_delay_alu instid0(VALU_DEP_1) | instskip(NEXT) | instid1(VALU_DEP_1)
	v_add3_u32 v44, v124, v8, v2
	v_ashrrev_i32_e32 v45, 31, v44
	s_delay_alu instid0(VALU_DEP_1)
	v_add_nc_u64_e32 v[8:9], v[44:45], v[40:41]
	v_add_nc_u64_e32 v[10:11], v[44:45], v[42:43]
	;; [unrolled: 1-line block ×3, first 2 shown]
	s_wait_dscnt 0x0
	v_add_nc_u64_e32 v[14:15], v[14:15], v[44:45]
	s_branch .LBB2_3292
.LBB2_3290:                             ;   in Loop: Header=BB2_3292 Depth=3
	s_or_b32 exec_lo, exec_lo, s43
.LBB2_3291:                             ;   in Loop: Header=BB2_3292 Depth=3
	s_delay_alu instid0(SALU_CYCLE_1)
	s_or_b32 exec_lo, exec_lo, s13
	v_sub_nc_u32_e32 v115, v115, v36
	s_clause 0x7
	flat_store_b8 v[8:9], v95 th:TH_STORE_NT
	flat_store_b8 v[8:9], v91 offset:32 th:TH_STORE_NT
	flat_store_b8 v[8:9], v79 offset:64 th:TH_STORE_NT
	;; [unrolled: 1-line block ×7, first 2 shown]
	s_clause 0x7
	flat_store_b8 v[10:11], v95 th:TH_STORE_NT
	flat_store_b8 v[10:11], v91 offset:32 th:TH_STORE_NT
	flat_store_b8 v[10:11], v79 offset:64 th:TH_STORE_NT
	;; [unrolled: 1-line block ×7, first 2 shown]
	v_add_nc_u64_e32 v[12:13], v[12:13], v[68:69]
	v_add_nc_u64_e32 v[14:15], v[14:15], v[68:69]
	s_wait_xcnt 0x8
	v_add_nc_u64_e32 v[8:9], v[8:9], v[68:69]
	v_cmp_gt_i32_e32 vcc_lo, 1, v115
	s_wait_xcnt 0x0
	v_add_nc_u64_e32 v[10:11], v[10:11], v[68:69]
	s_or_b32 s42, vcc_lo, s42
	s_delay_alu instid0(SALU_CYCLE_1)
	s_and_not1_b32 exec_lo, exec_lo, s42
	s_cbranch_execz .LBB2_3643
.LBB2_3292:                             ;   Parent Loop BB2_47 Depth=1
                                        ;     Parent Loop BB2_2043 Depth=2
                                        ; =>    This Inner Loop Header: Depth=3
	s_clause 0x7
	flat_load_i8 v2, v[12:13] th:TH_LOAD_NT
	flat_load_i8 v92, v[12:13] offset:32 th:TH_LOAD_NT
	flat_load_i8 v88, v[12:13] offset:64 th:TH_LOAD_NT
	;; [unrolled: 1-line block ×7, first 2 shown]
	s_clause 0x7
	flat_load_i8 v94, v[14:15] th:TH_LOAD_NT
	flat_load_i8 v90, v[14:15] offset:32 th:TH_LOAD_NT
	flat_load_i8 v78, v[14:15] offset:64 th:TH_LOAD_NT
	;; [unrolled: 1-line block ×7, first 2 shown]
	v_dual_mov_b32 v43, 0 :: v_dual_mov_b32 v45, 0
	s_mov_b32 s13, exec_lo
	s_wait_loadcnt_dscnt 0xf0f
	s_wait_xcnt 0x0
	v_cmpx_ne_u16_e32 0, v2
	s_cbranch_execz .LBB2_3302
; %bb.3293:                             ;   in Loop: Header=BB2_3292 Depth=3
	v_bfrev_b32_e32 v45, 1
	s_mov_b32 s43, exec_lo
	v_cmpx_ne_u16_e32 0xff80, v2
	s_cbranch_execz .LBB2_3301
; %bb.3294:                             ;   in Loop: Header=BB2_3292 Depth=3
	v_and_b32_e32 v20, 0x7c, v2
	v_and_b32_e32 v47, 3, v2
	s_mov_b32 s72, exec_lo
                                        ; implicit-def: $vgpr45
	s_delay_alu instid0(VALU_DEP_2)
	v_cmpx_ne_u32_e32 0x7c, v20
	s_xor_b32 s72, exec_lo, s72
	s_cbranch_execz .LBB2_3298
; %bb.3295:                             ;   in Loop: Header=BB2_3292 Depth=3
	v_and_b32_e32 v20, 0xff, v2
	s_mov_b32 s73, exec_lo
	s_delay_alu instid0(VALU_DEP_1) | instskip(NEXT) | instid1(VALU_DEP_1)
	v_bfe_u32 v45, v20, 2, 5
	v_cmpx_eq_u32_e32 0, v45
; %bb.3296:                             ;   in Loop: Header=BB2_3292 Depth=3
	v_clz_i32_u32_e32 v20, v47
	s_delay_alu instid0(VALU_DEP_1) | instskip(NEXT) | instid1(VALU_DEP_1)
	v_min_u32_e32 v20, 32, v20
	v_subrev_nc_u32_e32 v21, 29, v20
	v_sub_nc_u32_e32 v45, 30, v20
	s_delay_alu instid0(VALU_DEP_2) | instskip(NEXT) | instid1(VALU_DEP_1)
	v_lshlrev_b64_e32 v[104:105], v21, v[2:3]
	v_and_b32_e32 v47, 3, v104
; %bb.3297:                             ;   in Loop: Header=BB2_3292 Depth=3
	s_or_b32 exec_lo, exec_lo, s73
	v_bfe_i32 v2, v2, 0, 16
	s_delay_alu instid0(VALU_DEP_1) | instskip(NEXT) | instid1(VALU_DEP_1)
	v_and_b32_e32 v2, 0x80000000, v2
	v_lshl_add_u32 v2, v45, 23, v2
	s_delay_alu instid0(VALU_DEP_1) | instskip(NEXT) | instid1(VALU_DEP_1)
	v_lshl_or_b32 v2, v47, 21, v2
                                        ; implicit-def: $vgpr47
	v_add_nc_u32_e32 v45, 0x38000000, v2
.LBB2_3298:                             ;   in Loop: Header=BB2_3292 Depth=3
	s_and_not1_saveexec_b32 s72, s72
; %bb.3299:                             ;   in Loop: Header=BB2_3292 Depth=3
	v_cmp_lt_i16_e32 vcc_lo, -1, v2
	v_cndmask_b32_e32 v2, 0xff800000, v109, vcc_lo
	v_cmp_eq_u32_e32 vcc_lo, 0, v47
	s_delay_alu instid0(VALU_DEP_2)
	v_cndmask_b32_e32 v45, 0x7f800001, v2, vcc_lo
; %bb.3300:                             ;   in Loop: Header=BB2_3292 Depth=3
	s_or_b32 exec_lo, exec_lo, s72
.LBB2_3301:                             ;   in Loop: Header=BB2_3292 Depth=3
	s_delay_alu instid0(SALU_CYCLE_1)
	s_or_b32 exec_lo, exec_lo, s43
.LBB2_3302:                             ;   in Loop: Header=BB2_3292 Depth=3
	s_delay_alu instid0(SALU_CYCLE_1) | instskip(NEXT) | instid1(SALU_CYCLE_1)
	s_or_b32 exec_lo, exec_lo, s13
	s_mov_b32 s13, exec_lo
	s_wait_loadcnt_dscnt 0x707
	v_cmpx_ne_u16_e32 0, v94
	s_cbranch_execz .LBB2_3312
; %bb.3303:                             ;   in Loop: Header=BB2_3292 Depth=3
	v_bfrev_b32_e32 v43, 1
	s_mov_b32 s43, exec_lo
	v_cmpx_ne_u16_e32 0xff80, v94
	s_cbranch_execz .LBB2_3311
; %bb.3304:                             ;   in Loop: Header=BB2_3292 Depth=3
	v_and_b32_e32 v20, 0x7c, v94
	v_and_b32_e32 v2, 3, v94
	s_mov_b32 s72, exec_lo
                                        ; implicit-def: $vgpr43
	s_delay_alu instid0(VALU_DEP_2)
	v_cmpx_ne_u32_e32 0x7c, v20
	s_xor_b32 s72, exec_lo, s72
	s_cbranch_execz .LBB2_3308
; %bb.3305:                             ;   in Loop: Header=BB2_3292 Depth=3
	v_and_b32_e32 v20, 0xff, v94
	s_mov_b32 s73, exec_lo
	s_delay_alu instid0(VALU_DEP_1) | instskip(NEXT) | instid1(VALU_DEP_1)
	v_bfe_u32 v43, v20, 2, 5
	v_cmpx_eq_u32_e32 0, v43
; %bb.3306:                             ;   in Loop: Header=BB2_3292 Depth=3
	v_clz_i32_u32_e32 v2, v2
	s_delay_alu instid0(VALU_DEP_1) | instskip(NEXT) | instid1(VALU_DEP_1)
	v_min_u32_e32 v2, 32, v2
	v_dual_mov_b32 v95, v3 :: v_dual_sub_nc_u32 v43, 30, v2
	v_subrev_nc_u32_e32 v20, 29, v2
	s_delay_alu instid0(VALU_DEP_1) | instskip(NEXT) | instid1(VALU_DEP_1)
	v_lshlrev_b64_e32 v[104:105], v20, v[94:95]
	v_and_b32_e32 v2, 3, v104
; %bb.3307:                             ;   in Loop: Header=BB2_3292 Depth=3
	s_or_b32 exec_lo, exec_lo, s73
	v_bfe_i32 v20, v94, 0, 16
                                        ; implicit-def: $vgpr94
	s_delay_alu instid0(VALU_DEP_1) | instskip(NEXT) | instid1(VALU_DEP_1)
	v_and_b32_e32 v20, 0x80000000, v20
	v_lshl_add_u32 v20, v43, 23, v20
	s_delay_alu instid0(VALU_DEP_1) | instskip(NEXT) | instid1(VALU_DEP_1)
	v_lshl_or_b32 v2, v2, 21, v20
	v_add_nc_u32_e32 v43, 0x38000000, v2
                                        ; implicit-def: $vgpr2
.LBB2_3308:                             ;   in Loop: Header=BB2_3292 Depth=3
	s_and_not1_saveexec_b32 s72, s72
; %bb.3309:                             ;   in Loop: Header=BB2_3292 Depth=3
	v_cmp_lt_i16_e32 vcc_lo, -1, v94
	v_cndmask_b32_e32 v20, 0xff800000, v109, vcc_lo
	v_cmp_eq_u32_e32 vcc_lo, 0, v2
	s_delay_alu instid0(VALU_DEP_2)
	v_cndmask_b32_e32 v43, 0x7f800001, v20, vcc_lo
; %bb.3310:                             ;   in Loop: Header=BB2_3292 Depth=3
	s_or_b32 exec_lo, exec_lo, s72
.LBB2_3311:                             ;   in Loop: Header=BB2_3292 Depth=3
	s_delay_alu instid0(SALU_CYCLE_1)
	s_or_b32 exec_lo, exec_lo, s43
.LBB2_3312:                             ;   in Loop: Header=BB2_3292 Depth=3
	s_delay_alu instid0(SALU_CYCLE_1) | instskip(NEXT) | instid1(VALU_DEP_1)
	s_or_b32 exec_lo, exec_lo, s13
	v_dual_mul_f32 v45, v45, v43 :: v_dual_mov_b32 v95, v3
	s_delay_alu instid0(VALU_DEP_1) | instskip(SKIP_1) | instid1(VALU_DEP_2)
	v_and_b32_e32 v94, 0x7f800000, v45
	v_and_b32_e32 v2, 0x7fffff, v45
	v_cmp_ne_u64_e32 vcc_lo, 0x7f800000, v[94:95]
                                        ; implicit-def: $vgpr95
	s_and_saveexec_b32 s13, vcc_lo
	s_delay_alu instid0(SALU_CYCLE_1)
	s_xor_b32 s43, exec_lo, s13
	s_cbranch_execz .LBB2_3330
; %bb.3313:                             ;   in Loop: Header=BB2_3292 Depth=3
	v_and_b32_e32 v94, 0x7fffffff, v45
	v_dual_mov_b32 v95, v3 :: v_dual_lshrrev_b32 v20, 24, v45
	s_delay_alu instid0(VALU_DEP_1) | instskip(NEXT) | instid1(VALU_DEP_2)
	v_cmp_gt_u64_e32 vcc_lo, 0x47600001, v[94:95]
	v_and_b32_e32 v43, 0x80, v20
                                        ; implicit-def: $vgpr95
	s_and_saveexec_b32 s13, vcc_lo
	s_delay_alu instid0(SALU_CYCLE_1)
	s_xor_b32 s72, exec_lo, s13
	s_cbranch_execz .LBB2_3327
; %bb.3314:                             ;   in Loop: Header=BB2_3292 Depth=3
	v_mov_b32_e32 v95, 0
	s_mov_b32 s73, exec_lo
	v_cmpx_ne_u32_e32 0, v45
	s_cbranch_execz .LBB2_3326
; %bb.3315:                             ;   in Loop: Header=BB2_3292 Depth=3
	v_bfe_u32 v45, v45, 23, 8
	v_or_b32_e32 v21, 0x800000, v2
	s_delay_alu instid0(VALU_DEP_2) | instskip(SKIP_1) | instid1(VALU_DEP_2)
	v_sub_nc_u32_e32 v20, 0x71, v45
	v_cmp_gt_u32_e32 vcc_lo, 0x72, v45
	v_cndmask_b32_e32 v20, 0, v20, vcc_lo
	v_cmp_eq_u32_e32 vcc_lo, 0, v45
	v_cndmask_b32_e32 v2, v21, v2, vcc_lo
	s_delay_alu instid0(VALU_DEP_3) | instskip(NEXT) | instid1(VALU_DEP_1)
	v_cndmask_b32_e64 v47, v20, 0x70, vcc_lo
	v_add_nc_u32_e32 v20, 21, v47
	s_delay_alu instid0(VALU_DEP_1) | instskip(SKIP_1) | instid1(VALU_DEP_1)
	v_lshlrev_b64_e64 v[94:95], v20, -1
	v_add_nc_u32_e32 v20, 20, v47
	v_lshlrev_b64_e64 v[104:105], v20, 1
	s_delay_alu instid0(VALU_DEP_3) | instskip(NEXT) | instid1(VALU_DEP_4)
	v_bfi_b32 v21, v95, 0, 0
	v_bfi_b32 v20, v94, 0, v2
	v_lshrrev_b64 v[94:95], v47, v[2:3]
	s_delay_alu instid0(VALU_DEP_2) | instskip(NEXT) | instid1(VALU_DEP_2)
	v_cmp_eq_u64_e64 s13, v[20:21], v[104:105]
	v_mov_b64_e32 v[104:105], v[94:95]
	s_and_saveexec_b32 s74, s13
; %bb.3316:                             ;   in Loop: Header=BB2_3292 Depth=3
	v_bfe_u32 v2, v94, 21, 1
	s_delay_alu instid0(VALU_DEP_1) | instskip(NEXT) | instid1(VALU_DEP_1)
	v_add_nc_u64_e32 v[20:21], v[94:95], v[2:3]
	v_add_nc_u64_e32 v[104:105], -1, v[20:21]
; %bb.3317:                             ;   in Loop: Header=BB2_3292 Depth=3
	s_or_b32 exec_lo, exec_lo, s74
	v_add_nc_u32_e32 v2, 0xffffff81, v45
	v_lshrrev_b32_e32 v20, 23, v94
	s_mov_b32 s13, exec_lo
                                        ; implicit-def: $vgpr45
	s_delay_alu instid0(VALU_DEP_2) | instskip(NEXT) | instid1(VALU_DEP_1)
	v_cndmask_b32_e64 v2, v2, 0xffffff82, vcc_lo
	v_add3_u32 v47, v47, v2, v20
	v_and_b32_e32 v2, 0x1fffff, v104
	s_delay_alu instid0(VALU_DEP_1) | instskip(NEXT) | instid1(VALU_DEP_1)
	v_dual_add_nc_u32 v57, 14, v47 :: v_dual_add_nc_u32 v2, v2, v94
                                        ; implicit-def: $vgpr94_vgpr95
	v_cmpx_ne_u32_e32 0, v57
	s_xor_b32 s13, exec_lo, s13
; %bb.3318:                             ;   in Loop: Header=BB2_3292 Depth=3
	s_delay_alu instid0(VALU_DEP_2) | instskip(SKIP_1) | instid1(VALU_DEP_1)
	v_cmp_lt_u64_e32 vcc_lo, 0xffffff, v[2:3]
	v_add_nc_u32_e32 v20, 15, v47
	v_cndmask_b32_e32 v45, v57, v20, vcc_lo
	v_cndmask_b32_e64 v20, 0, 1, vcc_lo
	s_delay_alu instid0(VALU_DEP_1)
	v_lshrrev_b64 v[94:95], v20, v[2:3]
; %bb.3319:                             ;   in Loop: Header=BB2_3292 Depth=3
	s_and_not1_saveexec_b32 s13, s13
; %bb.3320:                             ;   in Loop: Header=BB2_3292 Depth=3
	v_mov_b64_e32 v[94:95], v[2:3]
	v_bfe_u32 v45, v2, 23, 1
; %bb.3321:                             ;   in Loop: Header=BB2_3292 Depth=3
	s_or_b32 exec_lo, exec_lo, s13
	s_delay_alu instid0(VALU_DEP_2) | instskip(NEXT) | instid1(VALU_DEP_2)
	v_lshrrev_b64 v[20:21], 21, v[94:95]
	v_cmp_gt_i32_e32 vcc_lo, 32, v45
	v_cmp_ne_u32_e64 s13, 0, v45
	s_delay_alu instid0(VALU_DEP_3) | instskip(NEXT) | instid1(VALU_DEP_1)
	v_dual_cndmask_b32 v95, 0, v21 :: v_dual_cndmask_b32 v94, 3, v20
	v_cmp_ne_u64_e32 vcc_lo, 0, v[94:95]
                                        ; implicit-def: $vgpr95
	s_or_b32 s13, s13, vcc_lo
	s_delay_alu instid0(SALU_CYCLE_1) | instskip(NEXT) | instid1(SALU_CYCLE_1)
	s_and_saveexec_b32 s74, s13
	s_xor_b32 s13, exec_lo, s74
; %bb.3322:                             ;   in Loop: Header=BB2_3292 Depth=3
	v_min_i32_e32 v2, 31, v45
	s_delay_alu instid0(VALU_DEP_1) | instskip(NEXT) | instid1(VALU_DEP_1)
	v_lshl_or_b32 v2, v2, 2, v43
                                        ; implicit-def: $vgpr43
	v_and_or_b32 v95, v94, 3, v2
; %bb.3323:                             ;   in Loop: Header=BB2_3292 Depth=3
	s_and_not1_saveexec_b32 s13, s13
; %bb.3324:                             ;   in Loop: Header=BB2_3292 Depth=3
	v_mov_b32_e32 v95, v43
; %bb.3325:                             ;   in Loop: Header=BB2_3292 Depth=3
	s_or_b32 exec_lo, exec_lo, s13
.LBB2_3326:                             ;   in Loop: Header=BB2_3292 Depth=3
	s_delay_alu instid0(SALU_CYCLE_1)
	s_or_b32 exec_lo, exec_lo, s73
                                        ; implicit-def: $vgpr43
.LBB2_3327:                             ;   in Loop: Header=BB2_3292 Depth=3
	s_and_not1_saveexec_b32 s13, s72
; %bb.3328:                             ;   in Loop: Header=BB2_3292 Depth=3
	v_or_b32_e32 v95, 0x7b, v43
; %bb.3329:                             ;   in Loop: Header=BB2_3292 Depth=3
	s_or_b32 exec_lo, exec_lo, s13
                                        ; implicit-def: $vgpr45
.LBB2_3330:                             ;   in Loop: Header=BB2_3292 Depth=3
	s_and_not1_saveexec_b32 s13, s43
	s_cbranch_execz .LBB2_3336
; %bb.3331:                             ;   in Loop: Header=BB2_3292 Depth=3
	s_mov_b32 s43, exec_lo
                                        ; implicit-def: $vgpr95
	v_cmpx_ne_u64_e32 0, v[2:3]
	s_xor_b32 s43, exec_lo, s43
; %bb.3332:                             ;   in Loop: Header=BB2_3292 Depth=3
	v_lshrrev_b32_e32 v2, 24, v45
                                        ; implicit-def: $vgpr45
	s_delay_alu instid0(VALU_DEP_1)
	v_or_b32_e32 v95, 0x7f, v2
; %bb.3333:                             ;   in Loop: Header=BB2_3292 Depth=3
	s_and_not1_saveexec_b32 s43, s43
; %bb.3334:                             ;   in Loop: Header=BB2_3292 Depth=3
	v_cmp_lt_i32_e32 vcc_lo, -1, v45
	v_cndmask_b32_e64 v95, -4, 0x7c, vcc_lo
; %bb.3335:                             ;   in Loop: Header=BB2_3292 Depth=3
	s_or_b32 exec_lo, exec_lo, s43
.LBB2_3336:                             ;   in Loop: Header=BB2_3292 Depth=3
	s_delay_alu instid0(SALU_CYCLE_1)
	s_or_b32 exec_lo, exec_lo, s13
	v_dual_mov_b32 v2, 0 :: v_dual_mov_b32 v43, 0
	s_mov_b32 s13, exec_lo
	v_cmpx_ne_u16_e32 0, v92
	s_cbranch_execz .LBB2_3346
; %bb.3337:                             ;   in Loop: Header=BB2_3292 Depth=3
	v_bfrev_b32_e32 v43, 1
	s_mov_b32 s43, exec_lo
	v_cmpx_ne_u16_e32 0xff80, v92
	s_cbranch_execz .LBB2_3345
; %bb.3338:                             ;   in Loop: Header=BB2_3292 Depth=3
	v_and_b32_e32 v20, 0x7c, v92
	v_and_b32_e32 v45, 3, v92
	s_mov_b32 s72, exec_lo
                                        ; implicit-def: $vgpr43
	s_delay_alu instid0(VALU_DEP_2)
	v_cmpx_ne_u32_e32 0x7c, v20
	s_xor_b32 s72, exec_lo, s72
	s_cbranch_execz .LBB2_3342
; %bb.3339:                             ;   in Loop: Header=BB2_3292 Depth=3
	v_and_b32_e32 v20, 0xff, v92
	s_mov_b32 s73, exec_lo
	s_delay_alu instid0(VALU_DEP_1) | instskip(NEXT) | instid1(VALU_DEP_1)
	v_bfe_u32 v43, v20, 2, 5
	v_cmpx_eq_u32_e32 0, v43
	s_cbranch_execz .LBB2_3341
; %bb.3340:                             ;   in Loop: Header=BB2_3292 Depth=3
	v_clz_i32_u32_e32 v20, v45
	s_delay_alu instid0(VALU_DEP_1) | instskip(SKIP_1) | instid1(VALU_DEP_2)
	v_min_u32_e32 v43, 32, v20
	v_mov_b32_e32 v93, v3
	v_subrev_nc_u32_e32 v20, 29, v43
	v_sub_nc_u32_e32 v43, 30, v43
	s_delay_alu instid0(VALU_DEP_2) | instskip(NEXT) | instid1(VALU_DEP_1)
	v_lshlrev_b64_e32 v[20:21], v20, v[92:93]
	v_and_b32_e32 v45, 3, v20
.LBB2_3341:                             ;   in Loop: Header=BB2_3292 Depth=3
	s_or_b32 exec_lo, exec_lo, s73
	v_bfe_i32 v20, v92, 0, 16
                                        ; implicit-def: $vgpr92
	s_delay_alu instid0(VALU_DEP_1) | instskip(NEXT) | instid1(VALU_DEP_1)
	v_and_b32_e32 v20, 0x80000000, v20
	v_lshl_add_u32 v20, v43, 23, v20
	s_delay_alu instid0(VALU_DEP_1) | instskip(NEXT) | instid1(VALU_DEP_1)
	v_lshl_or_b32 v20, v45, 21, v20
                                        ; implicit-def: $vgpr45
	v_add_nc_u32_e32 v43, 0x38000000, v20
.LBB2_3342:                             ;   in Loop: Header=BB2_3292 Depth=3
	s_and_not1_saveexec_b32 s72, s72
; %bb.3343:                             ;   in Loop: Header=BB2_3292 Depth=3
	v_cmp_lt_i16_e32 vcc_lo, -1, v92
	v_cndmask_b32_e32 v20, 0xff800000, v109, vcc_lo
	v_cmp_eq_u32_e32 vcc_lo, 0, v45
	s_delay_alu instid0(VALU_DEP_2)
	v_cndmask_b32_e32 v43, 0x7f800001, v20, vcc_lo
; %bb.3344:                             ;   in Loop: Header=BB2_3292 Depth=3
	s_or_b32 exec_lo, exec_lo, s72
.LBB2_3345:                             ;   in Loop: Header=BB2_3292 Depth=3
	s_delay_alu instid0(SALU_CYCLE_1)
	s_or_b32 exec_lo, exec_lo, s43
.LBB2_3346:                             ;   in Loop: Header=BB2_3292 Depth=3
	s_delay_alu instid0(SALU_CYCLE_1) | instskip(NEXT) | instid1(SALU_CYCLE_1)
	s_or_b32 exec_lo, exec_lo, s13
	s_mov_b32 s13, exec_lo
	s_wait_loadcnt_dscnt 0x606
	v_cmpx_ne_u16_e32 0, v90
	s_cbranch_execz .LBB2_3356
; %bb.3347:                             ;   in Loop: Header=BB2_3292 Depth=3
	v_bfrev_b32_e32 v2, 1
	s_mov_b32 s43, exec_lo
	v_cmpx_ne_u16_e32 0xff80, v90
	s_cbranch_execz .LBB2_3355
; %bb.3348:                             ;   in Loop: Header=BB2_3292 Depth=3
	v_and_b32_e32 v2, 0x7c, v90
	v_and_b32_e32 v45, 3, v90
	s_delay_alu instid0(VALU_DEP_2) | instskip(SKIP_1) | instid1(SALU_CYCLE_1)
	v_cmp_ne_u32_e32 vcc_lo, 0x7c, v2
                                        ; implicit-def: $vgpr2
	s_and_saveexec_b32 s72, vcc_lo
	s_xor_b32 s72, exec_lo, s72
	s_cbranch_execz .LBB2_3352
; %bb.3349:                             ;   in Loop: Header=BB2_3292 Depth=3
	v_and_b32_e32 v2, 0xff, v90
	s_mov_b32 s73, exec_lo
	s_delay_alu instid0(VALU_DEP_1) | instskip(NEXT) | instid1(VALU_DEP_1)
	v_bfe_u32 v2, v2, 2, 5
	v_cmpx_eq_u32_e32 0, v2
	s_cbranch_execz .LBB2_3351
; %bb.3350:                             ;   in Loop: Header=BB2_3292 Depth=3
	v_clz_i32_u32_e32 v2, v45
	s_delay_alu instid0(VALU_DEP_1) | instskip(SKIP_1) | instid1(VALU_DEP_2)
	v_min_u32_e32 v2, 32, v2
	v_mov_b32_e32 v91, v3
	v_subrev_nc_u32_e32 v20, 29, v2
	v_sub_nc_u32_e32 v2, 30, v2
	s_delay_alu instid0(VALU_DEP_2) | instskip(NEXT) | instid1(VALU_DEP_1)
	v_lshlrev_b64_e32 v[20:21], v20, v[90:91]
	v_and_b32_e32 v45, 3, v20
.LBB2_3351:                             ;   in Loop: Header=BB2_3292 Depth=3
	s_or_b32 exec_lo, exec_lo, s73
	v_bfe_i32 v20, v90, 0, 16
                                        ; implicit-def: $vgpr90
	s_delay_alu instid0(VALU_DEP_1) | instskip(NEXT) | instid1(VALU_DEP_1)
	v_and_b32_e32 v20, 0x80000000, v20
	v_lshl_add_u32 v2, v2, 23, v20
	s_delay_alu instid0(VALU_DEP_1) | instskip(NEXT) | instid1(VALU_DEP_1)
	v_lshl_or_b32 v2, v45, 21, v2
                                        ; implicit-def: $vgpr45
	v_add_nc_u32_e32 v2, 0x38000000, v2
.LBB2_3352:                             ;   in Loop: Header=BB2_3292 Depth=3
	s_and_not1_saveexec_b32 s72, s72
; %bb.3353:                             ;   in Loop: Header=BB2_3292 Depth=3
	v_cmp_lt_i16_e32 vcc_lo, -1, v90
	v_cndmask_b32_e32 v2, 0xff800000, v109, vcc_lo
	v_cmp_eq_u32_e32 vcc_lo, 0, v45
	s_delay_alu instid0(VALU_DEP_2)
	v_cndmask_b32_e32 v2, 0x7f800001, v2, vcc_lo
; %bb.3354:                             ;   in Loop: Header=BB2_3292 Depth=3
	s_or_b32 exec_lo, exec_lo, s72
.LBB2_3355:                             ;   in Loop: Header=BB2_3292 Depth=3
	s_delay_alu instid0(SALU_CYCLE_1)
	s_or_b32 exec_lo, exec_lo, s43
.LBB2_3356:                             ;   in Loop: Header=BB2_3292 Depth=3
	s_delay_alu instid0(SALU_CYCLE_1) | instskip(NEXT) | instid1(VALU_DEP_1)
	s_or_b32 exec_lo, exec_lo, s13
	v_mul_f32_e32 v45, v43, v2
	v_mov_b32_e32 v21, v3
                                        ; implicit-def: $vgpr91
	s_mov_b32 s13, exec_lo
	s_delay_alu instid0(VALU_DEP_2) | instskip(SKIP_1) | instid1(VALU_DEP_2)
	v_and_b32_e32 v20, 0x7f800000, v45
	v_and_b32_e32 v2, 0x7fffff, v45
	v_cmpx_ne_u64_e32 0x7f800000, v[20:21]
	s_xor_b32 s43, exec_lo, s13
	s_cbranch_execz .LBB2_3374
; %bb.3357:                             ;   in Loop: Header=BB2_3292 Depth=3
	v_dual_mov_b32 v21, v3 :: v_dual_lshrrev_b32 v43, 24, v45
	v_and_b32_e32 v20, 0x7fffffff, v45
                                        ; implicit-def: $vgpr91
	s_mov_b32 s13, exec_lo
	s_delay_alu instid0(VALU_DEP_2) | instskip(NEXT) | instid1(VALU_DEP_2)
	v_and_b32_e32 v43, 0x80, v43
	v_cmpx_gt_u64_e32 0x47600001, v[20:21]
	s_xor_b32 s72, exec_lo, s13
	s_cbranch_execz .LBB2_3371
; %bb.3358:                             ;   in Loop: Header=BB2_3292 Depth=3
	v_mov_b32_e32 v91, 0
	s_mov_b32 s73, exec_lo
	v_cmpx_ne_u32_e32 0, v45
	s_cbranch_execz .LBB2_3370
; %bb.3359:                             ;   in Loop: Header=BB2_3292 Depth=3
	v_bfe_u32 v45, v45, 23, 8
	v_or_b32_e32 v57, 0x800000, v2
	s_delay_alu instid0(VALU_DEP_2) | instskip(SKIP_1) | instid1(VALU_DEP_2)
	v_sub_nc_u32_e32 v20, 0x71, v45
	v_cmp_gt_u32_e32 vcc_lo, 0x72, v45
	v_cndmask_b32_e32 v20, 0, v20, vcc_lo
	v_cmp_eq_u32_e32 vcc_lo, 0, v45
	s_delay_alu instid0(VALU_DEP_2) | instskip(NEXT) | instid1(VALU_DEP_1)
	v_cndmask_b32_e64 v47, v20, 0x70, vcc_lo
	v_dual_cndmask_b32 v2, v57, v2, vcc_lo :: v_dual_add_nc_u32 v20, 21, v47
	v_add_nc_u32_e32 v59, 20, v47
	s_delay_alu instid0(VALU_DEP_2) | instskip(NEXT) | instid1(VALU_DEP_3)
	v_lshrrev_b64 v[90:91], v47, v[2:3]
	v_lshlrev_b64_e64 v[20:21], v20, -1
	s_delay_alu instid0(VALU_DEP_3) | instskip(NEXT) | instid1(VALU_DEP_2)
	v_lshlrev_b64_e64 v[92:93], v59, 1
	v_bfi_b32 v21, v21, 0, 0
	s_delay_alu instid0(VALU_DEP_3) | instskip(NEXT) | instid1(VALU_DEP_1)
	v_bfi_b32 v20, v20, 0, v2
	v_cmp_eq_u64_e64 s13, v[20:21], v[92:93]
	v_mov_b64_e32 v[92:93], v[90:91]
	s_and_saveexec_b32 s74, s13
; %bb.3360:                             ;   in Loop: Header=BB2_3292 Depth=3
	v_bfe_u32 v2, v90, 21, 1
	s_delay_alu instid0(VALU_DEP_1) | instskip(NEXT) | instid1(VALU_DEP_1)
	v_add_nc_u64_e32 v[20:21], v[90:91], v[2:3]
	v_add_nc_u64_e32 v[92:93], -1, v[20:21]
; %bb.3361:                             ;   in Loop: Header=BB2_3292 Depth=3
	s_or_b32 exec_lo, exec_lo, s74
	v_add_nc_u32_e32 v2, 0xffffff81, v45
	v_lshrrev_b32_e32 v20, 23, v90
	s_mov_b32 s13, exec_lo
                                        ; implicit-def: $vgpr45
	s_delay_alu instid0(VALU_DEP_2) | instskip(NEXT) | instid1(VALU_DEP_1)
	v_cndmask_b32_e64 v2, v2, 0xffffff82, vcc_lo
	v_add3_u32 v47, v47, v2, v20
	v_and_b32_e32 v2, 0x1fffff, v92
	s_delay_alu instid0(VALU_DEP_1) | instskip(NEXT) | instid1(VALU_DEP_1)
	v_dual_add_nc_u32 v57, 14, v47 :: v_dual_add_nc_u32 v2, v2, v90
                                        ; implicit-def: $vgpr90_vgpr91
	v_cmpx_ne_u32_e32 0, v57
	s_xor_b32 s13, exec_lo, s13
; %bb.3362:                             ;   in Loop: Header=BB2_3292 Depth=3
	s_delay_alu instid0(VALU_DEP_2) | instskip(SKIP_1) | instid1(VALU_DEP_1)
	v_cmp_lt_u64_e32 vcc_lo, 0xffffff, v[2:3]
	v_add_nc_u32_e32 v20, 15, v47
	v_cndmask_b32_e32 v45, v57, v20, vcc_lo
	v_cndmask_b32_e64 v20, 0, 1, vcc_lo
	s_delay_alu instid0(VALU_DEP_1)
	v_lshrrev_b64 v[90:91], v20, v[2:3]
; %bb.3363:                             ;   in Loop: Header=BB2_3292 Depth=3
	s_and_not1_saveexec_b32 s13, s13
; %bb.3364:                             ;   in Loop: Header=BB2_3292 Depth=3
	v_mov_b64_e32 v[90:91], v[2:3]
	v_bfe_u32 v45, v2, 23, 1
; %bb.3365:                             ;   in Loop: Header=BB2_3292 Depth=3
	s_or_b32 exec_lo, exec_lo, s13
	s_delay_alu instid0(VALU_DEP_2) | instskip(NEXT) | instid1(VALU_DEP_2)
	v_lshrrev_b64 v[20:21], 21, v[90:91]
	v_cmp_gt_i32_e32 vcc_lo, 32, v45
	v_cmp_ne_u32_e64 s13, 0, v45
	s_delay_alu instid0(VALU_DEP_3) | instskip(NEXT) | instid1(VALU_DEP_1)
	v_dual_cndmask_b32 v91, 0, v21 :: v_dual_cndmask_b32 v90, 3, v20
	v_cmp_ne_u64_e32 vcc_lo, 0, v[90:91]
                                        ; implicit-def: $vgpr91
	s_or_b32 s13, s13, vcc_lo
	s_delay_alu instid0(SALU_CYCLE_1) | instskip(NEXT) | instid1(SALU_CYCLE_1)
	s_and_saveexec_b32 s74, s13
	s_xor_b32 s13, exec_lo, s74
; %bb.3366:                             ;   in Loop: Header=BB2_3292 Depth=3
	v_min_i32_e32 v2, 31, v45
	s_delay_alu instid0(VALU_DEP_1) | instskip(NEXT) | instid1(VALU_DEP_1)
	v_lshl_or_b32 v2, v2, 2, v43
                                        ; implicit-def: $vgpr43
	v_and_or_b32 v91, v90, 3, v2
; %bb.3367:                             ;   in Loop: Header=BB2_3292 Depth=3
	s_and_not1_saveexec_b32 s13, s13
; %bb.3368:                             ;   in Loop: Header=BB2_3292 Depth=3
	v_mov_b32_e32 v91, v43
; %bb.3369:                             ;   in Loop: Header=BB2_3292 Depth=3
	s_or_b32 exec_lo, exec_lo, s13
.LBB2_3370:                             ;   in Loop: Header=BB2_3292 Depth=3
	s_delay_alu instid0(SALU_CYCLE_1)
	s_or_b32 exec_lo, exec_lo, s73
                                        ; implicit-def: $vgpr43
.LBB2_3371:                             ;   in Loop: Header=BB2_3292 Depth=3
	s_and_not1_saveexec_b32 s13, s72
; %bb.3372:                             ;   in Loop: Header=BB2_3292 Depth=3
	v_or_b32_e32 v91, 0x7b, v43
; %bb.3373:                             ;   in Loop: Header=BB2_3292 Depth=3
	s_or_b32 exec_lo, exec_lo, s13
                                        ; implicit-def: $vgpr45
.LBB2_3374:                             ;   in Loop: Header=BB2_3292 Depth=3
	s_and_not1_saveexec_b32 s13, s43
	s_cbranch_execz .LBB2_3380
; %bb.3375:                             ;   in Loop: Header=BB2_3292 Depth=3
	s_mov_b32 s43, exec_lo
                                        ; implicit-def: $vgpr91
	v_cmpx_ne_u64_e32 0, v[2:3]
	s_xor_b32 s43, exec_lo, s43
; %bb.3376:                             ;   in Loop: Header=BB2_3292 Depth=3
	v_lshrrev_b32_e32 v2, 24, v45
                                        ; implicit-def: $vgpr45
	s_delay_alu instid0(VALU_DEP_1)
	v_or_b32_e32 v91, 0x7f, v2
; %bb.3377:                             ;   in Loop: Header=BB2_3292 Depth=3
	s_and_not1_saveexec_b32 s43, s43
; %bb.3378:                             ;   in Loop: Header=BB2_3292 Depth=3
	v_cmp_lt_i32_e32 vcc_lo, -1, v45
	v_cndmask_b32_e64 v91, -4, 0x7c, vcc_lo
; %bb.3379:                             ;   in Loop: Header=BB2_3292 Depth=3
	s_or_b32 exec_lo, exec_lo, s43
.LBB2_3380:                             ;   in Loop: Header=BB2_3292 Depth=3
	s_delay_alu instid0(SALU_CYCLE_1)
	s_or_b32 exec_lo, exec_lo, s13
	v_dual_mov_b32 v2, 0 :: v_dual_mov_b32 v43, 0
	s_mov_b32 s13, exec_lo
	v_cmpx_ne_u16_e32 0, v88
	s_cbranch_execz .LBB2_3390
; %bb.3381:                             ;   in Loop: Header=BB2_3292 Depth=3
	v_bfrev_b32_e32 v43, 1
	s_mov_b32 s43, exec_lo
	v_cmpx_ne_u16_e32 0xff80, v88
	s_cbranch_execz .LBB2_3389
; %bb.3382:                             ;   in Loop: Header=BB2_3292 Depth=3
	v_and_b32_e32 v20, 0x7c, v88
	v_and_b32_e32 v45, 3, v88
	s_mov_b32 s72, exec_lo
                                        ; implicit-def: $vgpr43
	s_delay_alu instid0(VALU_DEP_2)
	v_cmpx_ne_u32_e32 0x7c, v20
	s_xor_b32 s72, exec_lo, s72
	s_cbranch_execz .LBB2_3386
; %bb.3383:                             ;   in Loop: Header=BB2_3292 Depth=3
	v_and_b32_e32 v20, 0xff, v88
	s_mov_b32 s73, exec_lo
	s_delay_alu instid0(VALU_DEP_1) | instskip(NEXT) | instid1(VALU_DEP_1)
	v_bfe_u32 v43, v20, 2, 5
	v_cmpx_eq_u32_e32 0, v43
	s_cbranch_execz .LBB2_3385
; %bb.3384:                             ;   in Loop: Header=BB2_3292 Depth=3
	v_clz_i32_u32_e32 v20, v45
	s_delay_alu instid0(VALU_DEP_1) | instskip(SKIP_1) | instid1(VALU_DEP_2)
	v_min_u32_e32 v43, 32, v20
	v_mov_b32_e32 v89, v3
	v_subrev_nc_u32_e32 v20, 29, v43
	v_sub_nc_u32_e32 v43, 30, v43
	s_delay_alu instid0(VALU_DEP_2) | instskip(NEXT) | instid1(VALU_DEP_1)
	v_lshlrev_b64_e32 v[20:21], v20, v[88:89]
	v_and_b32_e32 v45, 3, v20
.LBB2_3385:                             ;   in Loop: Header=BB2_3292 Depth=3
	s_or_b32 exec_lo, exec_lo, s73
	v_bfe_i32 v20, v88, 0, 16
                                        ; implicit-def: $vgpr88
	s_delay_alu instid0(VALU_DEP_1) | instskip(NEXT) | instid1(VALU_DEP_1)
	v_and_b32_e32 v20, 0x80000000, v20
	v_lshl_add_u32 v20, v43, 23, v20
	s_delay_alu instid0(VALU_DEP_1) | instskip(NEXT) | instid1(VALU_DEP_1)
	v_lshl_or_b32 v20, v45, 21, v20
                                        ; implicit-def: $vgpr45
	v_add_nc_u32_e32 v43, 0x38000000, v20
.LBB2_3386:                             ;   in Loop: Header=BB2_3292 Depth=3
	s_and_not1_saveexec_b32 s72, s72
; %bb.3387:                             ;   in Loop: Header=BB2_3292 Depth=3
	v_cmp_lt_i16_e32 vcc_lo, -1, v88
	v_cndmask_b32_e32 v20, 0xff800000, v109, vcc_lo
	v_cmp_eq_u32_e32 vcc_lo, 0, v45
	s_delay_alu instid0(VALU_DEP_2)
	v_cndmask_b32_e32 v43, 0x7f800001, v20, vcc_lo
; %bb.3388:                             ;   in Loop: Header=BB2_3292 Depth=3
	s_or_b32 exec_lo, exec_lo, s72
.LBB2_3389:                             ;   in Loop: Header=BB2_3292 Depth=3
	s_delay_alu instid0(SALU_CYCLE_1)
	s_or_b32 exec_lo, exec_lo, s43
.LBB2_3390:                             ;   in Loop: Header=BB2_3292 Depth=3
	s_delay_alu instid0(SALU_CYCLE_1) | instskip(NEXT) | instid1(SALU_CYCLE_1)
	s_or_b32 exec_lo, exec_lo, s13
	s_mov_b32 s13, exec_lo
	s_wait_loadcnt_dscnt 0x505
	v_cmpx_ne_u16_e32 0, v78
	s_cbranch_execz .LBB2_3400
; %bb.3391:                             ;   in Loop: Header=BB2_3292 Depth=3
	v_bfrev_b32_e32 v2, 1
	s_mov_b32 s43, exec_lo
	v_cmpx_ne_u16_e32 0xff80, v78
	s_cbranch_execz .LBB2_3399
; %bb.3392:                             ;   in Loop: Header=BB2_3292 Depth=3
	v_and_b32_e32 v2, 0x7c, v78
	v_and_b32_e32 v45, 3, v78
	s_delay_alu instid0(VALU_DEP_2) | instskip(SKIP_1) | instid1(SALU_CYCLE_1)
	v_cmp_ne_u32_e32 vcc_lo, 0x7c, v2
                                        ; implicit-def: $vgpr2
	s_and_saveexec_b32 s72, vcc_lo
	s_xor_b32 s72, exec_lo, s72
	s_cbranch_execz .LBB2_3396
; %bb.3393:                             ;   in Loop: Header=BB2_3292 Depth=3
	v_and_b32_e32 v2, 0xff, v78
	s_mov_b32 s73, exec_lo
	s_delay_alu instid0(VALU_DEP_1) | instskip(NEXT) | instid1(VALU_DEP_1)
	v_bfe_u32 v2, v2, 2, 5
	v_cmpx_eq_u32_e32 0, v2
	s_cbranch_execz .LBB2_3395
; %bb.3394:                             ;   in Loop: Header=BB2_3292 Depth=3
	v_clz_i32_u32_e32 v2, v45
	s_delay_alu instid0(VALU_DEP_1) | instskip(SKIP_1) | instid1(VALU_DEP_2)
	v_min_u32_e32 v2, 32, v2
	v_mov_b32_e32 v79, v3
	v_subrev_nc_u32_e32 v20, 29, v2
	v_sub_nc_u32_e32 v2, 30, v2
	s_delay_alu instid0(VALU_DEP_2) | instskip(NEXT) | instid1(VALU_DEP_1)
	v_lshlrev_b64_e32 v[20:21], v20, v[78:79]
	v_and_b32_e32 v45, 3, v20
.LBB2_3395:                             ;   in Loop: Header=BB2_3292 Depth=3
	s_or_b32 exec_lo, exec_lo, s73
	v_bfe_i32 v20, v78, 0, 16
                                        ; implicit-def: $vgpr78
	s_delay_alu instid0(VALU_DEP_1) | instskip(NEXT) | instid1(VALU_DEP_1)
	v_and_b32_e32 v20, 0x80000000, v20
	v_lshl_add_u32 v2, v2, 23, v20
	s_delay_alu instid0(VALU_DEP_1) | instskip(NEXT) | instid1(VALU_DEP_1)
	v_lshl_or_b32 v2, v45, 21, v2
                                        ; implicit-def: $vgpr45
	v_add_nc_u32_e32 v2, 0x38000000, v2
.LBB2_3396:                             ;   in Loop: Header=BB2_3292 Depth=3
	s_and_not1_saveexec_b32 s72, s72
; %bb.3397:                             ;   in Loop: Header=BB2_3292 Depth=3
	v_cmp_lt_i16_e32 vcc_lo, -1, v78
	v_cndmask_b32_e32 v2, 0xff800000, v109, vcc_lo
	v_cmp_eq_u32_e32 vcc_lo, 0, v45
	s_delay_alu instid0(VALU_DEP_2)
	v_cndmask_b32_e32 v2, 0x7f800001, v2, vcc_lo
; %bb.3398:                             ;   in Loop: Header=BB2_3292 Depth=3
	s_or_b32 exec_lo, exec_lo, s72
.LBB2_3399:                             ;   in Loop: Header=BB2_3292 Depth=3
	s_delay_alu instid0(SALU_CYCLE_1)
	s_or_b32 exec_lo, exec_lo, s43
.LBB2_3400:                             ;   in Loop: Header=BB2_3292 Depth=3
	s_delay_alu instid0(SALU_CYCLE_1) | instskip(NEXT) | instid1(VALU_DEP_1)
	s_or_b32 exec_lo, exec_lo, s13
	v_mul_f32_e32 v45, v43, v2
	v_mov_b32_e32 v21, v3
                                        ; implicit-def: $vgpr79
	s_mov_b32 s13, exec_lo
	s_delay_alu instid0(VALU_DEP_2) | instskip(SKIP_1) | instid1(VALU_DEP_2)
	v_and_b32_e32 v20, 0x7f800000, v45
	v_and_b32_e32 v2, 0x7fffff, v45
	v_cmpx_ne_u64_e32 0x7f800000, v[20:21]
	s_xor_b32 s43, exec_lo, s13
	s_cbranch_execz .LBB2_3418
; %bb.3401:                             ;   in Loop: Header=BB2_3292 Depth=3
	v_dual_mov_b32 v21, v3 :: v_dual_lshrrev_b32 v43, 24, v45
	v_and_b32_e32 v20, 0x7fffffff, v45
                                        ; implicit-def: $vgpr79
	s_mov_b32 s13, exec_lo
	s_delay_alu instid0(VALU_DEP_2) | instskip(NEXT) | instid1(VALU_DEP_2)
	v_and_b32_e32 v43, 0x80, v43
	v_cmpx_gt_u64_e32 0x47600001, v[20:21]
	s_xor_b32 s72, exec_lo, s13
	s_cbranch_execz .LBB2_3415
; %bb.3402:                             ;   in Loop: Header=BB2_3292 Depth=3
	v_mov_b32_e32 v79, 0
	s_mov_b32 s73, exec_lo
	v_cmpx_ne_u32_e32 0, v45
	s_cbranch_execz .LBB2_3414
; %bb.3403:                             ;   in Loop: Header=BB2_3292 Depth=3
	v_bfe_u32 v45, v45, 23, 8
	v_or_b32_e32 v57, 0x800000, v2
	s_delay_alu instid0(VALU_DEP_2) | instskip(SKIP_1) | instid1(VALU_DEP_2)
	v_sub_nc_u32_e32 v20, 0x71, v45
	v_cmp_gt_u32_e32 vcc_lo, 0x72, v45
	v_cndmask_b32_e32 v20, 0, v20, vcc_lo
	v_cmp_eq_u32_e32 vcc_lo, 0, v45
	s_delay_alu instid0(VALU_DEP_2) | instskip(NEXT) | instid1(VALU_DEP_1)
	v_cndmask_b32_e64 v47, v20, 0x70, vcc_lo
	v_dual_cndmask_b32 v2, v57, v2, vcc_lo :: v_dual_add_nc_u32 v20, 21, v47
	v_add_nc_u32_e32 v59, 20, v47
	s_delay_alu instid0(VALU_DEP_2) | instskip(NEXT) | instid1(VALU_DEP_3)
	v_lshrrev_b64 v[78:79], v47, v[2:3]
	v_lshlrev_b64_e64 v[20:21], v20, -1
	s_delay_alu instid0(VALU_DEP_3) | instskip(NEXT) | instid1(VALU_DEP_2)
	v_lshlrev_b64_e64 v[88:89], v59, 1
	v_bfi_b32 v21, v21, 0, 0
	s_delay_alu instid0(VALU_DEP_3) | instskip(NEXT) | instid1(VALU_DEP_1)
	v_bfi_b32 v20, v20, 0, v2
	v_cmp_eq_u64_e64 s13, v[20:21], v[88:89]
	v_mov_b64_e32 v[88:89], v[78:79]
	s_and_saveexec_b32 s74, s13
; %bb.3404:                             ;   in Loop: Header=BB2_3292 Depth=3
	v_bfe_u32 v2, v78, 21, 1
	s_delay_alu instid0(VALU_DEP_1) | instskip(NEXT) | instid1(VALU_DEP_1)
	v_add_nc_u64_e32 v[20:21], v[78:79], v[2:3]
	v_add_nc_u64_e32 v[88:89], -1, v[20:21]
; %bb.3405:                             ;   in Loop: Header=BB2_3292 Depth=3
	s_or_b32 exec_lo, exec_lo, s74
	v_add_nc_u32_e32 v2, 0xffffff81, v45
	v_lshrrev_b32_e32 v20, 23, v78
	s_mov_b32 s13, exec_lo
                                        ; implicit-def: $vgpr45
	s_delay_alu instid0(VALU_DEP_2) | instskip(NEXT) | instid1(VALU_DEP_1)
	v_cndmask_b32_e64 v2, v2, 0xffffff82, vcc_lo
	v_add3_u32 v47, v47, v2, v20
	v_and_b32_e32 v2, 0x1fffff, v88
	s_delay_alu instid0(VALU_DEP_1) | instskip(NEXT) | instid1(VALU_DEP_1)
	v_dual_add_nc_u32 v57, 14, v47 :: v_dual_add_nc_u32 v2, v2, v78
                                        ; implicit-def: $vgpr78_vgpr79
	v_cmpx_ne_u32_e32 0, v57
	s_xor_b32 s13, exec_lo, s13
; %bb.3406:                             ;   in Loop: Header=BB2_3292 Depth=3
	s_delay_alu instid0(VALU_DEP_2) | instskip(SKIP_1) | instid1(VALU_DEP_1)
	v_cmp_lt_u64_e32 vcc_lo, 0xffffff, v[2:3]
	v_add_nc_u32_e32 v20, 15, v47
	v_cndmask_b32_e32 v45, v57, v20, vcc_lo
	v_cndmask_b32_e64 v20, 0, 1, vcc_lo
	s_delay_alu instid0(VALU_DEP_1)
	v_lshrrev_b64 v[78:79], v20, v[2:3]
; %bb.3407:                             ;   in Loop: Header=BB2_3292 Depth=3
	s_and_not1_saveexec_b32 s13, s13
; %bb.3408:                             ;   in Loop: Header=BB2_3292 Depth=3
	v_mov_b64_e32 v[78:79], v[2:3]
	v_bfe_u32 v45, v2, 23, 1
; %bb.3409:                             ;   in Loop: Header=BB2_3292 Depth=3
	s_or_b32 exec_lo, exec_lo, s13
	s_delay_alu instid0(VALU_DEP_2) | instskip(NEXT) | instid1(VALU_DEP_2)
	v_lshrrev_b64 v[20:21], 21, v[78:79]
	v_cmp_gt_i32_e32 vcc_lo, 32, v45
	v_cmp_ne_u32_e64 s13, 0, v45
	s_delay_alu instid0(VALU_DEP_3) | instskip(NEXT) | instid1(VALU_DEP_1)
	v_dual_cndmask_b32 v79, 0, v21 :: v_dual_cndmask_b32 v78, 3, v20
	v_cmp_ne_u64_e32 vcc_lo, 0, v[78:79]
                                        ; implicit-def: $vgpr79
	s_or_b32 s13, s13, vcc_lo
	s_delay_alu instid0(SALU_CYCLE_1) | instskip(NEXT) | instid1(SALU_CYCLE_1)
	s_and_saveexec_b32 s74, s13
	s_xor_b32 s13, exec_lo, s74
; %bb.3410:                             ;   in Loop: Header=BB2_3292 Depth=3
	v_min_i32_e32 v2, 31, v45
	s_delay_alu instid0(VALU_DEP_1) | instskip(NEXT) | instid1(VALU_DEP_1)
	v_lshl_or_b32 v2, v2, 2, v43
                                        ; implicit-def: $vgpr43
	v_and_or_b32 v79, v78, 3, v2
; %bb.3411:                             ;   in Loop: Header=BB2_3292 Depth=3
	s_and_not1_saveexec_b32 s13, s13
; %bb.3412:                             ;   in Loop: Header=BB2_3292 Depth=3
	v_mov_b32_e32 v79, v43
; %bb.3413:                             ;   in Loop: Header=BB2_3292 Depth=3
	s_or_b32 exec_lo, exec_lo, s13
.LBB2_3414:                             ;   in Loop: Header=BB2_3292 Depth=3
	s_delay_alu instid0(SALU_CYCLE_1)
	s_or_b32 exec_lo, exec_lo, s73
                                        ; implicit-def: $vgpr43
.LBB2_3415:                             ;   in Loop: Header=BB2_3292 Depth=3
	s_and_not1_saveexec_b32 s13, s72
; %bb.3416:                             ;   in Loop: Header=BB2_3292 Depth=3
	v_or_b32_e32 v79, 0x7b, v43
; %bb.3417:                             ;   in Loop: Header=BB2_3292 Depth=3
	s_or_b32 exec_lo, exec_lo, s13
                                        ; implicit-def: $vgpr45
.LBB2_3418:                             ;   in Loop: Header=BB2_3292 Depth=3
	s_and_not1_saveexec_b32 s13, s43
	s_cbranch_execz .LBB2_3424
; %bb.3419:                             ;   in Loop: Header=BB2_3292 Depth=3
	s_mov_b32 s43, exec_lo
                                        ; implicit-def: $vgpr79
	v_cmpx_ne_u64_e32 0, v[2:3]
	s_xor_b32 s43, exec_lo, s43
; %bb.3420:                             ;   in Loop: Header=BB2_3292 Depth=3
	v_lshrrev_b32_e32 v2, 24, v45
                                        ; implicit-def: $vgpr45
	s_delay_alu instid0(VALU_DEP_1)
	v_or_b32_e32 v79, 0x7f, v2
; %bb.3421:                             ;   in Loop: Header=BB2_3292 Depth=3
	s_and_not1_saveexec_b32 s43, s43
; %bb.3422:                             ;   in Loop: Header=BB2_3292 Depth=3
	v_cmp_lt_i32_e32 vcc_lo, -1, v45
	v_cndmask_b32_e64 v79, -4, 0x7c, vcc_lo
; %bb.3423:                             ;   in Loop: Header=BB2_3292 Depth=3
	s_or_b32 exec_lo, exec_lo, s43
.LBB2_3424:                             ;   in Loop: Header=BB2_3292 Depth=3
	s_delay_alu instid0(SALU_CYCLE_1)
	s_or_b32 exec_lo, exec_lo, s13
	v_dual_mov_b32 v2, 0 :: v_dual_mov_b32 v43, 0
	s_mov_b32 s13, exec_lo
	v_cmpx_ne_u16_e32 0, v76
	s_cbranch_execz .LBB2_3434
; %bb.3425:                             ;   in Loop: Header=BB2_3292 Depth=3
	v_bfrev_b32_e32 v43, 1
	s_mov_b32 s43, exec_lo
	v_cmpx_ne_u16_e32 0xff80, v76
	s_cbranch_execz .LBB2_3433
; %bb.3426:                             ;   in Loop: Header=BB2_3292 Depth=3
	v_and_b32_e32 v20, 0x7c, v76
	v_and_b32_e32 v45, 3, v76
	s_mov_b32 s72, exec_lo
                                        ; implicit-def: $vgpr43
	s_delay_alu instid0(VALU_DEP_2)
	v_cmpx_ne_u32_e32 0x7c, v20
	s_xor_b32 s72, exec_lo, s72
	s_cbranch_execz .LBB2_3430
; %bb.3427:                             ;   in Loop: Header=BB2_3292 Depth=3
	v_and_b32_e32 v20, 0xff, v76
	s_mov_b32 s73, exec_lo
	s_delay_alu instid0(VALU_DEP_1) | instskip(NEXT) | instid1(VALU_DEP_1)
	v_bfe_u32 v43, v20, 2, 5
	v_cmpx_eq_u32_e32 0, v43
	s_cbranch_execz .LBB2_3429
; %bb.3428:                             ;   in Loop: Header=BB2_3292 Depth=3
	v_clz_i32_u32_e32 v20, v45
	s_delay_alu instid0(VALU_DEP_1) | instskip(SKIP_1) | instid1(VALU_DEP_2)
	v_min_u32_e32 v43, 32, v20
	v_mov_b32_e32 v77, v3
	v_subrev_nc_u32_e32 v20, 29, v43
	v_sub_nc_u32_e32 v43, 30, v43
	s_delay_alu instid0(VALU_DEP_2) | instskip(NEXT) | instid1(VALU_DEP_1)
	v_lshlrev_b64_e32 v[20:21], v20, v[76:77]
	v_and_b32_e32 v45, 3, v20
.LBB2_3429:                             ;   in Loop: Header=BB2_3292 Depth=3
	s_or_b32 exec_lo, exec_lo, s73
	v_bfe_i32 v20, v76, 0, 16
                                        ; implicit-def: $vgpr76
	s_delay_alu instid0(VALU_DEP_1) | instskip(NEXT) | instid1(VALU_DEP_1)
	v_and_b32_e32 v20, 0x80000000, v20
	v_lshl_add_u32 v20, v43, 23, v20
	s_delay_alu instid0(VALU_DEP_1) | instskip(NEXT) | instid1(VALU_DEP_1)
	v_lshl_or_b32 v20, v45, 21, v20
                                        ; implicit-def: $vgpr45
	v_add_nc_u32_e32 v43, 0x38000000, v20
.LBB2_3430:                             ;   in Loop: Header=BB2_3292 Depth=3
	s_and_not1_saveexec_b32 s72, s72
; %bb.3431:                             ;   in Loop: Header=BB2_3292 Depth=3
	v_cmp_lt_i16_e32 vcc_lo, -1, v76
	v_cndmask_b32_e32 v20, 0xff800000, v109, vcc_lo
	v_cmp_eq_u32_e32 vcc_lo, 0, v45
	s_delay_alu instid0(VALU_DEP_2)
	v_cndmask_b32_e32 v43, 0x7f800001, v20, vcc_lo
; %bb.3432:                             ;   in Loop: Header=BB2_3292 Depth=3
	s_or_b32 exec_lo, exec_lo, s72
.LBB2_3433:                             ;   in Loop: Header=BB2_3292 Depth=3
	s_delay_alu instid0(SALU_CYCLE_1)
	s_or_b32 exec_lo, exec_lo, s43
.LBB2_3434:                             ;   in Loop: Header=BB2_3292 Depth=3
	s_delay_alu instid0(SALU_CYCLE_1) | instskip(NEXT) | instid1(SALU_CYCLE_1)
	s_or_b32 exec_lo, exec_lo, s13
	s_mov_b32 s13, exec_lo
	s_wait_loadcnt_dscnt 0x404
	v_cmpx_ne_u16_e32 0, v74
	s_cbranch_execz .LBB2_3444
; %bb.3435:                             ;   in Loop: Header=BB2_3292 Depth=3
	v_bfrev_b32_e32 v2, 1
	s_mov_b32 s43, exec_lo
	v_cmpx_ne_u16_e32 0xff80, v74
	s_cbranch_execz .LBB2_3443
; %bb.3436:                             ;   in Loop: Header=BB2_3292 Depth=3
	v_and_b32_e32 v2, 0x7c, v74
	v_and_b32_e32 v45, 3, v74
	s_delay_alu instid0(VALU_DEP_2) | instskip(SKIP_1) | instid1(SALU_CYCLE_1)
	v_cmp_ne_u32_e32 vcc_lo, 0x7c, v2
                                        ; implicit-def: $vgpr2
	s_and_saveexec_b32 s72, vcc_lo
	s_xor_b32 s72, exec_lo, s72
	s_cbranch_execz .LBB2_3440
; %bb.3437:                             ;   in Loop: Header=BB2_3292 Depth=3
	v_and_b32_e32 v2, 0xff, v74
	s_mov_b32 s73, exec_lo
	s_delay_alu instid0(VALU_DEP_1) | instskip(NEXT) | instid1(VALU_DEP_1)
	v_bfe_u32 v2, v2, 2, 5
	v_cmpx_eq_u32_e32 0, v2
	s_cbranch_execz .LBB2_3439
; %bb.3438:                             ;   in Loop: Header=BB2_3292 Depth=3
	v_clz_i32_u32_e32 v2, v45
	s_delay_alu instid0(VALU_DEP_1) | instskip(SKIP_1) | instid1(VALU_DEP_2)
	v_min_u32_e32 v2, 32, v2
	v_mov_b32_e32 v75, v3
	v_subrev_nc_u32_e32 v20, 29, v2
	v_sub_nc_u32_e32 v2, 30, v2
	s_delay_alu instid0(VALU_DEP_2) | instskip(NEXT) | instid1(VALU_DEP_1)
	v_lshlrev_b64_e32 v[20:21], v20, v[74:75]
	v_and_b32_e32 v45, 3, v20
.LBB2_3439:                             ;   in Loop: Header=BB2_3292 Depth=3
	s_or_b32 exec_lo, exec_lo, s73
	v_bfe_i32 v20, v74, 0, 16
                                        ; implicit-def: $vgpr74
	s_delay_alu instid0(VALU_DEP_1) | instskip(NEXT) | instid1(VALU_DEP_1)
	v_and_b32_e32 v20, 0x80000000, v20
	v_lshl_add_u32 v2, v2, 23, v20
	s_delay_alu instid0(VALU_DEP_1) | instskip(NEXT) | instid1(VALU_DEP_1)
	v_lshl_or_b32 v2, v45, 21, v2
                                        ; implicit-def: $vgpr45
	v_add_nc_u32_e32 v2, 0x38000000, v2
.LBB2_3440:                             ;   in Loop: Header=BB2_3292 Depth=3
	s_and_not1_saveexec_b32 s72, s72
; %bb.3441:                             ;   in Loop: Header=BB2_3292 Depth=3
	v_cmp_lt_i16_e32 vcc_lo, -1, v74
	v_cndmask_b32_e32 v2, 0xff800000, v109, vcc_lo
	v_cmp_eq_u32_e32 vcc_lo, 0, v45
	s_delay_alu instid0(VALU_DEP_2)
	v_cndmask_b32_e32 v2, 0x7f800001, v2, vcc_lo
; %bb.3442:                             ;   in Loop: Header=BB2_3292 Depth=3
	s_or_b32 exec_lo, exec_lo, s72
.LBB2_3443:                             ;   in Loop: Header=BB2_3292 Depth=3
	s_delay_alu instid0(SALU_CYCLE_1)
	s_or_b32 exec_lo, exec_lo, s43
.LBB2_3444:                             ;   in Loop: Header=BB2_3292 Depth=3
	s_delay_alu instid0(SALU_CYCLE_1) | instskip(NEXT) | instid1(VALU_DEP_1)
	s_or_b32 exec_lo, exec_lo, s13
	v_mul_f32_e32 v45, v43, v2
	v_mov_b32_e32 v21, v3
                                        ; implicit-def: $vgpr75
	s_mov_b32 s13, exec_lo
	s_delay_alu instid0(VALU_DEP_2) | instskip(SKIP_1) | instid1(VALU_DEP_2)
	v_and_b32_e32 v20, 0x7f800000, v45
	v_and_b32_e32 v2, 0x7fffff, v45
	v_cmpx_ne_u64_e32 0x7f800000, v[20:21]
	s_xor_b32 s43, exec_lo, s13
	s_cbranch_execz .LBB2_3462
; %bb.3445:                             ;   in Loop: Header=BB2_3292 Depth=3
	v_dual_mov_b32 v21, v3 :: v_dual_lshrrev_b32 v43, 24, v45
	v_and_b32_e32 v20, 0x7fffffff, v45
                                        ; implicit-def: $vgpr75
	s_mov_b32 s13, exec_lo
	s_delay_alu instid0(VALU_DEP_2) | instskip(NEXT) | instid1(VALU_DEP_2)
	v_and_b32_e32 v43, 0x80, v43
	v_cmpx_gt_u64_e32 0x47600001, v[20:21]
	s_xor_b32 s72, exec_lo, s13
	s_cbranch_execz .LBB2_3459
; %bb.3446:                             ;   in Loop: Header=BB2_3292 Depth=3
	v_mov_b32_e32 v75, 0
	s_mov_b32 s73, exec_lo
	v_cmpx_ne_u32_e32 0, v45
	s_cbranch_execz .LBB2_3458
; %bb.3447:                             ;   in Loop: Header=BB2_3292 Depth=3
	v_bfe_u32 v45, v45, 23, 8
	v_or_b32_e32 v57, 0x800000, v2
	s_delay_alu instid0(VALU_DEP_2) | instskip(SKIP_1) | instid1(VALU_DEP_2)
	v_sub_nc_u32_e32 v20, 0x71, v45
	v_cmp_gt_u32_e32 vcc_lo, 0x72, v45
	v_cndmask_b32_e32 v20, 0, v20, vcc_lo
	v_cmp_eq_u32_e32 vcc_lo, 0, v45
	s_delay_alu instid0(VALU_DEP_2) | instskip(NEXT) | instid1(VALU_DEP_1)
	v_cndmask_b32_e64 v47, v20, 0x70, vcc_lo
	v_dual_cndmask_b32 v2, v57, v2, vcc_lo :: v_dual_add_nc_u32 v20, 21, v47
	v_add_nc_u32_e32 v59, 20, v47
	s_delay_alu instid0(VALU_DEP_2) | instskip(NEXT) | instid1(VALU_DEP_3)
	v_lshrrev_b64 v[74:75], v47, v[2:3]
	v_lshlrev_b64_e64 v[20:21], v20, -1
	s_delay_alu instid0(VALU_DEP_3) | instskip(NEXT) | instid1(VALU_DEP_2)
	v_lshlrev_b64_e64 v[76:77], v59, 1
	v_bfi_b32 v21, v21, 0, 0
	s_delay_alu instid0(VALU_DEP_3) | instskip(NEXT) | instid1(VALU_DEP_1)
	v_bfi_b32 v20, v20, 0, v2
	v_cmp_eq_u64_e64 s13, v[20:21], v[76:77]
	v_mov_b64_e32 v[76:77], v[74:75]
	s_and_saveexec_b32 s74, s13
; %bb.3448:                             ;   in Loop: Header=BB2_3292 Depth=3
	v_bfe_u32 v2, v74, 21, 1
	s_delay_alu instid0(VALU_DEP_1) | instskip(NEXT) | instid1(VALU_DEP_1)
	v_add_nc_u64_e32 v[20:21], v[74:75], v[2:3]
	v_add_nc_u64_e32 v[76:77], -1, v[20:21]
; %bb.3449:                             ;   in Loop: Header=BB2_3292 Depth=3
	s_or_b32 exec_lo, exec_lo, s74
	v_add_nc_u32_e32 v2, 0xffffff81, v45
	v_lshrrev_b32_e32 v20, 23, v74
	s_mov_b32 s13, exec_lo
                                        ; implicit-def: $vgpr45
	s_delay_alu instid0(VALU_DEP_2) | instskip(NEXT) | instid1(VALU_DEP_1)
	v_cndmask_b32_e64 v2, v2, 0xffffff82, vcc_lo
	v_add3_u32 v47, v47, v2, v20
	v_and_b32_e32 v2, 0x1fffff, v76
	s_delay_alu instid0(VALU_DEP_1) | instskip(NEXT) | instid1(VALU_DEP_1)
	v_dual_add_nc_u32 v57, 14, v47 :: v_dual_add_nc_u32 v2, v2, v74
                                        ; implicit-def: $vgpr74_vgpr75
	v_cmpx_ne_u32_e32 0, v57
	s_xor_b32 s13, exec_lo, s13
; %bb.3450:                             ;   in Loop: Header=BB2_3292 Depth=3
	s_delay_alu instid0(VALU_DEP_2) | instskip(SKIP_1) | instid1(VALU_DEP_1)
	v_cmp_lt_u64_e32 vcc_lo, 0xffffff, v[2:3]
	v_add_nc_u32_e32 v20, 15, v47
	v_cndmask_b32_e32 v45, v57, v20, vcc_lo
	v_cndmask_b32_e64 v20, 0, 1, vcc_lo
	s_delay_alu instid0(VALU_DEP_1)
	v_lshrrev_b64 v[74:75], v20, v[2:3]
; %bb.3451:                             ;   in Loop: Header=BB2_3292 Depth=3
	s_and_not1_saveexec_b32 s13, s13
; %bb.3452:                             ;   in Loop: Header=BB2_3292 Depth=3
	v_mov_b64_e32 v[74:75], v[2:3]
	v_bfe_u32 v45, v2, 23, 1
; %bb.3453:                             ;   in Loop: Header=BB2_3292 Depth=3
	s_or_b32 exec_lo, exec_lo, s13
	s_delay_alu instid0(VALU_DEP_2) | instskip(NEXT) | instid1(VALU_DEP_2)
	v_lshrrev_b64 v[20:21], 21, v[74:75]
	v_cmp_gt_i32_e32 vcc_lo, 32, v45
	v_cmp_ne_u32_e64 s13, 0, v45
	s_delay_alu instid0(VALU_DEP_3) | instskip(NEXT) | instid1(VALU_DEP_1)
	v_dual_cndmask_b32 v75, 0, v21 :: v_dual_cndmask_b32 v74, 3, v20
	v_cmp_ne_u64_e32 vcc_lo, 0, v[74:75]
                                        ; implicit-def: $vgpr75
	s_or_b32 s13, s13, vcc_lo
	s_delay_alu instid0(SALU_CYCLE_1) | instskip(NEXT) | instid1(SALU_CYCLE_1)
	s_and_saveexec_b32 s74, s13
	s_xor_b32 s13, exec_lo, s74
; %bb.3454:                             ;   in Loop: Header=BB2_3292 Depth=3
	v_min_i32_e32 v2, 31, v45
	s_delay_alu instid0(VALU_DEP_1) | instskip(NEXT) | instid1(VALU_DEP_1)
	v_lshl_or_b32 v2, v2, 2, v43
                                        ; implicit-def: $vgpr43
	v_and_or_b32 v75, v74, 3, v2
; %bb.3455:                             ;   in Loop: Header=BB2_3292 Depth=3
	s_and_not1_saveexec_b32 s13, s13
; %bb.3456:                             ;   in Loop: Header=BB2_3292 Depth=3
	v_mov_b32_e32 v75, v43
; %bb.3457:                             ;   in Loop: Header=BB2_3292 Depth=3
	s_or_b32 exec_lo, exec_lo, s13
.LBB2_3458:                             ;   in Loop: Header=BB2_3292 Depth=3
	s_delay_alu instid0(SALU_CYCLE_1)
	s_or_b32 exec_lo, exec_lo, s73
                                        ; implicit-def: $vgpr43
.LBB2_3459:                             ;   in Loop: Header=BB2_3292 Depth=3
	s_and_not1_saveexec_b32 s13, s72
; %bb.3460:                             ;   in Loop: Header=BB2_3292 Depth=3
	v_or_b32_e32 v75, 0x7b, v43
; %bb.3461:                             ;   in Loop: Header=BB2_3292 Depth=3
	s_or_b32 exec_lo, exec_lo, s13
                                        ; implicit-def: $vgpr45
.LBB2_3462:                             ;   in Loop: Header=BB2_3292 Depth=3
	s_and_not1_saveexec_b32 s13, s43
	s_cbranch_execz .LBB2_3468
; %bb.3463:                             ;   in Loop: Header=BB2_3292 Depth=3
	s_mov_b32 s43, exec_lo
                                        ; implicit-def: $vgpr75
	v_cmpx_ne_u64_e32 0, v[2:3]
	s_xor_b32 s43, exec_lo, s43
; %bb.3464:                             ;   in Loop: Header=BB2_3292 Depth=3
	v_lshrrev_b32_e32 v2, 24, v45
                                        ; implicit-def: $vgpr45
	s_delay_alu instid0(VALU_DEP_1)
	v_or_b32_e32 v75, 0x7f, v2
; %bb.3465:                             ;   in Loop: Header=BB2_3292 Depth=3
	s_and_not1_saveexec_b32 s43, s43
; %bb.3466:                             ;   in Loop: Header=BB2_3292 Depth=3
	v_cmp_lt_i32_e32 vcc_lo, -1, v45
	v_cndmask_b32_e64 v75, -4, 0x7c, vcc_lo
; %bb.3467:                             ;   in Loop: Header=BB2_3292 Depth=3
	s_or_b32 exec_lo, exec_lo, s43
.LBB2_3468:                             ;   in Loop: Header=BB2_3292 Depth=3
	s_delay_alu instid0(SALU_CYCLE_1)
	s_or_b32 exec_lo, exec_lo, s13
	v_dual_mov_b32 v2, 0 :: v_dual_mov_b32 v43, 0
	s_mov_b32 s13, exec_lo
	v_cmpx_ne_u16_e32 0, v72
	s_cbranch_execz .LBB2_3478
; %bb.3469:                             ;   in Loop: Header=BB2_3292 Depth=3
	v_bfrev_b32_e32 v43, 1
	s_mov_b32 s43, exec_lo
	v_cmpx_ne_u16_e32 0xff80, v72
	s_cbranch_execz .LBB2_3477
; %bb.3470:                             ;   in Loop: Header=BB2_3292 Depth=3
	v_and_b32_e32 v20, 0x7c, v72
	v_and_b32_e32 v45, 3, v72
	s_mov_b32 s72, exec_lo
                                        ; implicit-def: $vgpr43
	s_delay_alu instid0(VALU_DEP_2)
	v_cmpx_ne_u32_e32 0x7c, v20
	s_xor_b32 s72, exec_lo, s72
	s_cbranch_execz .LBB2_3474
; %bb.3471:                             ;   in Loop: Header=BB2_3292 Depth=3
	v_and_b32_e32 v20, 0xff, v72
	s_mov_b32 s73, exec_lo
	s_delay_alu instid0(VALU_DEP_1) | instskip(NEXT) | instid1(VALU_DEP_1)
	v_bfe_u32 v43, v20, 2, 5
	v_cmpx_eq_u32_e32 0, v43
	s_cbranch_execz .LBB2_3473
; %bb.3472:                             ;   in Loop: Header=BB2_3292 Depth=3
	v_clz_i32_u32_e32 v20, v45
	s_delay_alu instid0(VALU_DEP_1) | instskip(SKIP_1) | instid1(VALU_DEP_2)
	v_min_u32_e32 v43, 32, v20
	v_mov_b32_e32 v73, v3
	v_subrev_nc_u32_e32 v20, 29, v43
	v_sub_nc_u32_e32 v43, 30, v43
	s_delay_alu instid0(VALU_DEP_2) | instskip(NEXT) | instid1(VALU_DEP_1)
	v_lshlrev_b64_e32 v[20:21], v20, v[72:73]
	v_and_b32_e32 v45, 3, v20
.LBB2_3473:                             ;   in Loop: Header=BB2_3292 Depth=3
	s_or_b32 exec_lo, exec_lo, s73
	v_bfe_i32 v20, v72, 0, 16
                                        ; implicit-def: $vgpr72
	s_delay_alu instid0(VALU_DEP_1) | instskip(NEXT) | instid1(VALU_DEP_1)
	v_and_b32_e32 v20, 0x80000000, v20
	v_lshl_add_u32 v20, v43, 23, v20
	s_delay_alu instid0(VALU_DEP_1) | instskip(NEXT) | instid1(VALU_DEP_1)
	v_lshl_or_b32 v20, v45, 21, v20
                                        ; implicit-def: $vgpr45
	v_add_nc_u32_e32 v43, 0x38000000, v20
.LBB2_3474:                             ;   in Loop: Header=BB2_3292 Depth=3
	s_and_not1_saveexec_b32 s72, s72
; %bb.3475:                             ;   in Loop: Header=BB2_3292 Depth=3
	v_cmp_lt_i16_e32 vcc_lo, -1, v72
	v_cndmask_b32_e32 v20, 0xff800000, v109, vcc_lo
	v_cmp_eq_u32_e32 vcc_lo, 0, v45
	s_delay_alu instid0(VALU_DEP_2)
	v_cndmask_b32_e32 v43, 0x7f800001, v20, vcc_lo
; %bb.3476:                             ;   in Loop: Header=BB2_3292 Depth=3
	s_or_b32 exec_lo, exec_lo, s72
.LBB2_3477:                             ;   in Loop: Header=BB2_3292 Depth=3
	s_delay_alu instid0(SALU_CYCLE_1)
	s_or_b32 exec_lo, exec_lo, s43
.LBB2_3478:                             ;   in Loop: Header=BB2_3292 Depth=3
	s_delay_alu instid0(SALU_CYCLE_1) | instskip(NEXT) | instid1(SALU_CYCLE_1)
	s_or_b32 exec_lo, exec_lo, s13
	s_mov_b32 s13, exec_lo
	s_wait_loadcnt_dscnt 0x303
	v_cmpx_ne_u16_e32 0, v62
	s_cbranch_execz .LBB2_3488
; %bb.3479:                             ;   in Loop: Header=BB2_3292 Depth=3
	v_bfrev_b32_e32 v2, 1
	s_mov_b32 s43, exec_lo
	v_cmpx_ne_u16_e32 0xff80, v62
	s_cbranch_execz .LBB2_3487
; %bb.3480:                             ;   in Loop: Header=BB2_3292 Depth=3
	v_and_b32_e32 v2, 0x7c, v62
	v_and_b32_e32 v45, 3, v62
	s_delay_alu instid0(VALU_DEP_2) | instskip(SKIP_1) | instid1(SALU_CYCLE_1)
	v_cmp_ne_u32_e32 vcc_lo, 0x7c, v2
                                        ; implicit-def: $vgpr2
	s_and_saveexec_b32 s72, vcc_lo
	s_xor_b32 s72, exec_lo, s72
	s_cbranch_execz .LBB2_3484
; %bb.3481:                             ;   in Loop: Header=BB2_3292 Depth=3
	v_and_b32_e32 v2, 0xff, v62
	s_mov_b32 s73, exec_lo
	s_delay_alu instid0(VALU_DEP_1) | instskip(NEXT) | instid1(VALU_DEP_1)
	v_bfe_u32 v2, v2, 2, 5
	v_cmpx_eq_u32_e32 0, v2
	s_cbranch_execz .LBB2_3483
; %bb.3482:                             ;   in Loop: Header=BB2_3292 Depth=3
	v_clz_i32_u32_e32 v2, v45
	s_delay_alu instid0(VALU_DEP_1) | instskip(SKIP_1) | instid1(VALU_DEP_2)
	v_min_u32_e32 v2, 32, v2
	v_mov_b32_e32 v63, v3
	v_subrev_nc_u32_e32 v20, 29, v2
	v_sub_nc_u32_e32 v2, 30, v2
	s_delay_alu instid0(VALU_DEP_2) | instskip(NEXT) | instid1(VALU_DEP_1)
	v_lshlrev_b64_e32 v[20:21], v20, v[62:63]
	v_and_b32_e32 v45, 3, v20
.LBB2_3483:                             ;   in Loop: Header=BB2_3292 Depth=3
	s_or_b32 exec_lo, exec_lo, s73
	v_bfe_i32 v20, v62, 0, 16
                                        ; implicit-def: $vgpr62
	s_delay_alu instid0(VALU_DEP_1) | instskip(NEXT) | instid1(VALU_DEP_1)
	v_and_b32_e32 v20, 0x80000000, v20
	v_lshl_add_u32 v2, v2, 23, v20
	s_delay_alu instid0(VALU_DEP_1) | instskip(NEXT) | instid1(VALU_DEP_1)
	v_lshl_or_b32 v2, v45, 21, v2
                                        ; implicit-def: $vgpr45
	v_add_nc_u32_e32 v2, 0x38000000, v2
.LBB2_3484:                             ;   in Loop: Header=BB2_3292 Depth=3
	s_and_not1_saveexec_b32 s72, s72
; %bb.3485:                             ;   in Loop: Header=BB2_3292 Depth=3
	v_cmp_lt_i16_e32 vcc_lo, -1, v62
	v_cndmask_b32_e32 v2, 0xff800000, v109, vcc_lo
	v_cmp_eq_u32_e32 vcc_lo, 0, v45
	s_delay_alu instid0(VALU_DEP_2)
	v_cndmask_b32_e32 v2, 0x7f800001, v2, vcc_lo
; %bb.3486:                             ;   in Loop: Header=BB2_3292 Depth=3
	s_or_b32 exec_lo, exec_lo, s72
.LBB2_3487:                             ;   in Loop: Header=BB2_3292 Depth=3
	s_delay_alu instid0(SALU_CYCLE_1)
	s_or_b32 exec_lo, exec_lo, s43
.LBB2_3488:                             ;   in Loop: Header=BB2_3292 Depth=3
	s_delay_alu instid0(SALU_CYCLE_1) | instskip(NEXT) | instid1(VALU_DEP_1)
	s_or_b32 exec_lo, exec_lo, s13
	v_mul_f32_e32 v45, v43, v2
	v_mov_b32_e32 v21, v3
                                        ; implicit-def: $vgpr63
	s_mov_b32 s13, exec_lo
	s_delay_alu instid0(VALU_DEP_2) | instskip(SKIP_1) | instid1(VALU_DEP_2)
	v_and_b32_e32 v20, 0x7f800000, v45
	v_and_b32_e32 v2, 0x7fffff, v45
	v_cmpx_ne_u64_e32 0x7f800000, v[20:21]
	s_xor_b32 s43, exec_lo, s13
	s_cbranch_execz .LBB2_3506
; %bb.3489:                             ;   in Loop: Header=BB2_3292 Depth=3
	v_dual_mov_b32 v21, v3 :: v_dual_lshrrev_b32 v43, 24, v45
	v_and_b32_e32 v20, 0x7fffffff, v45
                                        ; implicit-def: $vgpr63
	s_mov_b32 s13, exec_lo
	s_delay_alu instid0(VALU_DEP_2) | instskip(NEXT) | instid1(VALU_DEP_2)
	v_and_b32_e32 v43, 0x80, v43
	v_cmpx_gt_u64_e32 0x47600001, v[20:21]
	s_xor_b32 s72, exec_lo, s13
	s_cbranch_execz .LBB2_3503
; %bb.3490:                             ;   in Loop: Header=BB2_3292 Depth=3
	v_mov_b32_e32 v63, 0
	s_mov_b32 s73, exec_lo
	v_cmpx_ne_u32_e32 0, v45
	s_cbranch_execz .LBB2_3502
; %bb.3491:                             ;   in Loop: Header=BB2_3292 Depth=3
	v_bfe_u32 v45, v45, 23, 8
	v_or_b32_e32 v57, 0x800000, v2
	s_delay_alu instid0(VALU_DEP_2) | instskip(SKIP_1) | instid1(VALU_DEP_2)
	v_sub_nc_u32_e32 v20, 0x71, v45
	v_cmp_gt_u32_e32 vcc_lo, 0x72, v45
	v_cndmask_b32_e32 v20, 0, v20, vcc_lo
	v_cmp_eq_u32_e32 vcc_lo, 0, v45
	s_delay_alu instid0(VALU_DEP_2) | instskip(NEXT) | instid1(VALU_DEP_1)
	v_cndmask_b32_e64 v47, v20, 0x70, vcc_lo
	v_dual_cndmask_b32 v2, v57, v2, vcc_lo :: v_dual_add_nc_u32 v20, 21, v47
	v_add_nc_u32_e32 v59, 20, v47
	s_delay_alu instid0(VALU_DEP_2) | instskip(NEXT) | instid1(VALU_DEP_3)
	v_lshrrev_b64 v[62:63], v47, v[2:3]
	v_lshlrev_b64_e64 v[20:21], v20, -1
	s_delay_alu instid0(VALU_DEP_3) | instskip(NEXT) | instid1(VALU_DEP_2)
	v_lshlrev_b64_e64 v[72:73], v59, 1
	v_bfi_b32 v21, v21, 0, 0
	s_delay_alu instid0(VALU_DEP_3) | instskip(NEXT) | instid1(VALU_DEP_1)
	v_bfi_b32 v20, v20, 0, v2
	v_cmp_eq_u64_e64 s13, v[20:21], v[72:73]
	v_mov_b64_e32 v[72:73], v[62:63]
	s_and_saveexec_b32 s74, s13
; %bb.3492:                             ;   in Loop: Header=BB2_3292 Depth=3
	v_bfe_u32 v2, v62, 21, 1
	s_delay_alu instid0(VALU_DEP_1) | instskip(NEXT) | instid1(VALU_DEP_1)
	v_add_nc_u64_e32 v[20:21], v[62:63], v[2:3]
	v_add_nc_u64_e32 v[72:73], -1, v[20:21]
; %bb.3493:                             ;   in Loop: Header=BB2_3292 Depth=3
	s_or_b32 exec_lo, exec_lo, s74
	v_add_nc_u32_e32 v2, 0xffffff81, v45
	v_lshrrev_b32_e32 v20, 23, v62
	s_mov_b32 s13, exec_lo
                                        ; implicit-def: $vgpr45
	s_delay_alu instid0(VALU_DEP_2) | instskip(NEXT) | instid1(VALU_DEP_1)
	v_cndmask_b32_e64 v2, v2, 0xffffff82, vcc_lo
	v_add3_u32 v47, v47, v2, v20
	v_and_b32_e32 v2, 0x1fffff, v72
	s_delay_alu instid0(VALU_DEP_1) | instskip(NEXT) | instid1(VALU_DEP_1)
	v_dual_add_nc_u32 v57, 14, v47 :: v_dual_add_nc_u32 v2, v2, v62
                                        ; implicit-def: $vgpr62_vgpr63
	v_cmpx_ne_u32_e32 0, v57
	s_xor_b32 s13, exec_lo, s13
; %bb.3494:                             ;   in Loop: Header=BB2_3292 Depth=3
	s_delay_alu instid0(VALU_DEP_2) | instskip(SKIP_1) | instid1(VALU_DEP_1)
	v_cmp_lt_u64_e32 vcc_lo, 0xffffff, v[2:3]
	v_add_nc_u32_e32 v20, 15, v47
	v_cndmask_b32_e32 v45, v57, v20, vcc_lo
	v_cndmask_b32_e64 v20, 0, 1, vcc_lo
	s_delay_alu instid0(VALU_DEP_1)
	v_lshrrev_b64 v[62:63], v20, v[2:3]
; %bb.3495:                             ;   in Loop: Header=BB2_3292 Depth=3
	s_and_not1_saveexec_b32 s13, s13
; %bb.3496:                             ;   in Loop: Header=BB2_3292 Depth=3
	v_mov_b64_e32 v[62:63], v[2:3]
	v_bfe_u32 v45, v2, 23, 1
; %bb.3497:                             ;   in Loop: Header=BB2_3292 Depth=3
	s_or_b32 exec_lo, exec_lo, s13
	s_delay_alu instid0(VALU_DEP_2) | instskip(NEXT) | instid1(VALU_DEP_2)
	v_lshrrev_b64 v[20:21], 21, v[62:63]
	v_cmp_gt_i32_e32 vcc_lo, 32, v45
	v_cmp_ne_u32_e64 s13, 0, v45
	s_delay_alu instid0(VALU_DEP_3) | instskip(NEXT) | instid1(VALU_DEP_1)
	v_dual_cndmask_b32 v63, 0, v21 :: v_dual_cndmask_b32 v62, 3, v20
	v_cmp_ne_u64_e32 vcc_lo, 0, v[62:63]
                                        ; implicit-def: $vgpr63
	s_or_b32 s13, s13, vcc_lo
	s_delay_alu instid0(SALU_CYCLE_1) | instskip(NEXT) | instid1(SALU_CYCLE_1)
	s_and_saveexec_b32 s74, s13
	s_xor_b32 s13, exec_lo, s74
; %bb.3498:                             ;   in Loop: Header=BB2_3292 Depth=3
	v_min_i32_e32 v2, 31, v45
	s_delay_alu instid0(VALU_DEP_1) | instskip(NEXT) | instid1(VALU_DEP_1)
	v_lshl_or_b32 v2, v2, 2, v43
                                        ; implicit-def: $vgpr43
	v_and_or_b32 v63, v62, 3, v2
; %bb.3499:                             ;   in Loop: Header=BB2_3292 Depth=3
	s_and_not1_saveexec_b32 s13, s13
; %bb.3500:                             ;   in Loop: Header=BB2_3292 Depth=3
	v_mov_b32_e32 v63, v43
; %bb.3501:                             ;   in Loop: Header=BB2_3292 Depth=3
	s_or_b32 exec_lo, exec_lo, s13
.LBB2_3502:                             ;   in Loop: Header=BB2_3292 Depth=3
	s_delay_alu instid0(SALU_CYCLE_1)
	s_or_b32 exec_lo, exec_lo, s73
                                        ; implicit-def: $vgpr43
.LBB2_3503:                             ;   in Loop: Header=BB2_3292 Depth=3
	s_and_not1_saveexec_b32 s13, s72
; %bb.3504:                             ;   in Loop: Header=BB2_3292 Depth=3
	v_or_b32_e32 v63, 0x7b, v43
; %bb.3505:                             ;   in Loop: Header=BB2_3292 Depth=3
	s_or_b32 exec_lo, exec_lo, s13
                                        ; implicit-def: $vgpr45
.LBB2_3506:                             ;   in Loop: Header=BB2_3292 Depth=3
	s_and_not1_saveexec_b32 s13, s43
	s_cbranch_execz .LBB2_3512
; %bb.3507:                             ;   in Loop: Header=BB2_3292 Depth=3
	s_mov_b32 s43, exec_lo
                                        ; implicit-def: $vgpr63
	v_cmpx_ne_u64_e32 0, v[2:3]
	s_xor_b32 s43, exec_lo, s43
; %bb.3508:                             ;   in Loop: Header=BB2_3292 Depth=3
	v_lshrrev_b32_e32 v2, 24, v45
                                        ; implicit-def: $vgpr45
	s_delay_alu instid0(VALU_DEP_1)
	v_or_b32_e32 v63, 0x7f, v2
; %bb.3509:                             ;   in Loop: Header=BB2_3292 Depth=3
	s_and_not1_saveexec_b32 s43, s43
; %bb.3510:                             ;   in Loop: Header=BB2_3292 Depth=3
	v_cmp_lt_i32_e32 vcc_lo, -1, v45
	v_cndmask_b32_e64 v63, -4, 0x7c, vcc_lo
; %bb.3511:                             ;   in Loop: Header=BB2_3292 Depth=3
	s_or_b32 exec_lo, exec_lo, s43
.LBB2_3512:                             ;   in Loop: Header=BB2_3292 Depth=3
	s_delay_alu instid0(SALU_CYCLE_1)
	s_or_b32 exec_lo, exec_lo, s13
	v_dual_mov_b32 v2, 0 :: v_dual_mov_b32 v43, 0
	s_mov_b32 s13, exec_lo
	v_cmpx_ne_u16_e32 0, v60
	s_cbranch_execz .LBB2_3522
; %bb.3513:                             ;   in Loop: Header=BB2_3292 Depth=3
	v_bfrev_b32_e32 v43, 1
	s_mov_b32 s43, exec_lo
	v_cmpx_ne_u16_e32 0xff80, v60
	s_cbranch_execz .LBB2_3521
; %bb.3514:                             ;   in Loop: Header=BB2_3292 Depth=3
	v_and_b32_e32 v20, 0x7c, v60
	v_and_b32_e32 v45, 3, v60
	s_mov_b32 s72, exec_lo
                                        ; implicit-def: $vgpr43
	s_delay_alu instid0(VALU_DEP_2)
	v_cmpx_ne_u32_e32 0x7c, v20
	s_xor_b32 s72, exec_lo, s72
	s_cbranch_execz .LBB2_3518
; %bb.3515:                             ;   in Loop: Header=BB2_3292 Depth=3
	v_and_b32_e32 v20, 0xff, v60
	s_mov_b32 s73, exec_lo
	s_delay_alu instid0(VALU_DEP_1) | instskip(NEXT) | instid1(VALU_DEP_1)
	v_bfe_u32 v43, v20, 2, 5
	v_cmpx_eq_u32_e32 0, v43
	s_cbranch_execz .LBB2_3517
; %bb.3516:                             ;   in Loop: Header=BB2_3292 Depth=3
	v_clz_i32_u32_e32 v20, v45
	s_delay_alu instid0(VALU_DEP_1) | instskip(SKIP_1) | instid1(VALU_DEP_2)
	v_min_u32_e32 v43, 32, v20
	v_mov_b32_e32 v61, v3
	v_subrev_nc_u32_e32 v20, 29, v43
	v_sub_nc_u32_e32 v43, 30, v43
	s_delay_alu instid0(VALU_DEP_2) | instskip(NEXT) | instid1(VALU_DEP_1)
	v_lshlrev_b64_e32 v[20:21], v20, v[60:61]
	v_and_b32_e32 v45, 3, v20
.LBB2_3517:                             ;   in Loop: Header=BB2_3292 Depth=3
	s_or_b32 exec_lo, exec_lo, s73
	v_bfe_i32 v20, v60, 0, 16
                                        ; implicit-def: $vgpr60
	s_delay_alu instid0(VALU_DEP_1) | instskip(NEXT) | instid1(VALU_DEP_1)
	v_and_b32_e32 v20, 0x80000000, v20
	v_lshl_add_u32 v20, v43, 23, v20
	s_delay_alu instid0(VALU_DEP_1) | instskip(NEXT) | instid1(VALU_DEP_1)
	v_lshl_or_b32 v20, v45, 21, v20
                                        ; implicit-def: $vgpr45
	v_add_nc_u32_e32 v43, 0x38000000, v20
.LBB2_3518:                             ;   in Loop: Header=BB2_3292 Depth=3
	s_and_not1_saveexec_b32 s72, s72
; %bb.3519:                             ;   in Loop: Header=BB2_3292 Depth=3
	v_cmp_lt_i16_e32 vcc_lo, -1, v60
	v_cndmask_b32_e32 v20, 0xff800000, v109, vcc_lo
	v_cmp_eq_u32_e32 vcc_lo, 0, v45
	s_delay_alu instid0(VALU_DEP_2)
	v_cndmask_b32_e32 v43, 0x7f800001, v20, vcc_lo
; %bb.3520:                             ;   in Loop: Header=BB2_3292 Depth=3
	s_or_b32 exec_lo, exec_lo, s72
.LBB2_3521:                             ;   in Loop: Header=BB2_3292 Depth=3
	s_delay_alu instid0(SALU_CYCLE_1)
	s_or_b32 exec_lo, exec_lo, s43
.LBB2_3522:                             ;   in Loop: Header=BB2_3292 Depth=3
	s_delay_alu instid0(SALU_CYCLE_1) | instskip(NEXT) | instid1(SALU_CYCLE_1)
	s_or_b32 exec_lo, exec_lo, s13
	s_mov_b32 s13, exec_lo
	s_wait_loadcnt_dscnt 0x202
	v_cmpx_ne_u16_e32 0, v58
	s_cbranch_execz .LBB2_3532
; %bb.3523:                             ;   in Loop: Header=BB2_3292 Depth=3
	v_bfrev_b32_e32 v2, 1
	s_mov_b32 s43, exec_lo
	v_cmpx_ne_u16_e32 0xff80, v58
	s_cbranch_execz .LBB2_3531
; %bb.3524:                             ;   in Loop: Header=BB2_3292 Depth=3
	v_and_b32_e32 v2, 0x7c, v58
	v_and_b32_e32 v45, 3, v58
	s_delay_alu instid0(VALU_DEP_2) | instskip(SKIP_1) | instid1(SALU_CYCLE_1)
	v_cmp_ne_u32_e32 vcc_lo, 0x7c, v2
                                        ; implicit-def: $vgpr2
	s_and_saveexec_b32 s72, vcc_lo
	s_xor_b32 s72, exec_lo, s72
	s_cbranch_execz .LBB2_3528
; %bb.3525:                             ;   in Loop: Header=BB2_3292 Depth=3
	v_and_b32_e32 v2, 0xff, v58
	s_mov_b32 s73, exec_lo
	s_delay_alu instid0(VALU_DEP_1) | instskip(NEXT) | instid1(VALU_DEP_1)
	v_bfe_u32 v2, v2, 2, 5
	v_cmpx_eq_u32_e32 0, v2
	s_cbranch_execz .LBB2_3527
; %bb.3526:                             ;   in Loop: Header=BB2_3292 Depth=3
	v_clz_i32_u32_e32 v2, v45
	s_delay_alu instid0(VALU_DEP_1) | instskip(SKIP_1) | instid1(VALU_DEP_2)
	v_min_u32_e32 v2, 32, v2
	v_mov_b32_e32 v59, v3
	v_subrev_nc_u32_e32 v20, 29, v2
	v_sub_nc_u32_e32 v2, 30, v2
	s_delay_alu instid0(VALU_DEP_2) | instskip(NEXT) | instid1(VALU_DEP_1)
	v_lshlrev_b64_e32 v[20:21], v20, v[58:59]
	v_and_b32_e32 v45, 3, v20
.LBB2_3527:                             ;   in Loop: Header=BB2_3292 Depth=3
	s_or_b32 exec_lo, exec_lo, s73
	v_bfe_i32 v20, v58, 0, 16
                                        ; implicit-def: $vgpr58
	s_delay_alu instid0(VALU_DEP_1) | instskip(NEXT) | instid1(VALU_DEP_1)
	v_and_b32_e32 v20, 0x80000000, v20
	v_lshl_add_u32 v2, v2, 23, v20
	s_delay_alu instid0(VALU_DEP_1) | instskip(NEXT) | instid1(VALU_DEP_1)
	v_lshl_or_b32 v2, v45, 21, v2
                                        ; implicit-def: $vgpr45
	v_add_nc_u32_e32 v2, 0x38000000, v2
.LBB2_3528:                             ;   in Loop: Header=BB2_3292 Depth=3
	s_and_not1_saveexec_b32 s72, s72
; %bb.3529:                             ;   in Loop: Header=BB2_3292 Depth=3
	v_cmp_lt_i16_e32 vcc_lo, -1, v58
	v_cndmask_b32_e32 v2, 0xff800000, v109, vcc_lo
	v_cmp_eq_u32_e32 vcc_lo, 0, v45
	s_delay_alu instid0(VALU_DEP_2)
	v_cndmask_b32_e32 v2, 0x7f800001, v2, vcc_lo
; %bb.3530:                             ;   in Loop: Header=BB2_3292 Depth=3
	s_or_b32 exec_lo, exec_lo, s72
.LBB2_3531:                             ;   in Loop: Header=BB2_3292 Depth=3
	s_delay_alu instid0(SALU_CYCLE_1)
	s_or_b32 exec_lo, exec_lo, s43
.LBB2_3532:                             ;   in Loop: Header=BB2_3292 Depth=3
	s_delay_alu instid0(SALU_CYCLE_1) | instskip(NEXT) | instid1(VALU_DEP_1)
	s_or_b32 exec_lo, exec_lo, s13
	v_mul_f32_e32 v45, v43, v2
	v_mov_b32_e32 v21, v3
                                        ; implicit-def: $vgpr59
	s_mov_b32 s13, exec_lo
	s_delay_alu instid0(VALU_DEP_2) | instskip(SKIP_1) | instid1(VALU_DEP_2)
	v_and_b32_e32 v20, 0x7f800000, v45
	v_and_b32_e32 v2, 0x7fffff, v45
	v_cmpx_ne_u64_e32 0x7f800000, v[20:21]
	s_xor_b32 s43, exec_lo, s13
	s_cbranch_execz .LBB2_3550
; %bb.3533:                             ;   in Loop: Header=BB2_3292 Depth=3
	v_dual_mov_b32 v21, v3 :: v_dual_lshrrev_b32 v43, 24, v45
	v_and_b32_e32 v20, 0x7fffffff, v45
                                        ; implicit-def: $vgpr59
	s_mov_b32 s13, exec_lo
	s_delay_alu instid0(VALU_DEP_2) | instskip(NEXT) | instid1(VALU_DEP_2)
	v_and_b32_e32 v43, 0x80, v43
	v_cmpx_gt_u64_e32 0x47600001, v[20:21]
	s_xor_b32 s72, exec_lo, s13
	s_cbranch_execz .LBB2_3547
; %bb.3534:                             ;   in Loop: Header=BB2_3292 Depth=3
	v_mov_b32_e32 v59, 0
	s_mov_b32 s73, exec_lo
	v_cmpx_ne_u32_e32 0, v45
	s_cbranch_execz .LBB2_3546
; %bb.3535:                             ;   in Loop: Header=BB2_3292 Depth=3
	v_bfe_u32 v45, v45, 23, 8
	v_or_b32_e32 v57, 0x800000, v2
	s_delay_alu instid0(VALU_DEP_2) | instskip(SKIP_1) | instid1(VALU_DEP_2)
	v_sub_nc_u32_e32 v20, 0x71, v45
	v_cmp_gt_u32_e32 vcc_lo, 0x72, v45
	v_cndmask_b32_e32 v20, 0, v20, vcc_lo
	v_cmp_eq_u32_e32 vcc_lo, 0, v45
	s_delay_alu instid0(VALU_DEP_2) | instskip(NEXT) | instid1(VALU_DEP_1)
	v_cndmask_b32_e64 v47, v20, 0x70, vcc_lo
	v_dual_cndmask_b32 v2, v57, v2, vcc_lo :: v_dual_add_nc_u32 v20, 21, v47
	v_add_nc_u32_e32 v58, 20, v47
	s_delay_alu instid0(VALU_DEP_2) | instskip(NEXT) | instid1(VALU_DEP_2)
	v_lshlrev_b64_e64 v[20:21], v20, -1
	v_lshlrev_b64_e64 v[60:61], v58, 1
	s_delay_alu instid0(VALU_DEP_4) | instskip(NEXT) | instid1(VALU_DEP_3)
	v_lshrrev_b64 v[58:59], v47, v[2:3]
	v_bfi_b32 v21, v21, 0, 0
	s_delay_alu instid0(VALU_DEP_4) | instskip(NEXT) | instid1(VALU_DEP_1)
	v_bfi_b32 v20, v20, 0, v2
	v_cmp_eq_u64_e64 s13, v[20:21], v[60:61]
	s_delay_alu instid0(VALU_DEP_4)
	v_mov_b64_e32 v[60:61], v[58:59]
	s_and_saveexec_b32 s74, s13
; %bb.3536:                             ;   in Loop: Header=BB2_3292 Depth=3
	v_bfe_u32 v2, v58, 21, 1
	s_delay_alu instid0(VALU_DEP_1) | instskip(NEXT) | instid1(VALU_DEP_1)
	v_add_nc_u64_e32 v[20:21], v[58:59], v[2:3]
	v_add_nc_u64_e32 v[60:61], -1, v[20:21]
; %bb.3537:                             ;   in Loop: Header=BB2_3292 Depth=3
	s_or_b32 exec_lo, exec_lo, s74
	v_add_nc_u32_e32 v2, 0xffffff81, v45
	v_lshrrev_b32_e32 v20, 23, v58
	s_mov_b32 s13, exec_lo
                                        ; implicit-def: $vgpr45
	s_delay_alu instid0(VALU_DEP_2) | instskip(NEXT) | instid1(VALU_DEP_1)
	v_cndmask_b32_e64 v2, v2, 0xffffff82, vcc_lo
	v_add3_u32 v47, v47, v2, v20
	v_and_b32_e32 v2, 0x1fffff, v60
	s_delay_alu instid0(VALU_DEP_1) | instskip(NEXT) | instid1(VALU_DEP_1)
	v_dual_add_nc_u32 v57, 14, v47 :: v_dual_add_nc_u32 v2, v2, v58
                                        ; implicit-def: $vgpr58_vgpr59
	v_cmpx_ne_u32_e32 0, v57
	s_xor_b32 s13, exec_lo, s13
; %bb.3538:                             ;   in Loop: Header=BB2_3292 Depth=3
	s_delay_alu instid0(VALU_DEP_2) | instskip(SKIP_1) | instid1(VALU_DEP_1)
	v_cmp_lt_u64_e32 vcc_lo, 0xffffff, v[2:3]
	v_add_nc_u32_e32 v20, 15, v47
	v_cndmask_b32_e32 v45, v57, v20, vcc_lo
	v_cndmask_b32_e64 v20, 0, 1, vcc_lo
	s_delay_alu instid0(VALU_DEP_1)
	v_lshrrev_b64 v[58:59], v20, v[2:3]
; %bb.3539:                             ;   in Loop: Header=BB2_3292 Depth=3
	s_and_not1_saveexec_b32 s13, s13
; %bb.3540:                             ;   in Loop: Header=BB2_3292 Depth=3
	v_mov_b64_e32 v[58:59], v[2:3]
	v_bfe_u32 v45, v2, 23, 1
; %bb.3541:                             ;   in Loop: Header=BB2_3292 Depth=3
	s_or_b32 exec_lo, exec_lo, s13
	s_delay_alu instid0(VALU_DEP_2) | instskip(NEXT) | instid1(VALU_DEP_2)
	v_lshrrev_b64 v[20:21], 21, v[58:59]
	v_cmp_gt_i32_e32 vcc_lo, 32, v45
	v_cmp_ne_u32_e64 s13, 0, v45
	s_delay_alu instid0(VALU_DEP_3) | instskip(NEXT) | instid1(VALU_DEP_1)
	v_dual_cndmask_b32 v59, 0, v21 :: v_dual_cndmask_b32 v58, 3, v20
	v_cmp_ne_u64_e32 vcc_lo, 0, v[58:59]
                                        ; implicit-def: $vgpr59
	s_or_b32 s13, s13, vcc_lo
	s_delay_alu instid0(SALU_CYCLE_1) | instskip(NEXT) | instid1(SALU_CYCLE_1)
	s_and_saveexec_b32 s74, s13
	s_xor_b32 s13, exec_lo, s74
; %bb.3542:                             ;   in Loop: Header=BB2_3292 Depth=3
	v_min_i32_e32 v2, 31, v45
	s_delay_alu instid0(VALU_DEP_1) | instskip(NEXT) | instid1(VALU_DEP_1)
	v_lshl_or_b32 v2, v2, 2, v43
                                        ; implicit-def: $vgpr43
	v_and_or_b32 v59, v58, 3, v2
; %bb.3543:                             ;   in Loop: Header=BB2_3292 Depth=3
	s_and_not1_saveexec_b32 s13, s13
; %bb.3544:                             ;   in Loop: Header=BB2_3292 Depth=3
	v_mov_b32_e32 v59, v43
; %bb.3545:                             ;   in Loop: Header=BB2_3292 Depth=3
	s_or_b32 exec_lo, exec_lo, s13
.LBB2_3546:                             ;   in Loop: Header=BB2_3292 Depth=3
	s_delay_alu instid0(SALU_CYCLE_1)
	s_or_b32 exec_lo, exec_lo, s73
                                        ; implicit-def: $vgpr43
.LBB2_3547:                             ;   in Loop: Header=BB2_3292 Depth=3
	s_and_not1_saveexec_b32 s13, s72
; %bb.3548:                             ;   in Loop: Header=BB2_3292 Depth=3
	v_or_b32_e32 v59, 0x7b, v43
; %bb.3549:                             ;   in Loop: Header=BB2_3292 Depth=3
	s_or_b32 exec_lo, exec_lo, s13
                                        ; implicit-def: $vgpr45
.LBB2_3550:                             ;   in Loop: Header=BB2_3292 Depth=3
	s_and_not1_saveexec_b32 s13, s43
	s_cbranch_execz .LBB2_3556
; %bb.3551:                             ;   in Loop: Header=BB2_3292 Depth=3
	s_mov_b32 s43, exec_lo
                                        ; implicit-def: $vgpr59
	v_cmpx_ne_u64_e32 0, v[2:3]
	s_xor_b32 s43, exec_lo, s43
; %bb.3552:                             ;   in Loop: Header=BB2_3292 Depth=3
	v_lshrrev_b32_e32 v2, 24, v45
                                        ; implicit-def: $vgpr45
	s_delay_alu instid0(VALU_DEP_1)
	v_or_b32_e32 v59, 0x7f, v2
; %bb.3553:                             ;   in Loop: Header=BB2_3292 Depth=3
	s_and_not1_saveexec_b32 s43, s43
; %bb.3554:                             ;   in Loop: Header=BB2_3292 Depth=3
	v_cmp_lt_i32_e32 vcc_lo, -1, v45
	v_cndmask_b32_e64 v59, -4, 0x7c, vcc_lo
; %bb.3555:                             ;   in Loop: Header=BB2_3292 Depth=3
	s_or_b32 exec_lo, exec_lo, s43
.LBB2_3556:                             ;   in Loop: Header=BB2_3292 Depth=3
	s_delay_alu instid0(SALU_CYCLE_1)
	s_or_b32 exec_lo, exec_lo, s13
	v_dual_mov_b32 v2, 0 :: v_dual_mov_b32 v43, 0
	s_mov_b32 s13, exec_lo
	v_cmpx_ne_u16_e32 0, v56
	s_cbranch_execz .LBB2_3566
; %bb.3557:                             ;   in Loop: Header=BB2_3292 Depth=3
	v_bfrev_b32_e32 v43, 1
	s_mov_b32 s43, exec_lo
	v_cmpx_ne_u16_e32 0xff80, v56
	s_cbranch_execz .LBB2_3565
; %bb.3558:                             ;   in Loop: Header=BB2_3292 Depth=3
	v_and_b32_e32 v20, 0x7c, v56
	v_and_b32_e32 v45, 3, v56
	s_mov_b32 s72, exec_lo
                                        ; implicit-def: $vgpr43
	s_delay_alu instid0(VALU_DEP_2)
	v_cmpx_ne_u32_e32 0x7c, v20
	s_xor_b32 s72, exec_lo, s72
	s_cbranch_execz .LBB2_3562
; %bb.3559:                             ;   in Loop: Header=BB2_3292 Depth=3
	v_and_b32_e32 v20, 0xff, v56
	s_mov_b32 s73, exec_lo
	s_delay_alu instid0(VALU_DEP_1) | instskip(NEXT) | instid1(VALU_DEP_1)
	v_bfe_u32 v43, v20, 2, 5
	v_cmpx_eq_u32_e32 0, v43
	s_cbranch_execz .LBB2_3561
; %bb.3560:                             ;   in Loop: Header=BB2_3292 Depth=3
	v_clz_i32_u32_e32 v20, v45
	s_delay_alu instid0(VALU_DEP_1) | instskip(SKIP_1) | instid1(VALU_DEP_2)
	v_min_u32_e32 v43, 32, v20
	v_mov_b32_e32 v57, v3
	v_subrev_nc_u32_e32 v20, 29, v43
	v_sub_nc_u32_e32 v43, 30, v43
	s_delay_alu instid0(VALU_DEP_2) | instskip(NEXT) | instid1(VALU_DEP_1)
	v_lshlrev_b64_e32 v[20:21], v20, v[56:57]
	v_and_b32_e32 v45, 3, v20
.LBB2_3561:                             ;   in Loop: Header=BB2_3292 Depth=3
	s_or_b32 exec_lo, exec_lo, s73
	v_bfe_i32 v20, v56, 0, 16
                                        ; implicit-def: $vgpr56
	s_delay_alu instid0(VALU_DEP_1) | instskip(NEXT) | instid1(VALU_DEP_1)
	v_and_b32_e32 v20, 0x80000000, v20
	v_lshl_add_u32 v20, v43, 23, v20
	s_delay_alu instid0(VALU_DEP_1) | instskip(NEXT) | instid1(VALU_DEP_1)
	v_lshl_or_b32 v20, v45, 21, v20
                                        ; implicit-def: $vgpr45
	v_add_nc_u32_e32 v43, 0x38000000, v20
.LBB2_3562:                             ;   in Loop: Header=BB2_3292 Depth=3
	s_and_not1_saveexec_b32 s72, s72
; %bb.3563:                             ;   in Loop: Header=BB2_3292 Depth=3
	v_cmp_lt_i16_e32 vcc_lo, -1, v56
	v_cndmask_b32_e32 v20, 0xff800000, v109, vcc_lo
	v_cmp_eq_u32_e32 vcc_lo, 0, v45
	s_delay_alu instid0(VALU_DEP_2)
	v_cndmask_b32_e32 v43, 0x7f800001, v20, vcc_lo
; %bb.3564:                             ;   in Loop: Header=BB2_3292 Depth=3
	s_or_b32 exec_lo, exec_lo, s72
.LBB2_3565:                             ;   in Loop: Header=BB2_3292 Depth=3
	s_delay_alu instid0(SALU_CYCLE_1)
	s_or_b32 exec_lo, exec_lo, s43
.LBB2_3566:                             ;   in Loop: Header=BB2_3292 Depth=3
	s_delay_alu instid0(SALU_CYCLE_1) | instskip(NEXT) | instid1(SALU_CYCLE_1)
	s_or_b32 exec_lo, exec_lo, s13
	s_mov_b32 s13, exec_lo
	s_wait_loadcnt_dscnt 0x101
	v_cmpx_ne_u16_e32 0, v46
	s_cbranch_execz .LBB2_3576
; %bb.3567:                             ;   in Loop: Header=BB2_3292 Depth=3
	v_bfrev_b32_e32 v2, 1
	s_mov_b32 s43, exec_lo
	v_cmpx_ne_u16_e32 0xff80, v46
	s_cbranch_execz .LBB2_3575
; %bb.3568:                             ;   in Loop: Header=BB2_3292 Depth=3
	v_and_b32_e32 v2, 0x7c, v46
	v_and_b32_e32 v45, 3, v46
	s_delay_alu instid0(VALU_DEP_2) | instskip(SKIP_1) | instid1(SALU_CYCLE_1)
	v_cmp_ne_u32_e32 vcc_lo, 0x7c, v2
                                        ; implicit-def: $vgpr2
	s_and_saveexec_b32 s72, vcc_lo
	s_xor_b32 s72, exec_lo, s72
	s_cbranch_execz .LBB2_3572
; %bb.3569:                             ;   in Loop: Header=BB2_3292 Depth=3
	v_and_b32_e32 v2, 0xff, v46
	s_mov_b32 s73, exec_lo
	s_delay_alu instid0(VALU_DEP_1) | instskip(NEXT) | instid1(VALU_DEP_1)
	v_bfe_u32 v2, v2, 2, 5
	v_cmpx_eq_u32_e32 0, v2
	s_cbranch_execz .LBB2_3571
; %bb.3570:                             ;   in Loop: Header=BB2_3292 Depth=3
	v_clz_i32_u32_e32 v2, v45
	s_delay_alu instid0(VALU_DEP_1) | instskip(SKIP_1) | instid1(VALU_DEP_2)
	v_min_u32_e32 v2, 32, v2
	v_mov_b32_e32 v47, v3
	v_subrev_nc_u32_e32 v20, 29, v2
	v_sub_nc_u32_e32 v2, 30, v2
	s_delay_alu instid0(VALU_DEP_2) | instskip(NEXT) | instid1(VALU_DEP_1)
	v_lshlrev_b64_e32 v[20:21], v20, v[46:47]
	v_and_b32_e32 v45, 3, v20
.LBB2_3571:                             ;   in Loop: Header=BB2_3292 Depth=3
	s_or_b32 exec_lo, exec_lo, s73
	v_bfe_i32 v20, v46, 0, 16
                                        ; implicit-def: $vgpr46
	s_delay_alu instid0(VALU_DEP_1) | instskip(NEXT) | instid1(VALU_DEP_1)
	v_and_b32_e32 v20, 0x80000000, v20
	v_lshl_add_u32 v2, v2, 23, v20
	s_delay_alu instid0(VALU_DEP_1) | instskip(NEXT) | instid1(VALU_DEP_1)
	v_lshl_or_b32 v2, v45, 21, v2
                                        ; implicit-def: $vgpr45
	v_add_nc_u32_e32 v2, 0x38000000, v2
.LBB2_3572:                             ;   in Loop: Header=BB2_3292 Depth=3
	s_and_not1_saveexec_b32 s72, s72
; %bb.3573:                             ;   in Loop: Header=BB2_3292 Depth=3
	v_cmp_lt_i16_e32 vcc_lo, -1, v46
	v_cndmask_b32_e32 v2, 0xff800000, v109, vcc_lo
	v_cmp_eq_u32_e32 vcc_lo, 0, v45
	s_delay_alu instid0(VALU_DEP_2)
	v_cndmask_b32_e32 v2, 0x7f800001, v2, vcc_lo
; %bb.3574:                             ;   in Loop: Header=BB2_3292 Depth=3
	s_or_b32 exec_lo, exec_lo, s72
.LBB2_3575:                             ;   in Loop: Header=BB2_3292 Depth=3
	s_delay_alu instid0(SALU_CYCLE_1)
	s_or_b32 exec_lo, exec_lo, s43
.LBB2_3576:                             ;   in Loop: Header=BB2_3292 Depth=3
	s_delay_alu instid0(SALU_CYCLE_1) | instskip(NEXT) | instid1(VALU_DEP_1)
	s_or_b32 exec_lo, exec_lo, s13
	v_mul_f32_e32 v45, v43, v2
	v_mov_b32_e32 v21, v3
                                        ; implicit-def: $vgpr47
	s_mov_b32 s13, exec_lo
	s_delay_alu instid0(VALU_DEP_2) | instskip(SKIP_1) | instid1(VALU_DEP_2)
	v_and_b32_e32 v20, 0x7f800000, v45
	v_and_b32_e32 v2, 0x7fffff, v45
	v_cmpx_ne_u64_e32 0x7f800000, v[20:21]
	s_xor_b32 s43, exec_lo, s13
	s_cbranch_execz .LBB2_3594
; %bb.3577:                             ;   in Loop: Header=BB2_3292 Depth=3
	v_dual_mov_b32 v21, v3 :: v_dual_lshrrev_b32 v43, 24, v45
	v_and_b32_e32 v20, 0x7fffffff, v45
                                        ; implicit-def: $vgpr47
	s_mov_b32 s13, exec_lo
	s_delay_alu instid0(VALU_DEP_2) | instskip(NEXT) | instid1(VALU_DEP_2)
	v_and_b32_e32 v43, 0x80, v43
	v_cmpx_gt_u64_e32 0x47600001, v[20:21]
	s_xor_b32 s72, exec_lo, s13
	s_cbranch_execz .LBB2_3591
; %bb.3578:                             ;   in Loop: Header=BB2_3292 Depth=3
	v_mov_b32_e32 v47, 0
	s_mov_b32 s73, exec_lo
	v_cmpx_ne_u32_e32 0, v45
	s_cbranch_execz .LBB2_3590
; %bb.3579:                             ;   in Loop: Header=BB2_3292 Depth=3
	v_bfe_u32 v45, v45, 23, 8
	v_or_b32_e32 v46, 0x800000, v2
	s_delay_alu instid0(VALU_DEP_2) | instskip(SKIP_1) | instid1(VALU_DEP_2)
	v_sub_nc_u32_e32 v20, 0x71, v45
	v_cmp_gt_u32_e32 vcc_lo, 0x72, v45
	v_cndmask_b32_e32 v20, 0, v20, vcc_lo
	v_cmp_eq_u32_e32 vcc_lo, 0, v45
	s_delay_alu instid0(VALU_DEP_2) | instskip(SKIP_1) | instid1(VALU_DEP_2)
	v_cndmask_b32_e64 v58, v20, 0x70, vcc_lo
	v_cndmask_b32_e32 v2, v46, v2, vcc_lo
	v_dual_add_nc_u32 v20, 21, v58 :: v_dual_add_nc_u32 v47, 20, v58
	s_delay_alu instid0(VALU_DEP_1) | instskip(NEXT) | instid1(VALU_DEP_2)
	v_lshlrev_b64_e64 v[20:21], v20, -1
	v_lshlrev_b64_e64 v[56:57], v47, 1
	s_delay_alu instid0(VALU_DEP_4) | instskip(NEXT) | instid1(VALU_DEP_3)
	v_lshrrev_b64 v[46:47], v58, v[2:3]
	v_bfi_b32 v21, v21, 0, 0
	s_delay_alu instid0(VALU_DEP_4) | instskip(NEXT) | instid1(VALU_DEP_1)
	v_bfi_b32 v20, v20, 0, v2
	v_cmp_eq_u64_e64 s13, v[20:21], v[56:57]
	s_delay_alu instid0(VALU_DEP_4)
	v_mov_b64_e32 v[56:57], v[46:47]
	s_and_saveexec_b32 s74, s13
; %bb.3580:                             ;   in Loop: Header=BB2_3292 Depth=3
	v_bfe_u32 v2, v46, 21, 1
	s_delay_alu instid0(VALU_DEP_1) | instskip(NEXT) | instid1(VALU_DEP_1)
	v_add_nc_u64_e32 v[20:21], v[46:47], v[2:3]
	v_add_nc_u64_e32 v[56:57], -1, v[20:21]
; %bb.3581:                             ;   in Loop: Header=BB2_3292 Depth=3
	s_or_b32 exec_lo, exec_lo, s74
	v_add_nc_u32_e32 v2, 0xffffff81, v45
	v_lshrrev_b32_e32 v20, 23, v46
	s_mov_b32 s13, exec_lo
                                        ; implicit-def: $vgpr45
	s_delay_alu instid0(VALU_DEP_2) | instskip(NEXT) | instid1(VALU_DEP_1)
	v_cndmask_b32_e64 v2, v2, 0xffffff82, vcc_lo
	v_add3_u32 v57, v58, v2, v20
	v_and_b32_e32 v2, 0x1fffff, v56
	s_delay_alu instid0(VALU_DEP_1) | instskip(NEXT) | instid1(VALU_DEP_1)
	v_dual_add_nc_u32 v56, 14, v57 :: v_dual_add_nc_u32 v2, v2, v46
                                        ; implicit-def: $vgpr46_vgpr47
	v_cmpx_ne_u32_e32 0, v56
	s_xor_b32 s13, exec_lo, s13
; %bb.3582:                             ;   in Loop: Header=BB2_3292 Depth=3
	s_delay_alu instid0(VALU_DEP_2) | instskip(SKIP_1) | instid1(VALU_DEP_1)
	v_cmp_lt_u64_e32 vcc_lo, 0xffffff, v[2:3]
	v_add_nc_u32_e32 v20, 15, v57
	v_cndmask_b32_e32 v45, v56, v20, vcc_lo
	v_cndmask_b32_e64 v20, 0, 1, vcc_lo
	s_delay_alu instid0(VALU_DEP_1)
	v_lshrrev_b64 v[46:47], v20, v[2:3]
; %bb.3583:                             ;   in Loop: Header=BB2_3292 Depth=3
	s_and_not1_saveexec_b32 s13, s13
; %bb.3584:                             ;   in Loop: Header=BB2_3292 Depth=3
	v_mov_b64_e32 v[46:47], v[2:3]
	v_bfe_u32 v45, v2, 23, 1
; %bb.3585:                             ;   in Loop: Header=BB2_3292 Depth=3
	s_or_b32 exec_lo, exec_lo, s13
	s_delay_alu instid0(VALU_DEP_2) | instskip(NEXT) | instid1(VALU_DEP_2)
	v_lshrrev_b64 v[20:21], 21, v[46:47]
	v_cmp_gt_i32_e32 vcc_lo, 32, v45
	v_cmp_ne_u32_e64 s13, 0, v45
	s_delay_alu instid0(VALU_DEP_3) | instskip(NEXT) | instid1(VALU_DEP_1)
	v_dual_cndmask_b32 v47, 0, v21 :: v_dual_cndmask_b32 v46, 3, v20
	v_cmp_ne_u64_e32 vcc_lo, 0, v[46:47]
                                        ; implicit-def: $vgpr47
	s_or_b32 s13, s13, vcc_lo
	s_delay_alu instid0(SALU_CYCLE_1) | instskip(NEXT) | instid1(SALU_CYCLE_1)
	s_and_saveexec_b32 s74, s13
	s_xor_b32 s13, exec_lo, s74
; %bb.3586:                             ;   in Loop: Header=BB2_3292 Depth=3
	v_min_i32_e32 v2, 31, v45
	s_delay_alu instid0(VALU_DEP_1) | instskip(NEXT) | instid1(VALU_DEP_1)
	v_lshl_or_b32 v2, v2, 2, v43
                                        ; implicit-def: $vgpr43
	v_and_or_b32 v47, v46, 3, v2
; %bb.3587:                             ;   in Loop: Header=BB2_3292 Depth=3
	s_and_not1_saveexec_b32 s13, s13
; %bb.3588:                             ;   in Loop: Header=BB2_3292 Depth=3
	v_mov_b32_e32 v47, v43
; %bb.3589:                             ;   in Loop: Header=BB2_3292 Depth=3
	s_or_b32 exec_lo, exec_lo, s13
.LBB2_3590:                             ;   in Loop: Header=BB2_3292 Depth=3
	s_delay_alu instid0(SALU_CYCLE_1)
	s_or_b32 exec_lo, exec_lo, s73
                                        ; implicit-def: $vgpr43
.LBB2_3591:                             ;   in Loop: Header=BB2_3292 Depth=3
	s_and_not1_saveexec_b32 s13, s72
; %bb.3592:                             ;   in Loop: Header=BB2_3292 Depth=3
	v_or_b32_e32 v47, 0x7b, v43
; %bb.3593:                             ;   in Loop: Header=BB2_3292 Depth=3
	s_or_b32 exec_lo, exec_lo, s13
                                        ; implicit-def: $vgpr45
.LBB2_3594:                             ;   in Loop: Header=BB2_3292 Depth=3
	s_and_not1_saveexec_b32 s13, s43
	s_cbranch_execz .LBB2_3600
; %bb.3595:                             ;   in Loop: Header=BB2_3292 Depth=3
	s_mov_b32 s43, exec_lo
                                        ; implicit-def: $vgpr47
	v_cmpx_ne_u64_e32 0, v[2:3]
	s_xor_b32 s43, exec_lo, s43
; %bb.3596:                             ;   in Loop: Header=BB2_3292 Depth=3
	v_lshrrev_b32_e32 v2, 24, v45
                                        ; implicit-def: $vgpr45
	s_delay_alu instid0(VALU_DEP_1)
	v_or_b32_e32 v47, 0x7f, v2
; %bb.3597:                             ;   in Loop: Header=BB2_3292 Depth=3
	s_and_not1_saveexec_b32 s43, s43
; %bb.3598:                             ;   in Loop: Header=BB2_3292 Depth=3
	v_cmp_lt_i32_e32 vcc_lo, -1, v45
	v_cndmask_b32_e64 v47, -4, 0x7c, vcc_lo
; %bb.3599:                             ;   in Loop: Header=BB2_3292 Depth=3
	s_or_b32 exec_lo, exec_lo, s43
.LBB2_3600:                             ;   in Loop: Header=BB2_3292 Depth=3
	s_delay_alu instid0(SALU_CYCLE_1)
	s_or_b32 exec_lo, exec_lo, s13
	v_dual_mov_b32 v2, 0 :: v_dual_mov_b32 v45, 0
	s_mov_b32 s13, exec_lo
	v_cmpx_ne_u16_e32 0, v44
	s_cbranch_execz .LBB2_3610
; %bb.3601:                             ;   in Loop: Header=BB2_3292 Depth=3
	v_bfrev_b32_e32 v45, 1
	s_mov_b32 s43, exec_lo
	v_cmpx_ne_u16_e32 0xff80, v44
	s_cbranch_execz .LBB2_3609
; %bb.3602:                             ;   in Loop: Header=BB2_3292 Depth=3
	v_and_b32_e32 v20, 0x7c, v44
	v_and_b32_e32 v43, 3, v44
	s_mov_b32 s72, exec_lo
                                        ; implicit-def: $vgpr45
	s_delay_alu instid0(VALU_DEP_2)
	v_cmpx_ne_u32_e32 0x7c, v20
	s_xor_b32 s72, exec_lo, s72
	s_cbranch_execz .LBB2_3606
; %bb.3603:                             ;   in Loop: Header=BB2_3292 Depth=3
	v_and_b32_e32 v20, 0xff, v44
	s_mov_b32 s73, exec_lo
	s_delay_alu instid0(VALU_DEP_1) | instskip(NEXT) | instid1(VALU_DEP_1)
	v_bfe_u32 v45, v20, 2, 5
	v_cmpx_eq_u32_e32 0, v45
; %bb.3604:                             ;   in Loop: Header=BB2_3292 Depth=3
	v_clz_i32_u32_e32 v20, v43
	v_mov_b32_e32 v45, v3
	s_delay_alu instid0(VALU_DEP_2) | instskip(NEXT) | instid1(VALU_DEP_1)
	v_min_u32_e32 v43, 32, v20
	v_subrev_nc_u32_e32 v20, 29, v43
	s_delay_alu instid0(VALU_DEP_1) | instskip(NEXT) | instid1(VALU_DEP_1)
	v_lshlrev_b64_e32 v[20:21], v20, v[44:45]
	v_dual_sub_nc_u32 v45, 30, v43 :: v_dual_bitop2_b32 v43, 3, v20 bitop3:0x40
; %bb.3605:                             ;   in Loop: Header=BB2_3292 Depth=3
	s_or_b32 exec_lo, exec_lo, s73
	v_bfe_i32 v20, v44, 0, 16
                                        ; implicit-def: $vgpr44
	s_delay_alu instid0(VALU_DEP_1) | instskip(NEXT) | instid1(VALU_DEP_1)
	v_and_b32_e32 v20, 0x80000000, v20
	v_lshl_add_u32 v20, v45, 23, v20
	s_delay_alu instid0(VALU_DEP_1) | instskip(NEXT) | instid1(VALU_DEP_1)
	v_lshl_or_b32 v20, v43, 21, v20
                                        ; implicit-def: $vgpr43
	v_add_nc_u32_e32 v45, 0x38000000, v20
.LBB2_3606:                             ;   in Loop: Header=BB2_3292 Depth=3
	s_and_not1_saveexec_b32 s72, s72
; %bb.3607:                             ;   in Loop: Header=BB2_3292 Depth=3
	v_cmp_lt_i16_e32 vcc_lo, -1, v44
	v_cndmask_b32_e32 v20, 0xff800000, v109, vcc_lo
	v_cmp_eq_u32_e32 vcc_lo, 0, v43
	s_delay_alu instid0(VALU_DEP_2)
	v_cndmask_b32_e32 v45, 0x7f800001, v20, vcc_lo
; %bb.3608:                             ;   in Loop: Header=BB2_3292 Depth=3
	s_or_b32 exec_lo, exec_lo, s72
.LBB2_3609:                             ;   in Loop: Header=BB2_3292 Depth=3
	s_delay_alu instid0(SALU_CYCLE_1)
	s_or_b32 exec_lo, exec_lo, s43
.LBB2_3610:                             ;   in Loop: Header=BB2_3292 Depth=3
	s_delay_alu instid0(SALU_CYCLE_1) | instskip(NEXT) | instid1(SALU_CYCLE_1)
	s_or_b32 exec_lo, exec_lo, s13
	s_mov_b32 s13, exec_lo
	s_wait_loadcnt_dscnt 0x0
	v_cmpx_ne_u16_e32 0, v42
	s_cbranch_execz .LBB2_3620
; %bb.3611:                             ;   in Loop: Header=BB2_3292 Depth=3
	v_bfrev_b32_e32 v2, 1
	s_mov_b32 s43, exec_lo
	v_cmpx_ne_u16_e32 0xff80, v42
	s_cbranch_execz .LBB2_3619
; %bb.3612:                             ;   in Loop: Header=BB2_3292 Depth=3
	v_and_b32_e32 v2, 0x7c, v42
	v_and_b32_e32 v43, 3, v42
	s_delay_alu instid0(VALU_DEP_2) | instskip(SKIP_1) | instid1(SALU_CYCLE_1)
	v_cmp_ne_u32_e32 vcc_lo, 0x7c, v2
                                        ; implicit-def: $vgpr2
	s_and_saveexec_b32 s72, vcc_lo
	s_xor_b32 s72, exec_lo, s72
	s_cbranch_execz .LBB2_3616
; %bb.3613:                             ;   in Loop: Header=BB2_3292 Depth=3
	v_and_b32_e32 v2, 0xff, v42
	s_mov_b32 s73, exec_lo
	s_delay_alu instid0(VALU_DEP_1) | instskip(NEXT) | instid1(VALU_DEP_1)
	v_bfe_u32 v2, v2, 2, 5
	v_cmpx_eq_u32_e32 0, v2
	s_cbranch_execz .LBB2_3615
; %bb.3614:                             ;   in Loop: Header=BB2_3292 Depth=3
	v_clz_i32_u32_e32 v2, v43
	s_delay_alu instid0(VALU_DEP_1) | instskip(SKIP_1) | instid1(VALU_DEP_2)
	v_min_u32_e32 v2, 32, v2
	v_mov_b32_e32 v43, v3
	v_subrev_nc_u32_e32 v20, 29, v2
	v_sub_nc_u32_e32 v2, 30, v2
	s_delay_alu instid0(VALU_DEP_2) | instskip(NEXT) | instid1(VALU_DEP_1)
	v_lshlrev_b64_e32 v[20:21], v20, v[42:43]
	v_and_b32_e32 v43, 3, v20
.LBB2_3615:                             ;   in Loop: Header=BB2_3292 Depth=3
	s_or_b32 exec_lo, exec_lo, s73
	v_bfe_i32 v20, v42, 0, 16
                                        ; implicit-def: $vgpr42
	s_delay_alu instid0(VALU_DEP_1) | instskip(NEXT) | instid1(VALU_DEP_1)
	v_and_b32_e32 v20, 0x80000000, v20
	v_lshl_add_u32 v2, v2, 23, v20
	s_delay_alu instid0(VALU_DEP_1) | instskip(NEXT) | instid1(VALU_DEP_1)
	v_lshl_or_b32 v2, v43, 21, v2
                                        ; implicit-def: $vgpr43
	v_add_nc_u32_e32 v2, 0x38000000, v2
.LBB2_3616:                             ;   in Loop: Header=BB2_3292 Depth=3
	s_and_not1_saveexec_b32 s72, s72
; %bb.3617:                             ;   in Loop: Header=BB2_3292 Depth=3
	v_cmp_lt_i16_e32 vcc_lo, -1, v42
	v_cndmask_b32_e32 v2, 0xff800000, v109, vcc_lo
	v_cmp_eq_u32_e32 vcc_lo, 0, v43
	s_delay_alu instid0(VALU_DEP_2)
	v_cndmask_b32_e32 v2, 0x7f800001, v2, vcc_lo
; %bb.3618:                             ;   in Loop: Header=BB2_3292 Depth=3
	s_or_b32 exec_lo, exec_lo, s72
.LBB2_3619:                             ;   in Loop: Header=BB2_3292 Depth=3
	s_delay_alu instid0(SALU_CYCLE_1)
	s_or_b32 exec_lo, exec_lo, s43
.LBB2_3620:                             ;   in Loop: Header=BB2_3292 Depth=3
	s_delay_alu instid0(SALU_CYCLE_1) | instskip(NEXT) | instid1(VALU_DEP_1)
	s_or_b32 exec_lo, exec_lo, s13
	v_dual_mul_f32 v42, v45, v2 :: v_dual_mov_b32 v21, v3
                                        ; implicit-def: $vgpr43
	s_mov_b32 s13, exec_lo
	s_delay_alu instid0(VALU_DEP_1) | instskip(SKIP_1) | instid1(VALU_DEP_2)
	v_and_b32_e32 v20, 0x7f800000, v42
	v_and_b32_e32 v2, 0x7fffff, v42
	v_cmpx_ne_u64_e32 0x7f800000, v[20:21]
	s_xor_b32 s43, exec_lo, s13
	s_cbranch_execz .LBB2_3638
; %bb.3621:                             ;   in Loop: Header=BB2_3292 Depth=3
	v_dual_mov_b32 v21, v3 :: v_dual_lshrrev_b32 v43, 24, v42
	v_and_b32_e32 v20, 0x7fffffff, v42
	s_mov_b32 s13, exec_lo
	s_delay_alu instid0(VALU_DEP_2) | instskip(NEXT) | instid1(VALU_DEP_2)
	v_and_b32_e32 v46, 0x80, v43
                                        ; implicit-def: $vgpr43
	v_cmpx_gt_u64_e32 0x47600001, v[20:21]
	s_xor_b32 s72, exec_lo, s13
	s_cbranch_execz .LBB2_3635
; %bb.3622:                             ;   in Loop: Header=BB2_3292 Depth=3
	v_mov_b32_e32 v43, 0
	s_mov_b32 s73, exec_lo
	v_cmpx_ne_u32_e32 0, v42
	s_cbranch_execz .LBB2_3634
; %bb.3623:                             ;   in Loop: Header=BB2_3292 Depth=3
	v_bfe_u32 v56, v42, 23, 8
	v_or_b32_e32 v42, 0x800000, v2
	s_delay_alu instid0(VALU_DEP_2) | instskip(SKIP_1) | instid1(VALU_DEP_2)
	v_sub_nc_u32_e32 v20, 0x71, v56
	v_cmp_gt_u32_e32 vcc_lo, 0x72, v56
	v_cndmask_b32_e32 v20, 0, v20, vcc_lo
	v_cmp_eq_u32_e32 vcc_lo, 0, v56
	s_delay_alu instid0(VALU_DEP_2) | instskip(NEXT) | instid1(VALU_DEP_1)
	v_cndmask_b32_e64 v57, v20, 0x70, vcc_lo
	v_dual_cndmask_b32 v2, v42, v2, vcc_lo :: v_dual_add_nc_u32 v20, 21, v57
	v_add_nc_u32_e32 v43, 20, v57
	s_delay_alu instid0(VALU_DEP_2) | instskip(NEXT) | instid1(VALU_DEP_2)
	v_lshlrev_b64_e64 v[20:21], v20, -1
	v_lshlrev_b64_e64 v[44:45], v43, 1
	s_delay_alu instid0(VALU_DEP_4) | instskip(NEXT) | instid1(VALU_DEP_3)
	v_lshrrev_b64 v[42:43], v57, v[2:3]
	v_bfi_b32 v21, v21, 0, 0
	s_delay_alu instid0(VALU_DEP_4) | instskip(NEXT) | instid1(VALU_DEP_1)
	v_bfi_b32 v20, v20, 0, v2
	v_cmp_eq_u64_e64 s13, v[20:21], v[44:45]
	s_delay_alu instid0(VALU_DEP_4)
	v_mov_b64_e32 v[44:45], v[42:43]
	s_and_saveexec_b32 s74, s13
; %bb.3624:                             ;   in Loop: Header=BB2_3292 Depth=3
	v_bfe_u32 v2, v42, 21, 1
	s_delay_alu instid0(VALU_DEP_1) | instskip(NEXT) | instid1(VALU_DEP_1)
	v_add_nc_u64_e32 v[20:21], v[42:43], v[2:3]
	v_add_nc_u64_e32 v[44:45], -1, v[20:21]
; %bb.3625:                             ;   in Loop: Header=BB2_3292 Depth=3
	s_or_b32 exec_lo, exec_lo, s74
	v_add_nc_u32_e32 v2, 0xffffff81, v56
	v_lshrrev_b32_e32 v20, 23, v42
	s_mov_b32 s13, exec_lo
	s_delay_alu instid0(VALU_DEP_2) | instskip(NEXT) | instid1(VALU_DEP_1)
	v_cndmask_b32_e64 v2, v2, 0xffffff82, vcc_lo
	v_add3_u32 v45, v57, v2, v20
	v_and_b32_e32 v2, 0x1fffff, v44
                                        ; implicit-def: $vgpr44
	s_delay_alu instid0(VALU_DEP_1) | instskip(NEXT) | instid1(VALU_DEP_1)
	v_dual_add_nc_u32 v56, 14, v45 :: v_dual_add_nc_u32 v2, v2, v42
                                        ; implicit-def: $vgpr42_vgpr43
	v_cmpx_ne_u32_e32 0, v56
	s_xor_b32 s13, exec_lo, s13
; %bb.3626:                             ;   in Loop: Header=BB2_3292 Depth=3
	s_delay_alu instid0(VALU_DEP_2) | instskip(SKIP_1) | instid1(VALU_DEP_1)
	v_cmp_lt_u64_e32 vcc_lo, 0xffffff, v[2:3]
	v_add_nc_u32_e32 v20, 15, v45
	v_cndmask_b32_e32 v44, v56, v20, vcc_lo
	v_cndmask_b32_e64 v20, 0, 1, vcc_lo
	s_delay_alu instid0(VALU_DEP_1)
	v_lshrrev_b64 v[42:43], v20, v[2:3]
; %bb.3627:                             ;   in Loop: Header=BB2_3292 Depth=3
	s_and_not1_saveexec_b32 s13, s13
; %bb.3628:                             ;   in Loop: Header=BB2_3292 Depth=3
	v_mov_b64_e32 v[42:43], v[2:3]
	v_bfe_u32 v44, v2, 23, 1
; %bb.3629:                             ;   in Loop: Header=BB2_3292 Depth=3
	s_or_b32 exec_lo, exec_lo, s13
	s_delay_alu instid0(VALU_DEP_2) | instskip(NEXT) | instid1(VALU_DEP_2)
	v_lshrrev_b64 v[20:21], 21, v[42:43]
	v_cmp_gt_i32_e32 vcc_lo, 32, v44
	v_cmp_ne_u32_e64 s13, 0, v44
	s_delay_alu instid0(VALU_DEP_3) | instskip(NEXT) | instid1(VALU_DEP_1)
	v_dual_cndmask_b32 v43, 0, v21 :: v_dual_cndmask_b32 v42, 3, v20
	v_cmp_ne_u64_e32 vcc_lo, 0, v[42:43]
                                        ; implicit-def: $vgpr43
	s_or_b32 s13, s13, vcc_lo
	s_delay_alu instid0(SALU_CYCLE_1) | instskip(NEXT) | instid1(SALU_CYCLE_1)
	s_and_saveexec_b32 s74, s13
	s_xor_b32 s13, exec_lo, s74
; %bb.3630:                             ;   in Loop: Header=BB2_3292 Depth=3
	v_min_i32_e32 v2, 31, v44
	s_delay_alu instid0(VALU_DEP_1) | instskip(NEXT) | instid1(VALU_DEP_1)
	v_lshl_or_b32 v2, v2, 2, v46
                                        ; implicit-def: $vgpr46
	v_and_or_b32 v43, v42, 3, v2
; %bb.3631:                             ;   in Loop: Header=BB2_3292 Depth=3
	s_and_not1_saveexec_b32 s13, s13
; %bb.3632:                             ;   in Loop: Header=BB2_3292 Depth=3
	v_mov_b32_e32 v43, v46
; %bb.3633:                             ;   in Loop: Header=BB2_3292 Depth=3
	s_or_b32 exec_lo, exec_lo, s13
.LBB2_3634:                             ;   in Loop: Header=BB2_3292 Depth=3
	s_delay_alu instid0(SALU_CYCLE_1)
	s_or_b32 exec_lo, exec_lo, s73
                                        ; implicit-def: $vgpr46
.LBB2_3635:                             ;   in Loop: Header=BB2_3292 Depth=3
	s_and_not1_saveexec_b32 s13, s72
; %bb.3636:                             ;   in Loop: Header=BB2_3292 Depth=3
	v_or_b32_e32 v43, 0x7b, v46
; %bb.3637:                             ;   in Loop: Header=BB2_3292 Depth=3
	s_or_b32 exec_lo, exec_lo, s13
                                        ; implicit-def: $vgpr42
.LBB2_3638:                             ;   in Loop: Header=BB2_3292 Depth=3
	s_and_not1_saveexec_b32 s13, s43
	s_cbranch_execz .LBB2_3291
; %bb.3639:                             ;   in Loop: Header=BB2_3292 Depth=3
	s_mov_b32 s43, exec_lo
                                        ; implicit-def: $vgpr43
	v_cmpx_ne_u64_e32 0, v[2:3]
	s_xor_b32 s43, exec_lo, s43
; %bb.3640:                             ;   in Loop: Header=BB2_3292 Depth=3
	v_lshrrev_b32_e32 v2, 24, v42
                                        ; implicit-def: $vgpr42
	s_delay_alu instid0(VALU_DEP_1)
	v_or_b32_e32 v43, 0x7f, v2
; %bb.3641:                             ;   in Loop: Header=BB2_3292 Depth=3
	s_and_not1_saveexec_b32 s43, s43
	s_cbranch_execz .LBB2_3290
; %bb.3642:                             ;   in Loop: Header=BB2_3292 Depth=3
	v_cmp_lt_i32_e32 vcc_lo, -1, v42
	v_cndmask_b32_e64 v43, -4, 0x7c, vcc_lo
	s_branch .LBB2_3290
.LBB2_3643:                             ;   in Loop: Header=BB2_2043 Depth=2
	s_or_b32 exec_lo, exec_lo, s42
.LBB2_3644:                             ;   in Loop: Header=BB2_2043 Depth=2
	s_delay_alu instid0(SALU_CYCLE_1) | instskip(SKIP_1) | instid1(VALU_DEP_1)
	s_or_b32 exec_lo, exec_lo, s14
	v_lshlrev_b32_e32 v2, 8, v19
	v_cmp_ne_u32_e32 vcc_lo, v125, v2
	s_and_b32 exec_lo, exec_lo, vcc_lo
	s_cbranch_execz .LBB2_3694
; %bb.3645:                             ;   in Loop: Header=BB2_2043 Depth=2
	v_dual_add_nc_u32 v8, v126, v18 :: v_dual_lshlrev_b32 v9, 5, v115
	s_delay_alu instid0(VALU_DEP_1) | instskip(NEXT) | instid1(VALU_DEP_1)
	v_and_b32_e32 v8, 0xffffffe0, v8
	v_sub_nc_u32_e32 v8, v126, v8
	s_delay_alu instid0(VALU_DEP_1) | instskip(NEXT) | instid1(VALU_DEP_1)
	v_sub_nc_u32_e32 v8, v8, v9
	v_add_nc_u32_e32 v2, v2, v8
	s_delay_alu instid0(VALU_DEP_1) | instskip(NEXT) | instid1(VALU_DEP_1)
	v_sub_nc_u32_e32 v18, v125, v2
	v_cmp_lt_i32_e32 vcc_lo, 0, v18
	s_and_b32 exec_lo, exec_lo, vcc_lo
	s_cbranch_execz .LBB2_3694
; %bb.3646:                             ;   in Loop: Header=BB2_2043 Depth=2
	s_trap 2
	ds_load_b128 v[8:11], v0
	v_add_nc_u32_e32 v12, v2, v124
	s_mov_b32 s72, 0
	s_delay_alu instid0(VALU_DEP_1) | instskip(SKIP_1) | instid1(VALU_DEP_1)
	v_ashrrev_i32_e32 v13, 31, v12
	s_wait_dscnt 0x0
	v_add_nc_u64_e32 v[8:9], v[8:9], v[12:13]
	v_add_nc_u64_e32 v[10:11], v[10:11], v[12:13]
	s_delay_alu instid0(VALU_DEP_2) | instskip(NEXT) | instid1(VALU_DEP_2)
	v_mov_b64_e32 v[12:13], v[8:9]
	v_mov_b64_e32 v[14:15], v[10:11]
.LBB2_3647:                             ;   Parent Loop BB2_47 Depth=1
                                        ;     Parent Loop BB2_2043 Depth=2
                                        ; =>    This Loop Header: Depth=3
                                        ;         Child Loop BB2_3692 Depth 4
	flat_load_i8 v2, v[12:13] th:TH_LOAD_NT
	flat_load_i8 v42, v[14:15] th:TH_LOAD_NT
	v_dual_mov_b32 v19, 0 :: v_dual_mov_b32 v115, 0
	s_mov_b32 s13, exec_lo
	s_wait_loadcnt_dscnt 0x101
	s_wait_xcnt 0x0
	v_cmpx_ne_u16_e32 0, v2
	s_cbranch_execz .LBB2_3657
; %bb.3648:                             ;   in Loop: Header=BB2_3647 Depth=3
	v_bfrev_b32_e32 v115, 1
	s_mov_b32 s14, exec_lo
	v_cmpx_ne_u16_e32 0xff80, v2
	s_cbranch_execz .LBB2_3656
; %bb.3649:                             ;   in Loop: Header=BB2_3647 Depth=3
	v_and_b32_e32 v20, 0x7c, v2
	v_and_b32_e32 v43, 3, v2
	s_mov_b32 s42, exec_lo
                                        ; implicit-def: $vgpr115
	s_delay_alu instid0(VALU_DEP_2)
	v_cmpx_ne_u32_e32 0x7c, v20
	s_xor_b32 s42, exec_lo, s42
	s_cbranch_execz .LBB2_3653
; %bb.3650:                             ;   in Loop: Header=BB2_3647 Depth=3
	v_and_b32_e32 v20, 0xff, v2
	s_mov_b32 s43, exec_lo
	s_delay_alu instid0(VALU_DEP_1) | instskip(NEXT) | instid1(VALU_DEP_1)
	v_bfe_u32 v115, v20, 2, 5
	v_cmpx_eq_u32_e32 0, v115
; %bb.3651:                             ;   in Loop: Header=BB2_3647 Depth=3
	v_clz_i32_u32_e32 v20, v43
	s_delay_alu instid0(VALU_DEP_1) | instskip(NEXT) | instid1(VALU_DEP_1)
	v_min_u32_e32 v115, 32, v20
	v_subrev_nc_u32_e32 v20, 29, v115
	s_delay_alu instid0(VALU_DEP_1) | instskip(NEXT) | instid1(VALU_DEP_1)
	v_lshlrev_b64_e32 v[20:21], v20, v[2:3]
	v_dual_sub_nc_u32 v115, 30, v115 :: v_dual_bitop2_b32 v43, 3, v20 bitop3:0x40
; %bb.3652:                             ;   in Loop: Header=BB2_3647 Depth=3
	s_or_b32 exec_lo, exec_lo, s43
	v_bfe_i32 v2, v2, 0, 16
	s_delay_alu instid0(VALU_DEP_1) | instskip(NEXT) | instid1(VALU_DEP_1)
	v_and_b32_e32 v2, 0x80000000, v2
	v_lshl_add_u32 v2, v115, 23, v2
	s_delay_alu instid0(VALU_DEP_1) | instskip(NEXT) | instid1(VALU_DEP_1)
	v_lshl_or_b32 v2, v43, 21, v2
                                        ; implicit-def: $vgpr43
	v_add_nc_u32_e32 v115, 0x38000000, v2
.LBB2_3653:                             ;   in Loop: Header=BB2_3647 Depth=3
	s_and_not1_saveexec_b32 s42, s42
; %bb.3654:                             ;   in Loop: Header=BB2_3647 Depth=3
	v_cmp_lt_i16_e32 vcc_lo, -1, v2
	v_cndmask_b32_e32 v2, 0xff800000, v109, vcc_lo
	v_cmp_eq_u32_e32 vcc_lo, 0, v43
	s_delay_alu instid0(VALU_DEP_2)
	v_cndmask_b32_e32 v115, 0x7f800001, v2, vcc_lo
; %bb.3655:                             ;   in Loop: Header=BB2_3647 Depth=3
	s_or_b32 exec_lo, exec_lo, s42
.LBB2_3656:                             ;   in Loop: Header=BB2_3647 Depth=3
	s_delay_alu instid0(SALU_CYCLE_1)
	s_or_b32 exec_lo, exec_lo, s14
.LBB2_3657:                             ;   in Loop: Header=BB2_3647 Depth=3
	s_delay_alu instid0(SALU_CYCLE_1) | instskip(NEXT) | instid1(SALU_CYCLE_1)
	s_or_b32 exec_lo, exec_lo, s13
	s_mov_b32 s13, exec_lo
	s_wait_loadcnt_dscnt 0x0
	v_cmpx_ne_u16_e32 0, v42
	s_cbranch_execz .LBB2_3667
; %bb.3658:                             ;   in Loop: Header=BB2_3647 Depth=3
	v_bfrev_b32_e32 v19, 1
	s_mov_b32 s14, exec_lo
	v_cmpx_ne_u16_e32 0xff80, v42
	s_cbranch_execz .LBB2_3666
; %bb.3659:                             ;   in Loop: Header=BB2_3647 Depth=3
	v_and_b32_e32 v19, 0x7c, v42
	v_and_b32_e32 v2, 3, v42
	s_delay_alu instid0(VALU_DEP_2) | instskip(SKIP_1) | instid1(SALU_CYCLE_1)
	v_cmp_ne_u32_e32 vcc_lo, 0x7c, v19
                                        ; implicit-def: $vgpr19
	s_and_saveexec_b32 s42, vcc_lo
	s_xor_b32 s42, exec_lo, s42
	s_cbranch_execz .LBB2_3663
; %bb.3660:                             ;   in Loop: Header=BB2_3647 Depth=3
	v_and_b32_e32 v19, 0xff, v42
	s_mov_b32 s43, exec_lo
	s_delay_alu instid0(VALU_DEP_1) | instskip(NEXT) | instid1(VALU_DEP_1)
	v_bfe_u32 v19, v19, 2, 5
	v_cmpx_eq_u32_e32 0, v19
; %bb.3661:                             ;   in Loop: Header=BB2_3647 Depth=3
	v_clz_i32_u32_e32 v2, v2
	s_delay_alu instid0(VALU_DEP_1) | instskip(SKIP_1) | instid1(VALU_DEP_2)
	v_min_u32_e32 v2, 32, v2
	v_mov_b32_e32 v43, v3
	v_subrev_nc_u32_e32 v19, 29, v2
	s_delay_alu instid0(VALU_DEP_1) | instskip(NEXT) | instid1(VALU_DEP_1)
	v_lshlrev_b64_e32 v[20:21], v19, v[42:43]
	v_dual_sub_nc_u32 v19, 30, v2 :: v_dual_bitop2_b32 v2, 3, v20 bitop3:0x40
; %bb.3662:                             ;   in Loop: Header=BB2_3647 Depth=3
	s_or_b32 exec_lo, exec_lo, s43
	v_bfe_i32 v20, v42, 0, 16
                                        ; implicit-def: $vgpr42
	s_delay_alu instid0(VALU_DEP_1) | instskip(NEXT) | instid1(VALU_DEP_1)
	v_and_b32_e32 v20, 0x80000000, v20
	v_lshl_add_u32 v19, v19, 23, v20
	s_delay_alu instid0(VALU_DEP_1) | instskip(NEXT) | instid1(VALU_DEP_1)
	v_lshl_or_b32 v2, v2, 21, v19
	v_add_nc_u32_e32 v19, 0x38000000, v2
                                        ; implicit-def: $vgpr2
.LBB2_3663:                             ;   in Loop: Header=BB2_3647 Depth=3
	s_and_not1_saveexec_b32 s42, s42
; %bb.3664:                             ;   in Loop: Header=BB2_3647 Depth=3
	v_cmp_lt_i16_e32 vcc_lo, -1, v42
	v_cndmask_b32_e32 v19, 0xff800000, v109, vcc_lo
	v_cmp_eq_u32_e32 vcc_lo, 0, v2
	s_delay_alu instid0(VALU_DEP_2)
	v_cndmask_b32_e32 v19, 0x7f800001, v19, vcc_lo
; %bb.3665:                             ;   in Loop: Header=BB2_3647 Depth=3
	s_or_b32 exec_lo, exec_lo, s42
.LBB2_3666:                             ;   in Loop: Header=BB2_3647 Depth=3
	s_delay_alu instid0(SALU_CYCLE_1)
	s_or_b32 exec_lo, exec_lo, s14
.LBB2_3667:                             ;   in Loop: Header=BB2_3647 Depth=3
	s_delay_alu instid0(SALU_CYCLE_1) | instskip(NEXT) | instid1(VALU_DEP_1)
	s_or_b32 exec_lo, exec_lo, s13
	v_mul_f32_e32 v42, v115, v19
	v_mov_b32_e32 v21, v3
                                        ; implicit-def: $vgpr19
	s_mov_b32 s13, exec_lo
	s_delay_alu instid0(VALU_DEP_2) | instskip(SKIP_1) | instid1(VALU_DEP_2)
	v_and_b32_e32 v20, 0x7f800000, v42
	v_and_b32_e32 v2, 0x7fffff, v42
	v_cmpx_ne_u64_e32 0x7f800000, v[20:21]
	s_xor_b32 s14, exec_lo, s13
	s_cbranch_execz .LBB2_3685
; %bb.3668:                             ;   in Loop: Header=BB2_3647 Depth=3
	v_dual_mov_b32 v21, v3 :: v_dual_lshrrev_b32 v19, 24, v42
	v_and_b32_e32 v20, 0x7fffffff, v42
	s_mov_b32 s13, exec_lo
	s_delay_alu instid0(VALU_DEP_2) | instskip(NEXT) | instid1(VALU_DEP_2)
	v_and_b32_e32 v115, 0x80, v19
                                        ; implicit-def: $vgpr19
	v_cmpx_gt_u64_e32 0x47600001, v[20:21]
	s_xor_b32 s42, exec_lo, s13
	s_cbranch_execz .LBB2_3682
; %bb.3669:                             ;   in Loop: Header=BB2_3647 Depth=3
	v_mov_b32_e32 v19, 0
	s_mov_b32 s43, exec_lo
	v_cmpx_ne_u32_e32 0, v42
	s_cbranch_execz .LBB2_3681
; %bb.3670:                             ;   in Loop: Header=BB2_3647 Depth=3
	v_bfe_u32 v19, v42, 23, 8
	v_or_b32_e32 v42, 0x800000, v2
	s_delay_alu instid0(VALU_DEP_2) | instskip(SKIP_1) | instid1(VALU_DEP_2)
	v_sub_nc_u32_e32 v20, 0x71, v19
	v_cmp_gt_u32_e32 vcc_lo, 0x72, v19
	v_cndmask_b32_e32 v20, 0, v20, vcc_lo
	v_cmp_eq_u32_e32 vcc_lo, 0, v19
	s_delay_alu instid0(VALU_DEP_2) | instskip(SKIP_1) | instid1(VALU_DEP_2)
	v_cndmask_b32_e64 v46, v20, 0x70, vcc_lo
	v_cndmask_b32_e32 v2, v42, v2, vcc_lo
	v_dual_add_nc_u32 v20, 21, v46 :: v_dual_add_nc_u32 v43, 20, v46
	s_delay_alu instid0(VALU_DEP_1) | instskip(NEXT) | instid1(VALU_DEP_2)
	v_lshlrev_b64_e64 v[20:21], v20, -1
	v_lshlrev_b64_e64 v[44:45], v43, 1
	s_delay_alu instid0(VALU_DEP_4) | instskip(NEXT) | instid1(VALU_DEP_3)
	v_lshrrev_b64 v[42:43], v46, v[2:3]
	v_bfi_b32 v21, v21, 0, 0
	s_delay_alu instid0(VALU_DEP_4) | instskip(NEXT) | instid1(VALU_DEP_1)
	v_bfi_b32 v20, v20, 0, v2
	v_cmp_eq_u64_e64 s13, v[20:21], v[44:45]
	s_delay_alu instid0(VALU_DEP_4)
	v_mov_b64_e32 v[44:45], v[42:43]
	s_and_saveexec_b32 s73, s13
; %bb.3671:                             ;   in Loop: Header=BB2_3647 Depth=3
	v_bfe_u32 v2, v42, 21, 1
	s_delay_alu instid0(VALU_DEP_1) | instskip(NEXT) | instid1(VALU_DEP_1)
	v_add_nc_u64_e32 v[20:21], v[42:43], v[2:3]
	v_add_nc_u64_e32 v[44:45], -1, v[20:21]
; %bb.3672:                             ;   in Loop: Header=BB2_3647 Depth=3
	s_or_b32 exec_lo, exec_lo, s73
	v_add_nc_u32_e32 v2, 0xffffff81, v19
	v_lshrrev_b32_e32 v19, 23, v42
	s_mov_b32 s13, exec_lo
	s_delay_alu instid0(VALU_DEP_2) | instskip(NEXT) | instid1(VALU_DEP_1)
	v_cndmask_b32_e64 v2, v2, 0xffffff82, vcc_lo
	v_add3_u32 v19, v46, v2, v19
	v_and_b32_e32 v2, 0x1fffff, v44
                                        ; implicit-def: $vgpr44
	s_delay_alu instid0(VALU_DEP_1) | instskip(NEXT) | instid1(VALU_DEP_1)
	v_dual_add_nc_u32 v45, 14, v19 :: v_dual_add_nc_u32 v2, v2, v42
                                        ; implicit-def: $vgpr42_vgpr43
	v_cmpx_ne_u32_e32 0, v45
	s_xor_b32 s13, exec_lo, s13
; %bb.3673:                             ;   in Loop: Header=BB2_3647 Depth=3
	s_delay_alu instid0(VALU_DEP_2) | instskip(SKIP_1) | instid1(VALU_DEP_1)
	v_cmp_lt_u64_e32 vcc_lo, 0xffffff, v[2:3]
	v_add_nc_u32_e32 v19, 15, v19
	v_cndmask_b32_e32 v44, v45, v19, vcc_lo
	v_cndmask_b32_e64 v19, 0, 1, vcc_lo
	s_delay_alu instid0(VALU_DEP_1)
	v_lshrrev_b64 v[42:43], v19, v[2:3]
; %bb.3674:                             ;   in Loop: Header=BB2_3647 Depth=3
	s_and_not1_saveexec_b32 s13, s13
; %bb.3675:                             ;   in Loop: Header=BB2_3647 Depth=3
	v_mov_b64_e32 v[42:43], v[2:3]
	v_bfe_u32 v44, v2, 23, 1
; %bb.3676:                             ;   in Loop: Header=BB2_3647 Depth=3
	s_or_b32 exec_lo, exec_lo, s13
	s_delay_alu instid0(VALU_DEP_2) | instskip(NEXT) | instid1(VALU_DEP_2)
	v_lshrrev_b64 v[20:21], 21, v[42:43]
	v_cmp_gt_i32_e32 vcc_lo, 32, v44
	v_cmp_ne_u32_e64 s13, 0, v44
                                        ; implicit-def: $vgpr19
	s_delay_alu instid0(VALU_DEP_3) | instskip(NEXT) | instid1(VALU_DEP_1)
	v_dual_cndmask_b32 v43, 0, v21 :: v_dual_cndmask_b32 v42, 3, v20
	v_cmp_ne_u64_e32 vcc_lo, 0, v[42:43]
	s_or_b32 s13, s13, vcc_lo
	s_delay_alu instid0(SALU_CYCLE_1) | instskip(NEXT) | instid1(SALU_CYCLE_1)
	s_and_saveexec_b32 s73, s13
	s_xor_b32 s13, exec_lo, s73
; %bb.3677:                             ;   in Loop: Header=BB2_3647 Depth=3
	v_min_i32_e32 v2, 31, v44
	s_delay_alu instid0(VALU_DEP_1) | instskip(NEXT) | instid1(VALU_DEP_1)
	v_lshl_or_b32 v2, v2, 2, v115
                                        ; implicit-def: $vgpr115
	v_and_or_b32 v19, v42, 3, v2
; %bb.3678:                             ;   in Loop: Header=BB2_3647 Depth=3
	s_and_not1_saveexec_b32 s13, s13
; %bb.3679:                             ;   in Loop: Header=BB2_3647 Depth=3
	v_mov_b32_e32 v19, v115
; %bb.3680:                             ;   in Loop: Header=BB2_3647 Depth=3
	s_or_b32 exec_lo, exec_lo, s13
.LBB2_3681:                             ;   in Loop: Header=BB2_3647 Depth=3
	s_delay_alu instid0(SALU_CYCLE_1)
	s_or_b32 exec_lo, exec_lo, s43
                                        ; implicit-def: $vgpr115
.LBB2_3682:                             ;   in Loop: Header=BB2_3647 Depth=3
	s_and_not1_saveexec_b32 s13, s42
; %bb.3683:                             ;   in Loop: Header=BB2_3647 Depth=3
	v_or_b32_e32 v19, 0x7b, v115
; %bb.3684:                             ;   in Loop: Header=BB2_3647 Depth=3
	s_or_b32 exec_lo, exec_lo, s13
                                        ; implicit-def: $vgpr42
.LBB2_3685:                             ;   in Loop: Header=BB2_3647 Depth=3
	s_and_not1_saveexec_b32 s13, s14
	s_cbranch_execz .LBB2_3691
; %bb.3686:                             ;   in Loop: Header=BB2_3647 Depth=3
	s_mov_b32 s14, exec_lo
                                        ; implicit-def: $vgpr19
	v_cmpx_ne_u64_e32 0, v[2:3]
	s_xor_b32 s14, exec_lo, s14
; %bb.3687:                             ;   in Loop: Header=BB2_3647 Depth=3
	v_lshrrev_b32_e32 v2, 24, v42
                                        ; implicit-def: $vgpr42
	s_delay_alu instid0(VALU_DEP_1)
	v_or_b32_e32 v19, 0x7f, v2
; %bb.3688:                             ;   in Loop: Header=BB2_3647 Depth=3
	s_and_not1_saveexec_b32 s14, s14
; %bb.3689:                             ;   in Loop: Header=BB2_3647 Depth=3
	v_cmp_lt_i32_e32 vcc_lo, -1, v42
	v_cndmask_b32_e64 v19, -4, 0x7c, vcc_lo
; %bb.3690:                             ;   in Loop: Header=BB2_3647 Depth=3
	s_or_b32 exec_lo, exec_lo, s14
.LBB2_3691:                             ;   in Loop: Header=BB2_3647 Depth=3
	s_delay_alu instid0(SALU_CYCLE_1)
	s_or_b32 exec_lo, exec_lo, s13
	s_mov_b64 s[42:43], 0
	s_mov_b32 s73, -1
.LBB2_3692:                             ;   Parent Loop BB2_47 Depth=1
                                        ;     Parent Loop BB2_2043 Depth=2
                                        ;       Parent Loop BB2_3647 Depth=3
                                        ; =>      This Inner Loop Header: Depth=4
	s_cmp_eq_u32 s42, 1
	s_cselect_b32 vcc_lo, -1, 0
	s_cmp_eq_u32 s42, 0
	s_wait_xcnt 0x0
	v_dual_cndmask_b32 v21, v9, v11 :: v_dual_cndmask_b32 v20, v8, v10
	s_cselect_b32 s13, -1, 0
	s_and_b32 s14, exec_lo, s73
	s_mov_b64 s[42:43], 1
	s_mov_b32 s73, 0
	v_add_nc_u64_e32 v[42:43], 32, v[20:21]
	flat_store_b8 v[20:21], v19 th:TH_STORE_NT
	v_dual_cndmask_b32 v11, v11, v43 :: v_dual_cndmask_b32 v10, v10, v42
	v_dual_cndmask_b32 v9, v9, v43, s13 :: v_dual_cndmask_b32 v8, v8, v42, s13
	s_mov_b32 vcc_lo, s14
	s_cbranch_vccnz .LBB2_3692
; %bb.3693:                             ;   in Loop: Header=BB2_3647 Depth=3
	v_sub_nc_u32_e32 v18, v18, v38
	v_add_nc_u64_e32 v[12:13], v[12:13], v[82:83]
	v_add_nc_u64_e32 v[14:15], v[14:15], v[82:83]
	;; [unrolled: 1-line block ×4, first 2 shown]
	v_cmp_gt_i32_e32 vcc_lo, 1, v18
	s_or_b32 s72, vcc_lo, s72
	s_wait_xcnt 0x0
	s_and_not1_b32 exec_lo, exec_lo, s72
	s_cbranch_execnz .LBB2_3647
.LBB2_3694:                             ;   in Loop: Header=BB2_2043 Depth=2
	s_or_b32 exec_lo, exec_lo, s15
	s_mov_b32 s13, 0
.LBB2_3695:                             ;   in Loop: Header=BB2_2043 Depth=2
	s_delay_alu instid0(SALU_CYCLE_1)
	s_and_b32 vcc_lo, exec_lo, s13
	s_cbranch_vccz .LBB2_5272
; %bb.3696:                             ;   in Loop: Header=BB2_2043 Depth=2
	s_mov_b32 s13, -1
	s_and_saveexec_b32 s14, s12
	s_cbranch_execz .LBB2_3698
; %bb.3697:                             ;   in Loop: Header=BB2_2043 Depth=2
	ds_load_b32 v2, v0 offset:720
	s_wait_dscnt 0x0
	v_and_b32_e32 v2, 15, v2
	s_delay_alu instid0(VALU_DEP_1)
	v_cmp_eq_u32_e32 vcc_lo, 0, v2
	s_or_not1_b32 s13, vcc_lo, exec_lo
.LBB2_3698:                             ;   in Loop: Header=BB2_2043 Depth=2
	s_or_b32 exec_lo, exec_lo, s14
	s_and_saveexec_b32 s14, s10
	s_cbranch_execz .LBB2_3700
; %bb.3699:                             ;   in Loop: Header=BB2_2043 Depth=2
	ds_load_b32 v2, v0 offset:784
	s_wait_dscnt 0x0
	v_and_b32_e32 v2, 15, v2
	s_delay_alu instid0(VALU_DEP_1) | instskip(SKIP_3) | instid1(SALU_CYCLE_1)
	v_cmp_eq_u32_e32 vcc_lo, 0, v2
	s_and_b32 s15, s13, vcc_lo
	s_and_not1_b32 s13, s13, exec_lo
	s_and_b32 s15, s15, exec_lo
	s_or_b32 s13, s13, s15
.LBB2_3700:                             ;   in Loop: Header=BB2_2043 Depth=2
	s_or_b32 exec_lo, exec_lo, s14
	s_xor_b32 s13, s13, -1
	v_dual_mov_b32 v92, 0 :: v_dual_mov_b32 v93, v113
	v_cndmask_b32_e64 v2, 0, 1, s13
	v_mov_b32_e32 v94, v0
	s_mov_b32 s42, -1
	s_delay_alu instid0(VALU_DEP_2)
	v_cmp_ne_u32_e32 vcc_lo, 0, v2
	v_mov_b32_e32 v2, v120
	s_cbranch_vccz .LBB2_3702
; %bb.3701:                             ;   in Loop: Header=BB2_2043 Depth=2
	s_and_saveexec_b32 s14, s42
	s_cbranch_execnz .LBB2_4867
	s_branch .LBB2_5271
.LBB2_3702:                             ;   in Loop: Header=BB2_2043 Depth=2
	v_dual_ashrrev_i32 v2, 31, v113 :: v_dual_sub_nc_u32 v115, v113, v50
	s_mov_b32 s15, exec_lo
	s_delay_alu instid0(VALU_DEP_1) | instskip(NEXT) | instid1(VALU_DEP_1)
	v_lshrrev_b32_e32 v2, 23, v2
	v_add_nc_u32_e32 v2, v113, v2
	s_delay_alu instid0(VALU_DEP_1) | instskip(SKIP_1) | instid1(VALU_DEP_2)
	v_and_b32_e32 v62, 0xfffffe00, v2
	v_ashrrev_i32_e32 v2, 9, v2
	v_sub_nc_u32_e32 v63, v113, v62
	s_delay_alu instid0(VALU_DEP_1) | instskip(NEXT) | instid1(VALU_DEP_3)
	v_cmp_lt_i32_e32 vcc_lo, 15, v63
	v_add_co_ci_u32_e64 v72, null, v2, v122, vcc_lo
	v_cmpx_lt_i32_e32 15, v115
	s_cbranch_execz .LBB2_4282
; %bb.3703:                             ;   in Loop: Header=BB2_2043 Depth=2
	s_trap 2
	ds_load_b64 v[8:9], v0
	v_add_nc_u64_e32 v[42:43], v[118:119], v[50:51]
	v_add_nc_u64_e32 v[46:47], v[40:41], v[50:51]
	s_mov_b32 s42, 0
	s_wait_dscnt 0x0
	v_add_nc_u64_e32 v[44:45], v[8:9], v[50:51]
	s_branch .LBB2_3706
.LBB2_3704:                             ;   in Loop: Header=BB2_3706 Depth=3
	s_or_b32 exec_lo, exec_lo, s43
.LBB2_3705:                             ;   in Loop: Header=BB2_3706 Depth=3
	s_delay_alu instid0(SALU_CYCLE_1)
	s_or_b32 exec_lo, exec_lo, s14
	v_lshl_or_b32 v2, v61, 8, v60
	v_dual_lshlrev_b32 v9, 16, v58 :: v_dual_lshlrev_b32 v13, 16, v75
	v_dual_lshlrev_b32 v10, 24, v18 :: v_dual_lshlrev_b32 v14, 24, v76
	v_lshl_or_b32 v11, v74, 8, v73
	v_lshl_or_b32 v15, v59, 8, v19
	v_dual_lshlrev_b32 v18, 16, v77 :: v_dual_lshlrev_b32 v19, 24, v78
	v_dual_lshlrev_b32 v20, 24, v8 :: v_dual_sub_nc_u32 v115, v115, v66
	v_lshlrev_b32_e32 v12, 16, v12
	v_lshl_or_b32 v21, v57, 8, v56
	v_or3_b32 v9, v2, v9, v10
	v_or3_b32 v8, v11, v13, v14
	;; [unrolled: 1-line block ×3, first 2 shown]
	v_add_nc_u64_e32 v[42:43], v[42:43], v[66:67]
	v_or3_b32 v11, v21, v12, v20
	v_add_nc_u64_e32 v[44:45], v[44:45], v[66:67]
	v_cmp_gt_i32_e64 s13, 16, v115
	v_sub_nc_u32_e32 v72, v72, v36
	global_store_b128 v[46:47], v[8:11], off th:TH_STORE_NT
	s_wait_xcnt 0x0
	v_add_nc_u64_e32 v[46:47], v[46:47], v[66:67]
	s_or_b32 s42, s13, s42
	s_delay_alu instid0(SALU_CYCLE_1)
	s_and_not1_b32 exec_lo, exec_lo, s42
	s_cbranch_execz .LBB2_4281
.LBB2_3706:                             ;   Parent Loop BB2_47 Depth=1
                                        ;     Parent Loop BB2_2043 Depth=2
                                        ; =>    This Inner Loop Header: Depth=3
	global_load_b128 v[12:15], v[42:43], off th:TH_LOAD_NT
	global_load_b128 v[8:11], v[44:45], off th:TH_LOAD_NT
	s_wait_loadcnt 0x1
	v_and_b32_e32 v2, 0xff, v12
	s_delay_alu instid0(VALU_DEP_1)
	v_cmp_ne_u16_e64 s13, 0, v2
	v_mov_b32_e32 v2, 0
	s_wait_xcnt 0x0
	s_and_saveexec_b32 s14, s13
	s_cbranch_execz .LBB2_3716
; %bb.3707:                             ;   in Loop: Header=BB2_3706 Depth=3
	v_bfe_i32 v19, v12, 0, 8
	v_bfrev_b32_e32 v2, 1
	s_mov_b32 s43, exec_lo
	s_delay_alu instid0(VALU_DEP_2)
	v_cmpx_ne_u16_e32 0xff80, v19
	s_cbranch_execz .LBB2_3715
; %bb.3708:                             ;   in Loop: Header=BB2_3706 Depth=3
	v_and_b32_e32 v2, 0x7c, v12
	v_and_b32_e32 v18, 3, v12
	s_delay_alu instid0(VALU_DEP_2) | instskip(SKIP_1) | instid1(SALU_CYCLE_1)
	v_cmp_ne_u32_e64 s13, 0x7c, v2
                                        ; implicit-def: $vgpr2
	s_and_saveexec_b32 s72, s13
	s_xor_b32 s72, exec_lo, s72
	s_cbranch_execz .LBB2_3712
; %bb.3709:                             ;   in Loop: Header=BB2_3706 Depth=3
	v_bfe_u32 v2, v12, 2, 5
	s_mov_b32 s73, exec_lo
	s_delay_alu instid0(VALU_DEP_1)
	v_cmpx_eq_u32_e32 0, v2
; %bb.3710:                             ;   in Loop: Header=BB2_3706 Depth=3
	v_clz_i32_u32_e32 v2, v18
	s_delay_alu instid0(VALU_DEP_1) | instskip(NEXT) | instid1(VALU_DEP_1)
	v_min_u32_e32 v2, 32, v2
	v_subrev_nc_u32_e32 v18, 29, v2
	v_sub_nc_u32_e32 v2, 30, v2
	s_delay_alu instid0(VALU_DEP_2) | instskip(NEXT) | instid1(VALU_DEP_1)
	v_lshlrev_b64_e32 v[18:19], v18, v[12:13]
	v_and_b32_e32 v18, 3, v18
; %bb.3711:                             ;   in Loop: Header=BB2_3706 Depth=3
	s_or_b32 exec_lo, exec_lo, s73
	v_lshlrev_b32_e32 v19, 24, v12
	s_delay_alu instid0(VALU_DEP_1) | instskip(NEXT) | instid1(VALU_DEP_1)
	v_and_b32_e32 v19, 0x80000000, v19
	v_lshl_add_u32 v2, v2, 23, v19
                                        ; implicit-def: $vgpr19
	s_delay_alu instid0(VALU_DEP_1) | instskip(NEXT) | instid1(VALU_DEP_1)
	v_lshl_or_b32 v2, v18, 21, v2
                                        ; implicit-def: $vgpr18
	v_add_nc_u32_e32 v2, 0x38000000, v2
.LBB2_3712:                             ;   in Loop: Header=BB2_3706 Depth=3
	s_and_not1_saveexec_b32 s72, s72
; %bb.3713:                             ;   in Loop: Header=BB2_3706 Depth=3
	v_cmp_lt_i16_e64 s13, -1, v19
	s_delay_alu instid0(VALU_DEP_1) | instskip(SKIP_1) | instid1(VALU_DEP_1)
	v_cndmask_b32_e64 v2, 0xff800000, v109, s13
	v_cmp_eq_u32_e64 s13, 0, v18
	v_cndmask_b32_e64 v2, 0x7f800001, v2, s13
; %bb.3714:                             ;   in Loop: Header=BB2_3706 Depth=3
	s_or_b32 exec_lo, exec_lo, s72
.LBB2_3715:                             ;   in Loop: Header=BB2_3706 Depth=3
	s_delay_alu instid0(SALU_CYCLE_1)
	s_or_b32 exec_lo, exec_lo, s43
.LBB2_3716:                             ;   in Loop: Header=BB2_3706 Depth=3
	s_delay_alu instid0(SALU_CYCLE_1) | instskip(SKIP_4) | instid1(VALU_DEP_1)
	s_or_b32 exec_lo, exec_lo, s14
	s_wait_loadcnt 0x0
	v_and_b32_e32 v19, 0xff, v8
	s_mov_b32 s43, 0
	s_mov_b32 s14, exec_lo
	v_cmpx_lt_i16_e32 0x7f, v19
	s_xor_b32 s14, exec_lo, s14
	s_cbranch_execz .LBB2_4257
; %bb.3717:                             ;   in Loop: Header=BB2_3706 Depth=3
	s_mov_b32 s43, -1
	s_mov_b32 s72, exec_lo
	v_cmpx_eq_u16_e32 0x80, v19
; %bb.3718:                             ;   in Loop: Header=BB2_3706 Depth=3
	s_xor_b32 s43, exec_lo, -1
; %bb.3719:                             ;   in Loop: Header=BB2_3706 Depth=3
	s_or_b32 exec_lo, exec_lo, s72
	s_delay_alu instid0(SALU_CYCLE_1)
	s_and_b32 s43, s43, exec_lo
                                        ; implicit-def: $vgpr19
	s_or_saveexec_b32 s14, s14
	v_bfrev_b32_e32 v18, 1
	s_xor_b32 exec_lo, exec_lo, s14
	s_cbranch_execnz .LBB2_4258
.LBB2_3720:                             ;   in Loop: Header=BB2_3706 Depth=3
	s_or_b32 exec_lo, exec_lo, s14
	s_and_saveexec_b32 s14, s43
	s_cbranch_execz .LBB2_3722
.LBB2_3721:                             ;   in Loop: Header=BB2_3706 Depth=3
	v_and_b32_e32 v20, 3, v8
	v_bfe_u32 v56, v8, 2, 5
	s_delay_alu instid0(VALU_DEP_2) | instskip(NEXT) | instid1(VALU_DEP_2)
	v_clz_i32_u32_e32 v18, v20
	v_cmp_eq_u32_e64 s13, 0, v56
	s_delay_alu instid0(VALU_DEP_2) | instskip(NEXT) | instid1(VALU_DEP_1)
	v_min_u32_e32 v21, 32, v18
	v_subrev_nc_u32_e32 v18, 29, v21
	s_delay_alu instid0(VALU_DEP_1) | instskip(SKIP_1) | instid1(VALU_DEP_1)
	v_lshlrev_b64_e32 v[18:19], v18, v[8:9]
	v_dual_lshlrev_b32 v19, 24, v8 :: v_dual_sub_nc_u32 v21, 30, v21
	v_and_b32_e32 v19, 0x80000000, v19
	s_delay_alu instid0(VALU_DEP_2) | instskip(SKIP_1) | instid1(VALU_DEP_2)
	v_dual_cndmask_b32 v21, v56, v21, s13 :: v_dual_bitop2_b32 v18, 3, v18 bitop3:0x40
	v_bfe_i32 v56, v8, 0, 8
	v_cndmask_b32_e64 v18, v20, v18, s13
	s_delay_alu instid0(VALU_DEP_3) | instskip(NEXT) | instid1(VALU_DEP_3)
	v_lshl_add_u32 v19, v21, 23, v19
	v_cmp_lt_i16_e64 s13, -1, v56
	s_delay_alu instid0(VALU_DEP_2) | instskip(NEXT) | instid1(VALU_DEP_2)
	v_lshl_or_b32 v18, v18, 21, v19
	v_cndmask_b32_e64 v21, 0xff800000, v109, s13
	v_and_b32_e32 v19, 0x7c, v8
	v_cmp_eq_u32_e64 s13, 0, v20
	s_delay_alu instid0(VALU_DEP_4) | instskip(NEXT) | instid1(VALU_DEP_2)
	v_add_nc_u32_e32 v18, 0x38000000, v18
	v_cndmask_b32_e64 v20, 0x7f800001, v21, s13
	s_delay_alu instid0(VALU_DEP_4) | instskip(NEXT) | instid1(VALU_DEP_1)
	v_cmp_eq_u32_e64 s13, 0x7c, v19
	v_cndmask_b32_e64 v18, v18, v20, s13
.LBB2_3722:                             ;   in Loop: Header=BB2_3706 Depth=3
	s_or_b32 exec_lo, exec_lo, s14
	s_delay_alu instid0(VALU_DEP_1) | instskip(SKIP_1) | instid1(VALU_DEP_1)
	v_dual_mul_f32 v19, v2, v18 :: v_dual_mov_b32 v57, v3
                                        ; implicit-def: $vgpr73
	s_mov_b32 s14, exec_lo
	v_and_b32_e32 v56, 0x7f800000, v19
	v_and_b32_e32 v2, 0x7fffff, v19
	v_lshrrev_b32_e32 v18, 24, v19
	s_delay_alu instid0(VALU_DEP_3)
	v_cmpx_ne_u64_e32 0x7f800000, v[56:57]
	s_xor_b32 s43, exec_lo, s14
	s_cbranch_execz .LBB2_3736
; %bb.3723:                             ;   in Loop: Header=BB2_3706 Depth=3
	v_and_b32_e32 v56, 0x7fffffff, v19
	v_mov_b32_e32 v57, v3
	v_and_b32_e32 v18, 0x80, v18
                                        ; implicit-def: $vgpr73
	s_mov_b32 s14, exec_lo
	s_delay_alu instid0(VALU_DEP_2)
	v_cmpx_gt_u64_e32 0x47600001, v[56:57]
	s_xor_b32 s72, exec_lo, s14
	s_cbranch_execz .LBB2_3733
; %bb.3724:                             ;   in Loop: Header=BB2_3706 Depth=3
	v_mov_b32_e32 v73, 0
	s_mov_b32 s73, exec_lo
	v_cmpx_ne_u32_e32 0, v19
	s_cbranch_execz .LBB2_3732
; %bb.3725:                             ;   in Loop: Header=BB2_3706 Depth=3
	v_bfe_u32 v19, v19, 23, 8
	v_or_b32_e32 v21, 0x800000, v2
	s_delay_alu instid0(VALU_DEP_2) | instskip(SKIP_1) | instid1(VALU_DEP_1)
	v_sub_nc_u32_e32 v20, 0x71, v19
	v_cmp_gt_u32_e64 s13, 0x72, v19
	v_cndmask_b32_e64 v20, 0, v20, s13
	v_cmp_eq_u32_e64 s13, 0, v19
	s_delay_alu instid0(VALU_DEP_1) | instskip(NEXT) | instid1(VALU_DEP_3)
	v_cndmask_b32_e64 v2, v21, v2, s13
	v_cndmask_b32_e64 v60, v20, 0x70, s13
	s_delay_alu instid0(VALU_DEP_1) | instskip(NEXT) | instid1(VALU_DEP_1)
	v_add_nc_u32_e32 v20, 21, v60
	v_lshlrev_b64_e64 v[56:57], v20, -1
	v_add_nc_u32_e32 v20, 20, v60
	s_delay_alu instid0(VALU_DEP_1) | instskip(NEXT) | instid1(VALU_DEP_3)
	v_lshlrev_b64_e64 v[58:59], v20, 1
	v_bfi_b32 v75, v57, 0, 0
	s_delay_alu instid0(VALU_DEP_4) | instskip(SKIP_1) | instid1(VALU_DEP_2)
	v_bfi_b32 v74, v56, 0, v2
	v_lshrrev_b64 v[56:57], v60, v[2:3]
	v_cmp_eq_u64_e64 s14, v[74:75], v[58:59]
	s_delay_alu instid0(VALU_DEP_2)
	v_mov_b64_e32 v[58:59], v[56:57]
	s_and_saveexec_b32 s74, s14
; %bb.3726:                             ;   in Loop: Header=BB2_3706 Depth=3
	v_bfe_u32 v2, v56, 21, 1
	s_delay_alu instid0(VALU_DEP_1) | instskip(NEXT) | instid1(VALU_DEP_1)
	v_add_nc_u64_e32 v[58:59], v[56:57], v[2:3]
	v_add_nc_u64_e32 v[58:59], -1, v[58:59]
; %bb.3727:                             ;   in Loop: Header=BB2_3706 Depth=3
	s_or_b32 exec_lo, exec_lo, s74
	v_add_nc_u32_e32 v2, 0xffffff81, v19
	v_lshrrev_b32_e32 v19, 23, v56
	s_mov_b32 s14, exec_lo
	s_delay_alu instid0(VALU_DEP_2) | instskip(NEXT) | instid1(VALU_DEP_1)
	v_cndmask_b32_e64 v2, v2, 0xffffff82, s13
	v_add3_u32 v59, v60, v2, v19
	v_and_b32_e32 v2, 0x1fffff, v58
                                        ; implicit-def: $vgpr19
	s_delay_alu instid0(VALU_DEP_1) | instskip(NEXT) | instid1(VALU_DEP_1)
	v_dual_add_nc_u32 v58, 14, v59 :: v_dual_add_nc_u32 v2, v2, v56
                                        ; implicit-def: $vgpr56_vgpr57
	v_cmpx_ne_u32_e32 0, v58
	s_xor_b32 s14, exec_lo, s14
; %bb.3728:                             ;   in Loop: Header=BB2_3706 Depth=3
	s_delay_alu instid0(VALU_DEP_2) | instskip(SKIP_1) | instid1(VALU_DEP_2)
	v_cmp_lt_u64_e64 s13, 0xffffff, v[2:3]
	v_add_nc_u32_e32 v19, 15, v59
	v_cndmask_b32_e64 v20, 0, 1, s13
	s_delay_alu instid0(VALU_DEP_2) | instskip(NEXT) | instid1(VALU_DEP_2)
	v_cndmask_b32_e64 v19, v58, v19, s13
	v_lshrrev_b64 v[56:57], v20, v[2:3]
; %bb.3729:                             ;   in Loop: Header=BB2_3706 Depth=3
	s_and_not1_saveexec_b32 s13, s14
; %bb.3730:                             ;   in Loop: Header=BB2_3706 Depth=3
	v_mov_b64_e32 v[56:57], v[2:3]
	v_bfe_u32 v19, v2, 23, 1
; %bb.3731:                             ;   in Loop: Header=BB2_3706 Depth=3
	s_or_b32 exec_lo, exec_lo, s13
	s_delay_alu instid0(VALU_DEP_2) | instskip(NEXT) | instid1(VALU_DEP_2)
	v_lshrrev_b64 v[56:57], 21, v[56:57]
	v_cmp_gt_i32_e64 s13, 32, v19
	v_min_i32_e32 v2, 31, v19
	v_cmp_eq_u32_e64 s14, 0, v19
	s_delay_alu instid0(VALU_DEP_2) | instskip(SKIP_1) | instid1(VALU_DEP_2)
	v_dual_cndmask_b32 v57, 0, v57, s13 :: v_dual_lshlrev_b32 v2, 2, v2
	v_cndmask_b32_e64 v56, 3, v56, s13
	v_and_b32_e32 v2, 0xfc, v2
	s_delay_alu instid0(VALU_DEP_2) | instskip(NEXT) | instid1(VALU_DEP_2)
	v_cmp_eq_u64_e64 s13, 0, v[56:57]
	v_and_or_b32 v2, v56, 3, v2
	s_and_b32 s13, s14, s13
	s_delay_alu instid0(VALU_DEP_1) | instid1(SALU_CYCLE_1)
	v_cndmask_b32_e64 v2, v2, 0, s13
	s_delay_alu instid0(VALU_DEP_1)
	v_or_b32_e32 v73, v2, v18
.LBB2_3732:                             ;   in Loop: Header=BB2_3706 Depth=3
	s_or_b32 exec_lo, exec_lo, s73
                                        ; implicit-def: $vgpr18
.LBB2_3733:                             ;   in Loop: Header=BB2_3706 Depth=3
	s_and_not1_saveexec_b32 s13, s72
; %bb.3734:                             ;   in Loop: Header=BB2_3706 Depth=3
	v_or_b32_e32 v73, 0x7b, v18
; %bb.3735:                             ;   in Loop: Header=BB2_3706 Depth=3
	s_or_b32 exec_lo, exec_lo, s13
                                        ; implicit-def: $vgpr19
                                        ; implicit-def: $vgpr18
.LBB2_3736:                             ;   in Loop: Header=BB2_3706 Depth=3
	s_and_not1_saveexec_b32 s14, s43
	s_cbranch_execz .LBB2_3742
; %bb.3737:                             ;   in Loop: Header=BB2_3706 Depth=3
	v_cmp_ne_u64_e64 s13, 0, v[2:3]
                                        ; implicit-def: $vgpr73
	s_and_saveexec_b32 s43, s13
	s_delay_alu instid0(SALU_CYCLE_1)
	s_xor_b32 s13, exec_lo, s43
; %bb.3738:                             ;   in Loop: Header=BB2_3706 Depth=3
	v_or_b32_e32 v73, 0x7f, v18
                                        ; implicit-def: $vgpr19
; %bb.3739:                             ;   in Loop: Header=BB2_3706 Depth=3
	s_and_not1_saveexec_b32 s43, s13
; %bb.3740:                             ;   in Loop: Header=BB2_3706 Depth=3
	v_cmp_lt_i32_e64 s13, -1, v19
	s_delay_alu instid0(VALU_DEP_1)
	v_cndmask_b32_e64 v73, 0xfc, v110, s13
; %bb.3741:                             ;   in Loop: Header=BB2_3706 Depth=3
	s_or_b32 exec_lo, exec_lo, s43
.LBB2_3742:                             ;   in Loop: Header=BB2_3706 Depth=3
	s_delay_alu instid0(SALU_CYCLE_1) | instskip(SKIP_3) | instid1(VALU_DEP_2)
	s_or_b32 exec_lo, exec_lo, s14
	v_lshrrev_b16 v2, 8, v12
	v_mov_b32_e32 v18, 0
	s_mov_b32 s14, exec_lo
	v_cmpx_ne_u16_e32 0, v2
	s_cbranch_execz .LBB2_3752
; %bb.3743:                             ;   in Loop: Header=BB2_3706 Depth=3
	v_bfrev_b32_e32 v18, 1
	s_mov_b32 s43, exec_lo
	v_cmpx_ne_u16_e32 0x80, v2
	s_cbranch_execz .LBB2_3751
; %bb.3744:                             ;   in Loop: Header=BB2_3706 Depth=3
	v_and_b32_e32 v56, 0xffff, v2
	s_delay_alu instid0(VALU_DEP_1) | instskip(SKIP_1) | instid1(VALU_DEP_2)
	v_and_b32_e32 v18, 0x7c, v56
	v_and_b32_e32 v19, 3, v56
	v_cmp_ne_u32_e64 s13, 0x7c, v18
                                        ; implicit-def: $vgpr18
	s_and_saveexec_b32 s72, s13
	s_delay_alu instid0(SALU_CYCLE_1)
	s_xor_b32 s72, exec_lo, s72
	s_cbranch_execz .LBB2_3748
; %bb.3745:                             ;   in Loop: Header=BB2_3706 Depth=3
	v_bfe_u32 v18, v56, 2, 5
	s_mov_b32 s73, exec_lo
	s_delay_alu instid0(VALU_DEP_1)
	v_cmpx_eq_u32_e32 0, v18
; %bb.3746:                             ;   in Loop: Header=BB2_3706 Depth=3
	v_clz_i32_u32_e32 v18, v19
	s_delay_alu instid0(VALU_DEP_1) | instskip(NEXT) | instid1(VALU_DEP_1)
	v_min_u32_e32 v18, 32, v18
	v_subrev_nc_u32_e32 v19, 29, v18
	s_delay_alu instid0(VALU_DEP_1) | instskip(NEXT) | instid1(VALU_DEP_1)
	v_lshlrev_b64_e32 v[56:57], v19, v[2:3]
	v_dual_sub_nc_u32 v18, 30, v18 :: v_dual_bitop2_b32 v19, 3, v56 bitop3:0x40
; %bb.3747:                             ;   in Loop: Header=BB2_3706 Depth=3
	s_or_b32 exec_lo, exec_lo, s73
	v_lshlrev_b32_e32 v2, 16, v12
	s_delay_alu instid0(VALU_DEP_1) | instskip(NEXT) | instid1(VALU_DEP_1)
	v_and_b32_e32 v2, 0x80000000, v2
	v_lshl_add_u32 v2, v18, 23, v2
	s_delay_alu instid0(VALU_DEP_1) | instskip(NEXT) | instid1(VALU_DEP_1)
	v_lshl_or_b32 v2, v19, 21, v2
                                        ; implicit-def: $vgpr19
	v_add_nc_u32_e32 v18, 0x38000000, v2
.LBB2_3748:                             ;   in Loop: Header=BB2_3706 Depth=3
	s_and_not1_saveexec_b32 s72, s72
; %bb.3749:                             ;   in Loop: Header=BB2_3706 Depth=3
	v_cmp_lt_i16_e64 s13, -1, v12
	s_delay_alu instid0(VALU_DEP_1) | instskip(SKIP_1) | instid1(VALU_DEP_1)
	v_cndmask_b32_e64 v2, 0xff800000, v109, s13
	v_cmp_eq_u32_e64 s13, 0, v19
	v_cndmask_b32_e64 v18, 0x7f800001, v2, s13
; %bb.3750:                             ;   in Loop: Header=BB2_3706 Depth=3
	s_or_b32 exec_lo, exec_lo, s72
.LBB2_3751:                             ;   in Loop: Header=BB2_3706 Depth=3
	s_delay_alu instid0(SALU_CYCLE_1)
	s_or_b32 exec_lo, exec_lo, s43
.LBB2_3752:                             ;   in Loop: Header=BB2_3706 Depth=3
	s_delay_alu instid0(SALU_CYCLE_1) | instskip(SKIP_3) | instid1(VALU_DEP_1)
	s_or_b32 exec_lo, exec_lo, s14
	v_lshrrev_b16 v2, 8, v8
	s_mov_b32 s43, 0
	s_mov_b32 s14, exec_lo
	v_cmpx_lt_i16_e32 0x7f, v2
	s_xor_b32 s14, exec_lo, s14
	s_cbranch_execz .LBB2_4259
; %bb.3753:                             ;   in Loop: Header=BB2_3706 Depth=3
	s_mov_b32 s43, -1
	s_mov_b32 s72, exec_lo
	v_cmpx_eq_u16_e32 0x80, v2
; %bb.3754:                             ;   in Loop: Header=BB2_3706 Depth=3
	s_xor_b32 s43, exec_lo, -1
; %bb.3755:                             ;   in Loop: Header=BB2_3706 Depth=3
	s_or_b32 exec_lo, exec_lo, s72
	s_delay_alu instid0(SALU_CYCLE_1)
	s_and_b32 s43, s43, exec_lo
	s_or_saveexec_b32 s14, s14
	v_bfrev_b32_e32 v19, 1
	s_xor_b32 exec_lo, exec_lo, s14
	s_cbranch_execnz .LBB2_4260
.LBB2_3756:                             ;   in Loop: Header=BB2_3706 Depth=3
	s_or_b32 exec_lo, exec_lo, s14
	s_and_saveexec_b32 s14, s43
	s_cbranch_execz .LBB2_3758
.LBB2_3757:                             ;   in Loop: Header=BB2_3706 Depth=3
	v_and_b32_e32 v19, 0xffff, v2
	s_delay_alu instid0(VALU_DEP_1) | instskip(NEXT) | instid1(VALU_DEP_1)
	v_and_b32_e32 v20, 3, v19
	v_clz_i32_u32_e32 v21, v20
	s_delay_alu instid0(VALU_DEP_1) | instskip(NEXT) | instid1(VALU_DEP_1)
	v_min_u32_e32 v21, 32, v21
	v_subrev_nc_u32_e32 v56, 29, v21
	s_delay_alu instid0(VALU_DEP_1) | instskip(SKIP_3) | instid1(VALU_DEP_3)
	v_lshlrev_b64_e32 v[56:57], v56, v[2:3]
	v_bfe_u32 v57, v19, 2, 5
	v_dual_lshlrev_b32 v2, 24, v2 :: v_dual_sub_nc_u32 v21, 30, v21
	v_and_b32_e32 v19, 0x7c, v19
	v_cmp_eq_u32_e64 s13, 0, v57
	s_delay_alu instid0(VALU_DEP_3) | instskip(NEXT) | instid1(VALU_DEP_2)
	v_and_b32_e32 v2, 0x80000000, v2
	v_dual_cndmask_b32 v21, v57, v21, s13 :: v_dual_bitop2_b32 v56, 3, v56 bitop3:0x40
	s_delay_alu instid0(VALU_DEP_1) | instskip(SKIP_1) | instid1(VALU_DEP_3)
	v_cndmask_b32_e64 v56, v20, v56, s13
	v_cmp_lt_i16_e64 s13, -1, v8
	v_lshl_add_u32 v2, v21, 23, v2
	s_delay_alu instid0(VALU_DEP_2) | instskip(SKIP_1) | instid1(VALU_DEP_3)
	v_cndmask_b32_e64 v21, 0xff800000, v109, s13
	v_cmp_eq_u32_e64 s13, 0, v20
	v_lshl_or_b32 v2, v56, 21, v2
	s_delay_alu instid0(VALU_DEP_2) | instskip(NEXT) | instid1(VALU_DEP_2)
	v_cndmask_b32_e64 v20, 0x7f800001, v21, s13
	v_add_nc_u32_e32 v2, 0x38000000, v2
	v_cmp_eq_u32_e64 s13, 0x7c, v19
	s_delay_alu instid0(VALU_DEP_1)
	v_cndmask_b32_e64 v19, v2, v20, s13
.LBB2_3758:                             ;   in Loop: Header=BB2_3706 Depth=3
	s_or_b32 exec_lo, exec_lo, s14
	s_delay_alu instid0(VALU_DEP_1) | instskip(SKIP_1) | instid1(VALU_DEP_1)
	v_dual_mul_f32 v19, v18, v19 :: v_dual_mov_b32 v57, v3
                                        ; implicit-def: $vgpr74
	s_mov_b32 s14, exec_lo
	v_and_b32_e32 v56, 0x7f800000, v19
	v_and_b32_e32 v2, 0x7fffff, v19
	v_lshrrev_b32_e32 v18, 24, v19
	s_delay_alu instid0(VALU_DEP_3)
	v_cmpx_ne_u64_e32 0x7f800000, v[56:57]
	s_xor_b32 s43, exec_lo, s14
	s_cbranch_execz .LBB2_3772
; %bb.3759:                             ;   in Loop: Header=BB2_3706 Depth=3
	v_and_b32_e32 v56, 0x7fffffff, v19
	v_mov_b32_e32 v57, v3
	v_and_b32_e32 v18, 0x80, v18
                                        ; implicit-def: $vgpr74
	s_mov_b32 s14, exec_lo
	s_delay_alu instid0(VALU_DEP_2)
	v_cmpx_gt_u64_e32 0x47600001, v[56:57]
	s_xor_b32 s72, exec_lo, s14
	s_cbranch_execz .LBB2_3769
; %bb.3760:                             ;   in Loop: Header=BB2_3706 Depth=3
	v_mov_b32_e32 v74, 0
	s_mov_b32 s73, exec_lo
	v_cmpx_ne_u32_e32 0, v19
	s_cbranch_execz .LBB2_3768
; %bb.3761:                             ;   in Loop: Header=BB2_3706 Depth=3
	v_bfe_u32 v19, v19, 23, 8
	v_or_b32_e32 v21, 0x800000, v2
	s_delay_alu instid0(VALU_DEP_2) | instskip(SKIP_1) | instid1(VALU_DEP_1)
	v_sub_nc_u32_e32 v20, 0x71, v19
	v_cmp_gt_u32_e64 s13, 0x72, v19
	v_cndmask_b32_e64 v20, 0, v20, s13
	v_cmp_eq_u32_e64 s13, 0, v19
	s_delay_alu instid0(VALU_DEP_1) | instskip(NEXT) | instid1(VALU_DEP_3)
	v_cndmask_b32_e64 v2, v21, v2, s13
	v_cndmask_b32_e64 v60, v20, 0x70, s13
	s_delay_alu instid0(VALU_DEP_1) | instskip(NEXT) | instid1(VALU_DEP_1)
	v_add_nc_u32_e32 v20, 21, v60
	v_lshlrev_b64_e64 v[56:57], v20, -1
	v_add_nc_u32_e32 v20, 20, v60
	s_delay_alu instid0(VALU_DEP_1) | instskip(NEXT) | instid1(VALU_DEP_3)
	v_lshlrev_b64_e64 v[58:59], v20, 1
	v_bfi_b32 v75, v57, 0, 0
	s_delay_alu instid0(VALU_DEP_4) | instskip(SKIP_1) | instid1(VALU_DEP_2)
	v_bfi_b32 v74, v56, 0, v2
	v_lshrrev_b64 v[56:57], v60, v[2:3]
	v_cmp_eq_u64_e64 s14, v[74:75], v[58:59]
	s_delay_alu instid0(VALU_DEP_2)
	v_mov_b64_e32 v[58:59], v[56:57]
	s_and_saveexec_b32 s74, s14
; %bb.3762:                             ;   in Loop: Header=BB2_3706 Depth=3
	v_bfe_u32 v2, v56, 21, 1
	s_delay_alu instid0(VALU_DEP_1) | instskip(NEXT) | instid1(VALU_DEP_1)
	v_add_nc_u64_e32 v[58:59], v[56:57], v[2:3]
	v_add_nc_u64_e32 v[58:59], -1, v[58:59]
; %bb.3763:                             ;   in Loop: Header=BB2_3706 Depth=3
	s_or_b32 exec_lo, exec_lo, s74
	v_add_nc_u32_e32 v2, 0xffffff81, v19
	v_lshrrev_b32_e32 v19, 23, v56
	s_mov_b32 s14, exec_lo
	s_delay_alu instid0(VALU_DEP_2) | instskip(NEXT) | instid1(VALU_DEP_1)
	v_cndmask_b32_e64 v2, v2, 0xffffff82, s13
	v_add3_u32 v59, v60, v2, v19
	v_and_b32_e32 v2, 0x1fffff, v58
                                        ; implicit-def: $vgpr19
	s_delay_alu instid0(VALU_DEP_1) | instskip(NEXT) | instid1(VALU_DEP_1)
	v_dual_add_nc_u32 v58, 14, v59 :: v_dual_add_nc_u32 v2, v2, v56
                                        ; implicit-def: $vgpr56_vgpr57
	v_cmpx_ne_u32_e32 0, v58
	s_xor_b32 s14, exec_lo, s14
; %bb.3764:                             ;   in Loop: Header=BB2_3706 Depth=3
	s_delay_alu instid0(VALU_DEP_2) | instskip(SKIP_1) | instid1(VALU_DEP_2)
	v_cmp_lt_u64_e64 s13, 0xffffff, v[2:3]
	v_add_nc_u32_e32 v19, 15, v59
	v_cndmask_b32_e64 v20, 0, 1, s13
	s_delay_alu instid0(VALU_DEP_2) | instskip(NEXT) | instid1(VALU_DEP_2)
	v_cndmask_b32_e64 v19, v58, v19, s13
	v_lshrrev_b64 v[56:57], v20, v[2:3]
; %bb.3765:                             ;   in Loop: Header=BB2_3706 Depth=3
	s_and_not1_saveexec_b32 s13, s14
; %bb.3766:                             ;   in Loop: Header=BB2_3706 Depth=3
	v_mov_b64_e32 v[56:57], v[2:3]
	v_bfe_u32 v19, v2, 23, 1
; %bb.3767:                             ;   in Loop: Header=BB2_3706 Depth=3
	s_or_b32 exec_lo, exec_lo, s13
	s_delay_alu instid0(VALU_DEP_2) | instskip(NEXT) | instid1(VALU_DEP_2)
	v_lshrrev_b64 v[56:57], 21, v[56:57]
	v_cmp_gt_i32_e64 s13, 32, v19
	v_min_i32_e32 v2, 31, v19
	v_cmp_eq_u32_e64 s14, 0, v19
	s_delay_alu instid0(VALU_DEP_2) | instskip(SKIP_1) | instid1(VALU_DEP_2)
	v_dual_cndmask_b32 v57, 0, v57, s13 :: v_dual_lshlrev_b32 v2, 2, v2
	v_cndmask_b32_e64 v56, 3, v56, s13
	v_and_b32_e32 v2, 0xfc, v2
	s_delay_alu instid0(VALU_DEP_2) | instskip(NEXT) | instid1(VALU_DEP_2)
	v_cmp_eq_u64_e64 s13, 0, v[56:57]
	v_and_or_b32 v2, v56, 3, v2
	s_and_b32 s13, s14, s13
	s_delay_alu instid0(VALU_DEP_1) | instid1(SALU_CYCLE_1)
	v_cndmask_b32_e64 v2, v2, 0, s13
	s_delay_alu instid0(VALU_DEP_1)
	v_or_b32_e32 v74, v2, v18
.LBB2_3768:                             ;   in Loop: Header=BB2_3706 Depth=3
	s_or_b32 exec_lo, exec_lo, s73
                                        ; implicit-def: $vgpr18
.LBB2_3769:                             ;   in Loop: Header=BB2_3706 Depth=3
	s_and_not1_saveexec_b32 s13, s72
; %bb.3770:                             ;   in Loop: Header=BB2_3706 Depth=3
	v_or_b32_e32 v74, 0x7b, v18
; %bb.3771:                             ;   in Loop: Header=BB2_3706 Depth=3
	s_or_b32 exec_lo, exec_lo, s13
                                        ; implicit-def: $vgpr19
                                        ; implicit-def: $vgpr18
.LBB2_3772:                             ;   in Loop: Header=BB2_3706 Depth=3
	s_and_not1_saveexec_b32 s14, s43
	s_cbranch_execz .LBB2_3778
; %bb.3773:                             ;   in Loop: Header=BB2_3706 Depth=3
	v_cmp_ne_u64_e64 s13, 0, v[2:3]
                                        ; implicit-def: $vgpr74
	s_and_saveexec_b32 s43, s13
	s_delay_alu instid0(SALU_CYCLE_1)
	s_xor_b32 s13, exec_lo, s43
; %bb.3774:                             ;   in Loop: Header=BB2_3706 Depth=3
	v_or_b32_e32 v74, 0x7f, v18
                                        ; implicit-def: $vgpr19
; %bb.3775:                             ;   in Loop: Header=BB2_3706 Depth=3
	s_and_not1_saveexec_b32 s43, s13
; %bb.3776:                             ;   in Loop: Header=BB2_3706 Depth=3
	v_cmp_lt_i32_e64 s13, -1, v19
	s_delay_alu instid0(VALU_DEP_1)
	v_cndmask_b32_e64 v74, 0xfc, v110, s13
; %bb.3777:                             ;   in Loop: Header=BB2_3706 Depth=3
	s_or_b32 exec_lo, exec_lo, s43
.LBB2_3778:                             ;   in Loop: Header=BB2_3706 Depth=3
	s_delay_alu instid0(SALU_CYCLE_1) | instskip(SKIP_2) | instid1(VALU_DEP_1)
	s_or_b32 exec_lo, exec_lo, s14
	v_dual_lshrrev_b32 v2, 16, v12 :: v_dual_mov_b32 v18, 0
	s_mov_b32 s14, exec_lo
	v_and_b32_e32 v19, 0xff, v2
	s_delay_alu instid0(VALU_DEP_1)
	v_cmpx_ne_u16_e32 0, v19
	s_cbranch_execz .LBB2_3788
; %bb.3779:                             ;   in Loop: Header=BB2_3706 Depth=3
	v_bfrev_b32_e32 v18, 1
	s_mov_b32 s43, exec_lo
	v_cmpx_ne_u16_e32 0x80, v19
	s_cbranch_execz .LBB2_3787
; %bb.3780:                             ;   in Loop: Header=BB2_3706 Depth=3
	v_and_b32_e32 v18, 0x7c0000, v12
	v_bfe_u32 v19, v12, 16, 2
	s_delay_alu instid0(VALU_DEP_2) | instskip(SKIP_1) | instid1(SALU_CYCLE_1)
	v_cmp_ne_u32_e64 s13, 0x7c0000, v18
                                        ; implicit-def: $vgpr18
	s_and_saveexec_b32 s72, s13
	s_xor_b32 s72, exec_lo, s72
	s_cbranch_execz .LBB2_3784
; %bb.3781:                             ;   in Loop: Header=BB2_3706 Depth=3
	v_bfe_u32 v18, v12, 18, 5
	s_mov_b32 s73, exec_lo
	s_delay_alu instid0(VALU_DEP_1)
	v_cmpx_eq_u32_e32 0, v18
; %bb.3782:                             ;   in Loop: Header=BB2_3706 Depth=3
	v_clz_i32_u32_e32 v18, v19
	s_delay_alu instid0(VALU_DEP_1) | instskip(NEXT) | instid1(VALU_DEP_1)
	v_min_u32_e32 v18, 32, v18
	v_subrev_nc_u32_e32 v19, 29, v18
	s_delay_alu instid0(VALU_DEP_1) | instskip(NEXT) | instid1(VALU_DEP_1)
	v_lshlrev_b64_e32 v[56:57], v19, v[2:3]
	v_dual_sub_nc_u32 v18, 30, v18 :: v_dual_bitop2_b32 v19, 3, v56 bitop3:0x40
; %bb.3783:                             ;   in Loop: Header=BB2_3706 Depth=3
	s_or_b32 exec_lo, exec_lo, s73
	v_lshlrev_b32_e32 v2, 24, v2
	s_delay_alu instid0(VALU_DEP_1) | instskip(NEXT) | instid1(VALU_DEP_1)
	v_and_b32_e32 v2, 0x80000000, v2
	v_lshl_add_u32 v2, v18, 23, v2
	s_delay_alu instid0(VALU_DEP_1) | instskip(NEXT) | instid1(VALU_DEP_1)
	v_lshl_or_b32 v2, v19, 21, v2
                                        ; implicit-def: $vgpr19
	v_add_nc_u32_e32 v18, 0x38000000, v2
                                        ; implicit-def: $vgpr2
.LBB2_3784:                             ;   in Loop: Header=BB2_3706 Depth=3
	s_and_not1_saveexec_b32 s72, s72
; %bb.3785:                             ;   in Loop: Header=BB2_3706 Depth=3
	v_bfe_i32 v2, v2, 0, 8
	s_delay_alu instid0(VALU_DEP_1) | instskip(NEXT) | instid1(VALU_DEP_1)
	v_cmp_lt_i16_e64 s13, -1, v2
	v_cndmask_b32_e64 v2, 0xff800000, v109, s13
	v_cmp_eq_u32_e64 s13, 0, v19
	s_delay_alu instid0(VALU_DEP_1)
	v_cndmask_b32_e64 v18, 0x7f800001, v2, s13
; %bb.3786:                             ;   in Loop: Header=BB2_3706 Depth=3
	s_or_b32 exec_lo, exec_lo, s72
.LBB2_3787:                             ;   in Loop: Header=BB2_3706 Depth=3
	s_delay_alu instid0(SALU_CYCLE_1)
	s_or_b32 exec_lo, exec_lo, s43
.LBB2_3788:                             ;   in Loop: Header=BB2_3706 Depth=3
	s_delay_alu instid0(SALU_CYCLE_1) | instskip(SKIP_3) | instid1(VALU_DEP_1)
	s_or_b32 exec_lo, exec_lo, s14
	v_lshrrev_b32_e32 v2, 16, v8
	s_mov_b32 s43, 0
	s_mov_b32 s14, exec_lo
	v_and_b32_e32 v56, 0xff, v2
	s_delay_alu instid0(VALU_DEP_1)
	v_cmpx_lt_i16_e32 0x7f, v56
	s_xor_b32 s14, exec_lo, s14
	s_cbranch_execz .LBB2_4261
; %bb.3789:                             ;   in Loop: Header=BB2_3706 Depth=3
	s_mov_b32 s43, -1
	s_mov_b32 s72, exec_lo
	v_cmpx_eq_u16_e32 0x80, v56
; %bb.3790:                             ;   in Loop: Header=BB2_3706 Depth=3
	s_xor_b32 s43, exec_lo, -1
; %bb.3791:                             ;   in Loop: Header=BB2_3706 Depth=3
	s_or_b32 exec_lo, exec_lo, s72
	s_delay_alu instid0(SALU_CYCLE_1)
	s_and_b32 s43, s43, exec_lo
                                        ; implicit-def: $vgpr56
	s_or_saveexec_b32 s14, s14
	v_bfrev_b32_e32 v19, 1
	s_xor_b32 exec_lo, exec_lo, s14
	s_cbranch_execnz .LBB2_4262
.LBB2_3792:                             ;   in Loop: Header=BB2_3706 Depth=3
	s_or_b32 exec_lo, exec_lo, s14
	s_and_saveexec_b32 s14, s43
	s_cbranch_execz .LBB2_3794
.LBB2_3793:                             ;   in Loop: Header=BB2_3706 Depth=3
	v_and_b32_e32 v19, 3, v2
	s_delay_alu instid0(VALU_DEP_1) | instskip(NEXT) | instid1(VALU_DEP_1)
	v_clz_i32_u32_e32 v20, v19
	v_min_u32_e32 v20, 32, v20
	s_delay_alu instid0(VALU_DEP_1) | instskip(SKIP_1) | instid1(VALU_DEP_2)
	v_subrev_nc_u32_e32 v21, 29, v20
	v_sub_nc_u32_e32 v20, 30, v20
	v_lshlrev_b64_e32 v[56:57], v21, v[2:3]
	v_bfe_u32 v57, v8, 18, 5
	v_lshlrev_b32_e32 v21, 24, v2
	v_bfe_i32 v2, v2, 0, 8
	s_delay_alu instid0(VALU_DEP_3) | instskip(NEXT) | instid1(VALU_DEP_3)
	v_cmp_eq_u32_e64 s13, 0, v57
	v_and_b32_e32 v21, 0x80000000, v21
	v_and_b32_e32 v56, 3, v56
	s_delay_alu instid0(VALU_DEP_3) | instskip(NEXT) | instid1(VALU_DEP_2)
	v_cndmask_b32_e64 v20, v57, v20, s13
	v_cndmask_b32_e64 v56, v19, v56, s13
	v_cmp_lt_i16_e64 s13, -1, v2
	s_delay_alu instid0(VALU_DEP_3) | instskip(SKIP_1) | instid1(VALU_DEP_3)
	v_lshl_add_u32 v20, v20, 23, v21
	v_and_b32_e32 v21, 0x7c0000, v8
	v_cndmask_b32_e64 v2, 0xff800000, v109, s13
	v_cmp_eq_u32_e64 s13, 0, v19
	s_delay_alu instid0(VALU_DEP_4) | instskip(NEXT) | instid1(VALU_DEP_2)
	v_lshl_or_b32 v20, v56, 21, v20
	v_cndmask_b32_e64 v2, 0x7f800001, v2, s13
	s_delay_alu instid0(VALU_DEP_2) | instskip(SKIP_1) | instid1(VALU_DEP_1)
	v_add_nc_u32_e32 v19, 0x38000000, v20
	v_cmp_eq_u32_e64 s13, 0x7c0000, v21
	v_cndmask_b32_e64 v19, v19, v2, s13
.LBB2_3794:                             ;   in Loop: Header=BB2_3706 Depth=3
	s_or_b32 exec_lo, exec_lo, s14
	s_delay_alu instid0(VALU_DEP_1) | instskip(SKIP_1) | instid1(VALU_DEP_1)
	v_dual_mul_f32 v19, v18, v19 :: v_dual_mov_b32 v57, v3
                                        ; implicit-def: $vgpr75
	s_mov_b32 s14, exec_lo
	v_and_b32_e32 v56, 0x7f800000, v19
	v_and_b32_e32 v2, 0x7fffff, v19
	v_lshrrev_b32_e32 v18, 24, v19
	s_delay_alu instid0(VALU_DEP_3)
	v_cmpx_ne_u64_e32 0x7f800000, v[56:57]
	s_xor_b32 s43, exec_lo, s14
	s_cbranch_execz .LBB2_3808
; %bb.3795:                             ;   in Loop: Header=BB2_3706 Depth=3
	v_and_b32_e32 v56, 0x7fffffff, v19
	v_mov_b32_e32 v57, v3
	v_and_b32_e32 v18, 0x80, v18
                                        ; implicit-def: $vgpr75
	s_mov_b32 s14, exec_lo
	s_delay_alu instid0(VALU_DEP_2)
	v_cmpx_gt_u64_e32 0x47600001, v[56:57]
	s_xor_b32 s72, exec_lo, s14
	s_cbranch_execz .LBB2_3805
; %bb.3796:                             ;   in Loop: Header=BB2_3706 Depth=3
	v_mov_b32_e32 v75, 0
	s_mov_b32 s73, exec_lo
	v_cmpx_ne_u32_e32 0, v19
	s_cbranch_execz .LBB2_3804
; %bb.3797:                             ;   in Loop: Header=BB2_3706 Depth=3
	v_bfe_u32 v19, v19, 23, 8
	v_or_b32_e32 v21, 0x800000, v2
	s_delay_alu instid0(VALU_DEP_2) | instskip(SKIP_1) | instid1(VALU_DEP_1)
	v_sub_nc_u32_e32 v20, 0x71, v19
	v_cmp_gt_u32_e64 s13, 0x72, v19
	v_cndmask_b32_e64 v20, 0, v20, s13
	v_cmp_eq_u32_e64 s13, 0, v19
	s_delay_alu instid0(VALU_DEP_1) | instskip(NEXT) | instid1(VALU_DEP_3)
	v_cndmask_b32_e64 v2, v21, v2, s13
	v_cndmask_b32_e64 v60, v20, 0x70, s13
	s_delay_alu instid0(VALU_DEP_1) | instskip(NEXT) | instid1(VALU_DEP_1)
	v_add_nc_u32_e32 v20, 21, v60
	v_lshlrev_b64_e64 v[56:57], v20, -1
	v_add_nc_u32_e32 v20, 20, v60
	s_delay_alu instid0(VALU_DEP_1) | instskip(NEXT) | instid1(VALU_DEP_3)
	v_lshlrev_b64_e64 v[58:59], v20, 1
	v_bfi_b32 v77, v57, 0, 0
	s_delay_alu instid0(VALU_DEP_4) | instskip(SKIP_1) | instid1(VALU_DEP_2)
	v_bfi_b32 v76, v56, 0, v2
	v_lshrrev_b64 v[56:57], v60, v[2:3]
	v_cmp_eq_u64_e64 s14, v[76:77], v[58:59]
	s_delay_alu instid0(VALU_DEP_2)
	v_mov_b64_e32 v[58:59], v[56:57]
	s_and_saveexec_b32 s74, s14
; %bb.3798:                             ;   in Loop: Header=BB2_3706 Depth=3
	v_bfe_u32 v2, v56, 21, 1
	s_delay_alu instid0(VALU_DEP_1) | instskip(NEXT) | instid1(VALU_DEP_1)
	v_add_nc_u64_e32 v[58:59], v[56:57], v[2:3]
	v_add_nc_u64_e32 v[58:59], -1, v[58:59]
; %bb.3799:                             ;   in Loop: Header=BB2_3706 Depth=3
	s_or_b32 exec_lo, exec_lo, s74
	v_add_nc_u32_e32 v2, 0xffffff81, v19
	v_lshrrev_b32_e32 v19, 23, v56
	s_mov_b32 s14, exec_lo
	s_delay_alu instid0(VALU_DEP_2) | instskip(NEXT) | instid1(VALU_DEP_1)
	v_cndmask_b32_e64 v2, v2, 0xffffff82, s13
	v_add3_u32 v59, v60, v2, v19
	v_and_b32_e32 v2, 0x1fffff, v58
                                        ; implicit-def: $vgpr19
	s_delay_alu instid0(VALU_DEP_1) | instskip(NEXT) | instid1(VALU_DEP_1)
	v_dual_add_nc_u32 v58, 14, v59 :: v_dual_add_nc_u32 v2, v2, v56
                                        ; implicit-def: $vgpr56_vgpr57
	v_cmpx_ne_u32_e32 0, v58
	s_xor_b32 s14, exec_lo, s14
; %bb.3800:                             ;   in Loop: Header=BB2_3706 Depth=3
	s_delay_alu instid0(VALU_DEP_2) | instskip(SKIP_1) | instid1(VALU_DEP_2)
	v_cmp_lt_u64_e64 s13, 0xffffff, v[2:3]
	v_add_nc_u32_e32 v19, 15, v59
	v_cndmask_b32_e64 v20, 0, 1, s13
	s_delay_alu instid0(VALU_DEP_2) | instskip(NEXT) | instid1(VALU_DEP_2)
	v_cndmask_b32_e64 v19, v58, v19, s13
	v_lshrrev_b64 v[56:57], v20, v[2:3]
; %bb.3801:                             ;   in Loop: Header=BB2_3706 Depth=3
	s_and_not1_saveexec_b32 s13, s14
; %bb.3802:                             ;   in Loop: Header=BB2_3706 Depth=3
	v_mov_b64_e32 v[56:57], v[2:3]
	v_bfe_u32 v19, v2, 23, 1
; %bb.3803:                             ;   in Loop: Header=BB2_3706 Depth=3
	s_or_b32 exec_lo, exec_lo, s13
	s_delay_alu instid0(VALU_DEP_2) | instskip(NEXT) | instid1(VALU_DEP_2)
	v_lshrrev_b64 v[56:57], 21, v[56:57]
	v_cmp_gt_i32_e64 s13, 32, v19
	v_min_i32_e32 v2, 31, v19
	v_cmp_eq_u32_e64 s14, 0, v19
	s_delay_alu instid0(VALU_DEP_2) | instskip(SKIP_1) | instid1(VALU_DEP_2)
	v_dual_cndmask_b32 v57, 0, v57, s13 :: v_dual_lshlrev_b32 v2, 2, v2
	v_cndmask_b32_e64 v56, 3, v56, s13
	v_and_b32_e32 v2, 0xfc, v2
	s_delay_alu instid0(VALU_DEP_2) | instskip(NEXT) | instid1(VALU_DEP_2)
	v_cmp_eq_u64_e64 s13, 0, v[56:57]
	v_and_or_b32 v2, v56, 3, v2
	s_and_b32 s13, s14, s13
	s_delay_alu instid0(VALU_DEP_1) | instid1(SALU_CYCLE_1)
	v_cndmask_b32_e64 v2, v2, 0, s13
	s_delay_alu instid0(VALU_DEP_1)
	v_or_b32_e32 v75, v2, v18
.LBB2_3804:                             ;   in Loop: Header=BB2_3706 Depth=3
	s_or_b32 exec_lo, exec_lo, s73
                                        ; implicit-def: $vgpr18
.LBB2_3805:                             ;   in Loop: Header=BB2_3706 Depth=3
	s_and_not1_saveexec_b32 s13, s72
; %bb.3806:                             ;   in Loop: Header=BB2_3706 Depth=3
	v_or_b32_e32 v75, 0x7b, v18
; %bb.3807:                             ;   in Loop: Header=BB2_3706 Depth=3
	s_or_b32 exec_lo, exec_lo, s13
                                        ; implicit-def: $vgpr19
                                        ; implicit-def: $vgpr18
.LBB2_3808:                             ;   in Loop: Header=BB2_3706 Depth=3
	s_and_not1_saveexec_b32 s14, s43
	s_cbranch_execz .LBB2_3814
; %bb.3809:                             ;   in Loop: Header=BB2_3706 Depth=3
	v_cmp_ne_u64_e64 s13, 0, v[2:3]
                                        ; implicit-def: $vgpr75
	s_and_saveexec_b32 s43, s13
	s_delay_alu instid0(SALU_CYCLE_1)
	s_xor_b32 s13, exec_lo, s43
; %bb.3810:                             ;   in Loop: Header=BB2_3706 Depth=3
	v_or_b32_e32 v75, 0x7f, v18
                                        ; implicit-def: $vgpr19
; %bb.3811:                             ;   in Loop: Header=BB2_3706 Depth=3
	s_and_not1_saveexec_b32 s43, s13
; %bb.3812:                             ;   in Loop: Header=BB2_3706 Depth=3
	v_cmp_lt_i32_e64 s13, -1, v19
	s_delay_alu instid0(VALU_DEP_1)
	v_cndmask_b32_e64 v75, 0xfc, v110, s13
; %bb.3813:                             ;   in Loop: Header=BB2_3706 Depth=3
	s_or_b32 exec_lo, exec_lo, s43
.LBB2_3814:                             ;   in Loop: Header=BB2_3706 Depth=3
	s_delay_alu instid0(SALU_CYCLE_1)
	s_or_b32 exec_lo, exec_lo, s14
	v_mov_b32_e32 v18, 0
	s_mov_b32 s14, exec_lo
	v_cmpx_lt_u32_e32 0xffffff, v12
	s_cbranch_execz .LBB2_3824
; %bb.3815:                             ;   in Loop: Header=BB2_3706 Depth=3
	v_lshrrev_b32_e32 v2, 24, v12
	v_bfrev_b32_e32 v18, 1
	s_mov_b32 s43, exec_lo
	s_delay_alu instid0(VALU_DEP_2)
	v_cmpx_ne_u32_e32 0x80, v2
	s_cbranch_execz .LBB2_3823
; %bb.3816:                             ;   in Loop: Header=BB2_3706 Depth=3
	v_and_b32_e32 v18, 0x7c000000, v12
	v_bfe_u32 v19, v12, 24, 2
	s_delay_alu instid0(VALU_DEP_2) | instskip(SKIP_1) | instid1(SALU_CYCLE_1)
	v_cmp_ne_u32_e64 s13, 0x7c000000, v18
                                        ; implicit-def: $vgpr18
	s_and_saveexec_b32 s72, s13
	s_xor_b32 s72, exec_lo, s72
	s_cbranch_execz .LBB2_3820
; %bb.3817:                             ;   in Loop: Header=BB2_3706 Depth=3
	v_bfe_u32 v18, v12, 26, 5
	s_mov_b32 s73, exec_lo
	s_delay_alu instid0(VALU_DEP_1)
	v_cmpx_eq_u32_e32 0, v18
; %bb.3818:                             ;   in Loop: Header=BB2_3706 Depth=3
	v_clz_i32_u32_e32 v18, v19
	s_delay_alu instid0(VALU_DEP_1) | instskip(NEXT) | instid1(VALU_DEP_1)
	v_min_u32_e32 v18, 32, v18
	v_subrev_nc_u32_e32 v19, 29, v18
	s_delay_alu instid0(VALU_DEP_1) | instskip(NEXT) | instid1(VALU_DEP_1)
	v_lshlrev_b64_e32 v[56:57], v19, v[2:3]
	v_dual_sub_nc_u32 v18, 30, v18 :: v_dual_bitop2_b32 v19, 3, v56 bitop3:0x40
; %bb.3819:                             ;   in Loop: Header=BB2_3706 Depth=3
	s_or_b32 exec_lo, exec_lo, s73
	v_and_b32_e32 v2, 0x80000000, v12
	s_delay_alu instid0(VALU_DEP_1) | instskip(NEXT) | instid1(VALU_DEP_1)
	v_lshl_add_u32 v2, v18, 23, v2
	v_lshl_or_b32 v2, v19, 21, v2
                                        ; implicit-def: $vgpr19
	s_delay_alu instid0(VALU_DEP_1)
	v_add_nc_u32_e32 v18, 0x38000000, v2
.LBB2_3820:                             ;   in Loop: Header=BB2_3706 Depth=3
	s_and_not1_saveexec_b32 s72, s72
; %bb.3821:                             ;   in Loop: Header=BB2_3706 Depth=3
	v_cmp_lt_i32_e64 s13, -1, v12
	s_delay_alu instid0(VALU_DEP_1) | instskip(SKIP_1) | instid1(VALU_DEP_1)
	v_cndmask_b32_e64 v2, 0xff800000, v109, s13
	v_cmp_eq_u32_e64 s13, 0, v19
	v_cndmask_b32_e64 v18, 0x7f800001, v2, s13
; %bb.3822:                             ;   in Loop: Header=BB2_3706 Depth=3
	s_or_b32 exec_lo, exec_lo, s72
.LBB2_3823:                             ;   in Loop: Header=BB2_3706 Depth=3
	s_delay_alu instid0(SALU_CYCLE_1)
	s_or_b32 exec_lo, exec_lo, s43
.LBB2_3824:                             ;   in Loop: Header=BB2_3706 Depth=3
	s_delay_alu instid0(SALU_CYCLE_1) | instskip(SKIP_3) | instid1(VALU_DEP_2)
	s_or_b32 exec_lo, exec_lo, s14
	v_bfe_u32 v19, v8, 24, 2
	v_bfe_u32 v58, v8, 26, 5
                                        ; implicit-def: $vgpr76
	s_mov_b32 s14, exec_lo
	v_clz_i32_u32_e32 v2, v19
	s_delay_alu instid0(VALU_DEP_2) | instskip(NEXT) | instid1(VALU_DEP_2)
	v_cmp_eq_u32_e64 s13, 0, v58
	v_min_u32_e32 v20, 32, v2
	v_lshrrev_b32_e32 v2, 24, v8
	s_delay_alu instid0(VALU_DEP_2) | instskip(SKIP_1) | instid1(VALU_DEP_2)
	v_subrev_nc_u32_e32 v21, 29, v20
	v_sub_nc_u32_e32 v20, 30, v20
	v_lshlrev_b64_e32 v[56:57], v21, v[2:3]
	v_and_b32_e32 v21, 0x80000000, v8
	s_delay_alu instid0(VALU_DEP_3) | instskip(NEXT) | instid1(VALU_DEP_1)
	v_dual_cndmask_b32 v20, v58, v20, s13 :: v_dual_mov_b32 v57, v3
	v_lshl_add_u32 v20, v20, 23, v21
	s_delay_alu instid0(VALU_DEP_4) | instskip(NEXT) | instid1(VALU_DEP_1)
	v_and_b32_e32 v56, 3, v56
	v_cndmask_b32_e64 v21, v19, v56, s13
	v_cmp_lt_i32_e64 s13, -1, v8
	s_delay_alu instid0(VALU_DEP_2) | instskip(NEXT) | instid1(VALU_DEP_2)
	v_lshl_or_b32 v20, v21, 21, v20
	v_cndmask_b32_e64 v56, 0xff800000, v109, s13
	v_and_b32_e32 v21, 0x7c000000, v8
	v_cmp_eq_u32_e64 s13, 0, v19
	s_delay_alu instid0(VALU_DEP_4) | instskip(NEXT) | instid1(VALU_DEP_2)
	v_add_nc_u32_e32 v20, 0x38000000, v20
	v_cndmask_b32_e64 v19, 0x7f800001, v56, s13
	s_delay_alu instid0(VALU_DEP_4) | instskip(NEXT) | instid1(VALU_DEP_1)
	v_cmp_eq_u32_e64 s13, 0x7c000000, v21
	v_cndmask_b32_e64 v19, v20, v19, s13
	v_cmp_ne_u32_e64 s13, 0x80, v2
	s_delay_alu instid0(VALU_DEP_1) | instskip(SKIP_1) | instid1(VALU_DEP_1)
	v_cndmask_b32_e64 v2, 0x80000000, v19, s13
	v_cmp_lt_u32_e64 s13, 0xffffff, v8
	v_cndmask_b32_e64 v2, 0, v2, s13
	s_delay_alu instid0(VALU_DEP_1) | instskip(NEXT) | instid1(VALU_DEP_1)
	v_mul_f32_e32 v19, v2, v18
	v_and_b32_e32 v56, 0x7f800000, v19
	v_and_b32_e32 v2, 0x7fffff, v19
	v_lshrrev_b32_e32 v18, 24, v19
	s_delay_alu instid0(VALU_DEP_3)
	v_cmpx_ne_u64_e32 0x7f800000, v[56:57]
	s_xor_b32 s43, exec_lo, s14
	s_cbranch_execz .LBB2_3838
; %bb.3825:                             ;   in Loop: Header=BB2_3706 Depth=3
	v_and_b32_e32 v56, 0x7fffffff, v19
	v_mov_b32_e32 v57, v3
	v_and_b32_e32 v18, 0x80, v18
                                        ; implicit-def: $vgpr76
	s_mov_b32 s14, exec_lo
	s_delay_alu instid0(VALU_DEP_2)
	v_cmpx_gt_u64_e32 0x47600001, v[56:57]
	s_xor_b32 s72, exec_lo, s14
	s_cbranch_execz .LBB2_3835
; %bb.3826:                             ;   in Loop: Header=BB2_3706 Depth=3
	v_mov_b32_e32 v76, 0
	s_mov_b32 s73, exec_lo
	v_cmpx_ne_u32_e32 0, v19
	s_cbranch_execz .LBB2_3834
; %bb.3827:                             ;   in Loop: Header=BB2_3706 Depth=3
	v_bfe_u32 v19, v19, 23, 8
	v_or_b32_e32 v21, 0x800000, v2
	s_delay_alu instid0(VALU_DEP_2) | instskip(SKIP_1) | instid1(VALU_DEP_1)
	v_sub_nc_u32_e32 v20, 0x71, v19
	v_cmp_gt_u32_e64 s13, 0x72, v19
	v_cndmask_b32_e64 v20, 0, v20, s13
	v_cmp_eq_u32_e64 s13, 0, v19
	s_delay_alu instid0(VALU_DEP_1) | instskip(NEXT) | instid1(VALU_DEP_3)
	v_cndmask_b32_e64 v2, v21, v2, s13
	v_cndmask_b32_e64 v60, v20, 0x70, s13
	s_delay_alu instid0(VALU_DEP_1) | instskip(NEXT) | instid1(VALU_DEP_1)
	v_add_nc_u32_e32 v20, 21, v60
	v_lshlrev_b64_e64 v[56:57], v20, -1
	v_add_nc_u32_e32 v20, 20, v60
	s_delay_alu instid0(VALU_DEP_1) | instskip(NEXT) | instid1(VALU_DEP_3)
	v_lshlrev_b64_e64 v[58:59], v20, 1
	v_bfi_b32 v77, v57, 0, 0
	s_delay_alu instid0(VALU_DEP_4) | instskip(SKIP_1) | instid1(VALU_DEP_2)
	v_bfi_b32 v76, v56, 0, v2
	v_lshrrev_b64 v[56:57], v60, v[2:3]
	v_cmp_eq_u64_e64 s14, v[76:77], v[58:59]
	s_delay_alu instid0(VALU_DEP_2)
	v_mov_b64_e32 v[58:59], v[56:57]
	s_and_saveexec_b32 s74, s14
; %bb.3828:                             ;   in Loop: Header=BB2_3706 Depth=3
	v_bfe_u32 v2, v56, 21, 1
	s_delay_alu instid0(VALU_DEP_1) | instskip(NEXT) | instid1(VALU_DEP_1)
	v_add_nc_u64_e32 v[58:59], v[56:57], v[2:3]
	v_add_nc_u64_e32 v[58:59], -1, v[58:59]
; %bb.3829:                             ;   in Loop: Header=BB2_3706 Depth=3
	s_or_b32 exec_lo, exec_lo, s74
	v_add_nc_u32_e32 v2, 0xffffff81, v19
	v_lshrrev_b32_e32 v19, 23, v56
	s_mov_b32 s14, exec_lo
	s_delay_alu instid0(VALU_DEP_2) | instskip(NEXT) | instid1(VALU_DEP_1)
	v_cndmask_b32_e64 v2, v2, 0xffffff82, s13
	v_add3_u32 v59, v60, v2, v19
	v_and_b32_e32 v2, 0x1fffff, v58
                                        ; implicit-def: $vgpr19
	s_delay_alu instid0(VALU_DEP_1) | instskip(NEXT) | instid1(VALU_DEP_1)
	v_dual_add_nc_u32 v58, 14, v59 :: v_dual_add_nc_u32 v2, v2, v56
                                        ; implicit-def: $vgpr56_vgpr57
	v_cmpx_ne_u32_e32 0, v58
	s_xor_b32 s14, exec_lo, s14
; %bb.3830:                             ;   in Loop: Header=BB2_3706 Depth=3
	s_delay_alu instid0(VALU_DEP_2) | instskip(SKIP_1) | instid1(VALU_DEP_2)
	v_cmp_lt_u64_e64 s13, 0xffffff, v[2:3]
	v_add_nc_u32_e32 v19, 15, v59
	v_cndmask_b32_e64 v20, 0, 1, s13
	s_delay_alu instid0(VALU_DEP_2) | instskip(NEXT) | instid1(VALU_DEP_2)
	v_cndmask_b32_e64 v19, v58, v19, s13
	v_lshrrev_b64 v[56:57], v20, v[2:3]
; %bb.3831:                             ;   in Loop: Header=BB2_3706 Depth=3
	s_and_not1_saveexec_b32 s13, s14
; %bb.3832:                             ;   in Loop: Header=BB2_3706 Depth=3
	v_mov_b64_e32 v[56:57], v[2:3]
	v_bfe_u32 v19, v2, 23, 1
; %bb.3833:                             ;   in Loop: Header=BB2_3706 Depth=3
	s_or_b32 exec_lo, exec_lo, s13
	s_delay_alu instid0(VALU_DEP_2) | instskip(NEXT) | instid1(VALU_DEP_2)
	v_lshrrev_b64 v[56:57], 21, v[56:57]
	v_cmp_gt_i32_e64 s13, 32, v19
	v_min_i32_e32 v2, 31, v19
	v_cmp_eq_u32_e64 s14, 0, v19
	s_delay_alu instid0(VALU_DEP_2) | instskip(SKIP_1) | instid1(VALU_DEP_2)
	v_dual_cndmask_b32 v57, 0, v57, s13 :: v_dual_lshlrev_b32 v2, 2, v2
	v_cndmask_b32_e64 v56, 3, v56, s13
	v_and_b32_e32 v2, 0xfc, v2
	s_delay_alu instid0(VALU_DEP_2) | instskip(NEXT) | instid1(VALU_DEP_2)
	v_cmp_eq_u64_e64 s13, 0, v[56:57]
	v_and_or_b32 v2, v56, 3, v2
	s_and_b32 s13, s14, s13
	s_delay_alu instid0(VALU_DEP_1) | instid1(SALU_CYCLE_1)
	v_cndmask_b32_e64 v2, v2, 0, s13
	s_delay_alu instid0(VALU_DEP_1)
	v_or_b32_e32 v76, v2, v18
.LBB2_3834:                             ;   in Loop: Header=BB2_3706 Depth=3
	s_or_b32 exec_lo, exec_lo, s73
                                        ; implicit-def: $vgpr18
.LBB2_3835:                             ;   in Loop: Header=BB2_3706 Depth=3
	s_and_not1_saveexec_b32 s13, s72
; %bb.3836:                             ;   in Loop: Header=BB2_3706 Depth=3
	v_or_b32_e32 v76, 0x7b, v18
; %bb.3837:                             ;   in Loop: Header=BB2_3706 Depth=3
	s_or_b32 exec_lo, exec_lo, s13
                                        ; implicit-def: $vgpr19
                                        ; implicit-def: $vgpr18
.LBB2_3838:                             ;   in Loop: Header=BB2_3706 Depth=3
	s_and_not1_saveexec_b32 s14, s43
	s_cbranch_execz .LBB2_3844
; %bb.3839:                             ;   in Loop: Header=BB2_3706 Depth=3
	v_cmp_ne_u64_e64 s13, 0, v[2:3]
                                        ; implicit-def: $vgpr76
	s_and_saveexec_b32 s43, s13
	s_delay_alu instid0(SALU_CYCLE_1)
	s_xor_b32 s13, exec_lo, s43
; %bb.3840:                             ;   in Loop: Header=BB2_3706 Depth=3
	v_or_b32_e32 v76, 0x7f, v18
                                        ; implicit-def: $vgpr19
; %bb.3841:                             ;   in Loop: Header=BB2_3706 Depth=3
	s_and_not1_saveexec_b32 s43, s13
; %bb.3842:                             ;   in Loop: Header=BB2_3706 Depth=3
	v_cmp_lt_i32_e64 s13, -1, v19
	s_delay_alu instid0(VALU_DEP_1)
	v_cndmask_b32_e64 v76, 0xfc, v110, s13
; %bb.3843:                             ;   in Loop: Header=BB2_3706 Depth=3
	s_or_b32 exec_lo, exec_lo, s43
.LBB2_3844:                             ;   in Loop: Header=BB2_3706 Depth=3
	s_delay_alu instid0(SALU_CYCLE_1) | instskip(SKIP_3) | instid1(VALU_DEP_2)
	s_or_b32 exec_lo, exec_lo, s14
	v_and_b32_e32 v19, 0xff, v13
	v_dual_mov_b32 v2, v13 :: v_dual_mov_b32 v18, 0
	s_mov_b32 s14, exec_lo
	v_cmpx_ne_u16_e32 0, v19
	s_cbranch_execz .LBB2_3854
; %bb.3845:                             ;   in Loop: Header=BB2_3706 Depth=3
	v_bfrev_b32_e32 v18, 1
	s_mov_b32 s43, exec_lo
	v_cmpx_ne_u16_e32 0x80, v19
	s_cbranch_execz .LBB2_3853
; %bb.3846:                             ;   in Loop: Header=BB2_3706 Depth=3
	v_and_b32_e32 v18, 0x7c, v13
	v_and_b32_e32 v19, 3, v13
	s_delay_alu instid0(VALU_DEP_2) | instskip(SKIP_1) | instid1(SALU_CYCLE_1)
	v_cmp_ne_u32_e64 s13, 0x7c, v18
                                        ; implicit-def: $vgpr18
	s_and_saveexec_b32 s72, s13
	s_xor_b32 s72, exec_lo, s72
	s_cbranch_execz .LBB2_3850
; %bb.3847:                             ;   in Loop: Header=BB2_3706 Depth=3
	v_bfe_u32 v18, v13, 2, 5
	s_mov_b32 s73, exec_lo
	s_delay_alu instid0(VALU_DEP_1)
	v_cmpx_eq_u32_e32 0, v18
; %bb.3848:                             ;   in Loop: Header=BB2_3706 Depth=3
	v_clz_i32_u32_e32 v18, v19
	s_delay_alu instid0(VALU_DEP_1) | instskip(NEXT) | instid1(VALU_DEP_1)
	v_min_u32_e32 v18, 32, v18
	v_subrev_nc_u32_e32 v19, 29, v18
	s_delay_alu instid0(VALU_DEP_1) | instskip(NEXT) | instid1(VALU_DEP_1)
	v_lshlrev_b64_e32 v[56:57], v19, v[2:3]
	v_dual_sub_nc_u32 v18, 30, v18 :: v_dual_bitop2_b32 v19, 3, v56 bitop3:0x40
; %bb.3849:                             ;   in Loop: Header=BB2_3706 Depth=3
	s_or_b32 exec_lo, exec_lo, s73
	v_lshlrev_b32_e32 v20, 24, v13
	s_delay_alu instid0(VALU_DEP_1) | instskip(NEXT) | instid1(VALU_DEP_1)
	v_and_b32_e32 v20, 0x80000000, v20
	v_lshl_add_u32 v18, v18, 23, v20
	s_delay_alu instid0(VALU_DEP_1) | instskip(NEXT) | instid1(VALU_DEP_1)
	v_lshl_or_b32 v18, v19, 21, v18
                                        ; implicit-def: $vgpr19
	v_add_nc_u32_e32 v18, 0x38000000, v18
.LBB2_3850:                             ;   in Loop: Header=BB2_3706 Depth=3
	s_and_not1_saveexec_b32 s72, s72
; %bb.3851:                             ;   in Loop: Header=BB2_3706 Depth=3
	v_bfe_i32 v18, v13, 0, 8
	s_delay_alu instid0(VALU_DEP_1) | instskip(NEXT) | instid1(VALU_DEP_1)
	v_cmp_lt_i16_e64 s13, -1, v18
	v_cndmask_b32_e64 v18, 0xff800000, v109, s13
	v_cmp_eq_u32_e64 s13, 0, v19
	s_delay_alu instid0(VALU_DEP_1)
	v_cndmask_b32_e64 v18, 0x7f800001, v18, s13
; %bb.3852:                             ;   in Loop: Header=BB2_3706 Depth=3
	s_or_b32 exec_lo, exec_lo, s72
.LBB2_3853:                             ;   in Loop: Header=BB2_3706 Depth=3
	s_delay_alu instid0(SALU_CYCLE_1)
	s_or_b32 exec_lo, exec_lo, s43
.LBB2_3854:                             ;   in Loop: Header=BB2_3706 Depth=3
	s_delay_alu instid0(SALU_CYCLE_1) | instskip(SKIP_4) | instid1(VALU_DEP_2)
	s_or_b32 exec_lo, exec_lo, s14
	v_and_b32_e32 v57, 0xff, v9
	v_mov_b32_e32 v56, v9
	s_mov_b32 s43, 0
	s_mov_b32 s14, exec_lo
	v_cmpx_lt_i16_e32 0x7f, v57
	s_xor_b32 s14, exec_lo, s14
	s_cbranch_execz .LBB2_4263
; %bb.3855:                             ;   in Loop: Header=BB2_3706 Depth=3
	s_mov_b32 s43, -1
	s_mov_b32 s72, exec_lo
	v_cmpx_eq_u16_e32 0x80, v57
; %bb.3856:                             ;   in Loop: Header=BB2_3706 Depth=3
	s_xor_b32 s43, exec_lo, -1
; %bb.3857:                             ;   in Loop: Header=BB2_3706 Depth=3
	s_or_b32 exec_lo, exec_lo, s72
	s_delay_alu instid0(SALU_CYCLE_1)
	s_and_b32 s43, s43, exec_lo
                                        ; implicit-def: $vgpr57
	s_or_saveexec_b32 s14, s14
	v_bfrev_b32_e32 v19, 1
	s_xor_b32 exec_lo, exec_lo, s14
	s_cbranch_execnz .LBB2_4264
.LBB2_3858:                             ;   in Loop: Header=BB2_3706 Depth=3
	s_or_b32 exec_lo, exec_lo, s14
	v_mov_b32_e32 v57, v3
	s_and_saveexec_b32 s14, s43
	s_cbranch_execz .LBB2_3860
.LBB2_3859:                             ;   in Loop: Header=BB2_3706 Depth=3
	v_and_b32_e32 v19, 3, v9
	s_delay_alu instid0(VALU_DEP_1) | instskip(NEXT) | instid1(VALU_DEP_1)
	v_clz_i32_u32_e32 v20, v19
	v_min_u32_e32 v20, 32, v20
	s_delay_alu instid0(VALU_DEP_1) | instskip(NEXT) | instid1(VALU_DEP_1)
	v_subrev_nc_u32_e32 v21, 29, v20
	v_lshlrev_b64_e32 v[58:59], v21, v[56:57]
	v_bfe_u32 v57, v9, 2, 5
	v_dual_lshlrev_b32 v21, 24, v9 :: v_dual_sub_nc_u32 v20, 30, v20
	s_delay_alu instid0(VALU_DEP_2) | instskip(NEXT) | instid1(VALU_DEP_2)
	v_cmp_eq_u32_e64 s13, 0, v57
	v_and_b32_e32 v21, 0x80000000, v21
	s_delay_alu instid0(VALU_DEP_2) | instskip(SKIP_1) | instid1(VALU_DEP_2)
	v_dual_cndmask_b32 v20, v57, v20, s13 :: v_dual_bitop2_b32 v58, 3, v58 bitop3:0x40
	v_bfe_i32 v57, v9, 0, 8
	v_cndmask_b32_e64 v58, v19, v58, s13
	s_delay_alu instid0(VALU_DEP_3) | instskip(NEXT) | instid1(VALU_DEP_3)
	v_lshl_add_u32 v20, v20, 23, v21
	v_cmp_lt_i16_e64 s13, -1, v57
	v_and_b32_e32 v57, 0x7c, v9
	s_delay_alu instid0(VALU_DEP_3) | instskip(NEXT) | instid1(VALU_DEP_3)
	v_lshl_or_b32 v20, v58, 21, v20
	v_cndmask_b32_e64 v21, 0xff800000, v109, s13
	v_cmp_eq_u32_e64 s13, 0, v19
	s_delay_alu instid0(VALU_DEP_3) | instskip(NEXT) | instid1(VALU_DEP_2)
	v_add_nc_u32_e32 v20, 0x38000000, v20
	v_cndmask_b32_e64 v19, 0x7f800001, v21, s13
	v_cmp_eq_u32_e64 s13, 0x7c, v57
	s_delay_alu instid0(VALU_DEP_1)
	v_cndmask_b32_e64 v19, v20, v19, s13
.LBB2_3860:                             ;   in Loop: Header=BB2_3706 Depth=3
	s_or_b32 exec_lo, exec_lo, s14
	s_delay_alu instid0(VALU_DEP_1) | instskip(NEXT) | instid1(VALU_DEP_1)
	v_dual_mul_f32 v19, v18, v19 :: v_dual_mov_b32 v61, v3
	v_dual_mov_b32 v59, v3 :: v_dual_lshrrev_b32 v18, 24, v19
	v_and_b32_e32 v60, 0x7f800000, v19
	v_and_b32_e32 v58, 0x7fffff, v19
	s_delay_alu instid0(VALU_DEP_2) | instskip(SKIP_1) | instid1(SALU_CYCLE_1)
	v_cmp_ne_u64_e64 s13, 0x7f800000, v[60:61]
                                        ; implicit-def: $vgpr60
	s_and_saveexec_b32 s14, s13
	s_xor_b32 s43, exec_lo, s14
	s_cbranch_execz .LBB2_3874
; %bb.3861:                             ;   in Loop: Header=BB2_3706 Depth=3
	v_and_b32_e32 v60, 0x7fffffff, v19
	v_mov_b32_e32 v61, v3
	v_and_b32_e32 v18, 0x80, v18
	s_delay_alu instid0(VALU_DEP_2) | instskip(SKIP_1) | instid1(SALU_CYCLE_1)
	v_cmp_gt_u64_e64 s13, 0x47600001, v[60:61]
                                        ; implicit-def: $vgpr60
	s_and_saveexec_b32 s14, s13
	s_xor_b32 s72, exec_lo, s14
	s_cbranch_execz .LBB2_3871
; %bb.3862:                             ;   in Loop: Header=BB2_3706 Depth=3
	v_mov_b32_e32 v60, 0
	s_mov_b32 s73, exec_lo
	v_cmpx_ne_u32_e32 0, v19
	s_cbranch_execz .LBB2_3870
; %bb.3863:                             ;   in Loop: Header=BB2_3706 Depth=3
	v_bfe_u32 v19, v19, 23, 8
	v_or_b32_e32 v21, 0x800000, v58
	s_delay_alu instid0(VALU_DEP_2) | instskip(SKIP_1) | instid1(VALU_DEP_1)
	v_sub_nc_u32_e32 v20, 0x71, v19
	v_cmp_gt_u32_e64 s13, 0x72, v19
	v_cndmask_b32_e64 v20, 0, v20, s13
	v_cmp_eq_u32_e64 s13, 0, v19
	s_delay_alu instid0(VALU_DEP_1) | instskip(NEXT) | instid1(VALU_DEP_3)
	v_cndmask_b32_e64 v58, v21, v58, s13
	v_cndmask_b32_e64 v57, v20, 0x70, s13
	s_delay_alu instid0(VALU_DEP_1) | instskip(NEXT) | instid1(VALU_DEP_1)
	v_add_nc_u32_e32 v20, 21, v57
	v_lshlrev_b64_e64 v[60:61], v20, -1
	v_add_nc_u32_e32 v20, 20, v57
	s_delay_alu instid0(VALU_DEP_1) | instskip(NEXT) | instid1(VALU_DEP_3)
	v_lshlrev_b64_e64 v[78:79], v20, 1
	v_bfi_b32 v60, v60, 0, v58
	v_lshrrev_b64 v[58:59], v57, v[58:59]
	v_bfi_b32 v61, v61, 0, 0
	s_delay_alu instid0(VALU_DEP_1) | instskip(NEXT) | instid1(VALU_DEP_3)
	v_cmp_eq_u64_e64 s14, v[60:61], v[78:79]
	v_mov_b64_e32 v[60:61], v[58:59]
	s_and_saveexec_b32 s74, s14
; %bb.3864:                             ;   in Loop: Header=BB2_3706 Depth=3
	v_bfe_u32 v60, v58, 21, 1
	v_mov_b32_e32 v61, v3
	s_delay_alu instid0(VALU_DEP_1) | instskip(NEXT) | instid1(VALU_DEP_1)
	v_add_nc_u64_e32 v[60:61], v[58:59], v[60:61]
	v_add_nc_u64_e32 v[60:61], -1, v[60:61]
; %bb.3865:                             ;   in Loop: Header=BB2_3706 Depth=3
	s_or_b32 exec_lo, exec_lo, s74
	v_add_nc_u32_e32 v19, 0xffffff81, v19
	v_dual_mov_b32 v59, v3 :: v_dual_lshrrev_b32 v20, 23, v58
	s_mov_b32 s14, exec_lo
	s_delay_alu instid0(VALU_DEP_2) | instskip(NEXT) | instid1(VALU_DEP_1)
	v_cndmask_b32_e64 v19, v19, 0xffffff82, s13
	v_add3_u32 v57, v57, v19, v20
	v_and_b32_e32 v19, 0x1fffff, v60
	s_delay_alu instid0(VALU_DEP_1) | instskip(NEXT) | instid1(VALU_DEP_1)
	v_dual_add_nc_u32 v60, 14, v57 :: v_dual_add_nc_u32 v58, v19, v58
                                        ; implicit-def: $vgpr19
	v_cmpx_ne_u32_e32 0, v60
	s_xor_b32 s14, exec_lo, s14
; %bb.3866:                             ;   in Loop: Header=BB2_3706 Depth=3
	s_delay_alu instid0(VALU_DEP_2) | instskip(SKIP_1) | instid1(VALU_DEP_2)
	v_cmp_lt_u64_e64 s13, 0xffffff, v[58:59]
	v_add_nc_u32_e32 v19, 15, v57
	v_cndmask_b32_e64 v20, 0, 1, s13
	s_delay_alu instid0(VALU_DEP_2) | instskip(NEXT) | instid1(VALU_DEP_2)
	v_cndmask_b32_e64 v19, v60, v19, s13
	v_lshrrev_b64 v[58:59], v20, v[58:59]
; %bb.3867:                             ;   in Loop: Header=BB2_3706 Depth=3
	s_and_not1_saveexec_b32 s13, s14
; %bb.3868:                             ;   in Loop: Header=BB2_3706 Depth=3
	s_delay_alu instid0(VALU_DEP_1)
	v_bfe_u32 v19, v58, 23, 1
; %bb.3869:                             ;   in Loop: Header=BB2_3706 Depth=3
	s_or_b32 exec_lo, exec_lo, s13
	s_delay_alu instid0(VALU_DEP_2) | instskip(NEXT) | instid1(VALU_DEP_2)
	v_lshrrev_b64 v[58:59], 21, v[58:59]
	v_cmp_gt_i32_e64 s13, 32, v19
	v_min_i32_e32 v20, 31, v19
	v_cmp_eq_u32_e64 s14, 0, v19
	s_delay_alu instid0(VALU_DEP_2) | instskip(SKIP_1) | instid1(VALU_DEP_2)
	v_dual_cndmask_b32 v58, 3, v58, s13 :: v_dual_lshlrev_b32 v20, 2, v20
	v_cndmask_b32_e64 v59, 0, v59, s13
	v_and_b32_e32 v20, 0xfc, v20
	s_delay_alu instid0(VALU_DEP_2) | instskip(NEXT) | instid1(VALU_DEP_2)
	v_cmp_eq_u64_e64 s13, 0, v[58:59]
	v_and_or_b32 v19, v58, 3, v20
	s_and_b32 s13, s14, s13
	s_delay_alu instid0(VALU_DEP_1) | instid1(SALU_CYCLE_1)
	v_cndmask_b32_e64 v19, v19, 0, s13
	s_delay_alu instid0(VALU_DEP_1)
	v_or_b32_e32 v60, v19, v18
.LBB2_3870:                             ;   in Loop: Header=BB2_3706 Depth=3
	s_or_b32 exec_lo, exec_lo, s73
                                        ; implicit-def: $vgpr18
.LBB2_3871:                             ;   in Loop: Header=BB2_3706 Depth=3
	s_and_not1_saveexec_b32 s13, s72
; %bb.3872:                             ;   in Loop: Header=BB2_3706 Depth=3
	v_or_b32_e32 v60, 0x7b, v18
; %bb.3873:                             ;   in Loop: Header=BB2_3706 Depth=3
	s_or_b32 exec_lo, exec_lo, s13
                                        ; implicit-def: $vgpr19
                                        ; implicit-def: $vgpr58_vgpr59
                                        ; implicit-def: $vgpr18
.LBB2_3874:                             ;   in Loop: Header=BB2_3706 Depth=3
	s_and_not1_saveexec_b32 s14, s43
	s_cbranch_execz .LBB2_3880
; %bb.3875:                             ;   in Loop: Header=BB2_3706 Depth=3
	v_cmp_ne_u64_e64 s13, 0, v[58:59]
                                        ; implicit-def: $vgpr60
	s_and_saveexec_b32 s43, s13
	s_delay_alu instid0(SALU_CYCLE_1)
	s_xor_b32 s13, exec_lo, s43
; %bb.3876:                             ;   in Loop: Header=BB2_3706 Depth=3
	v_or_b32_e32 v60, 0x7f, v18
                                        ; implicit-def: $vgpr19
; %bb.3877:                             ;   in Loop: Header=BB2_3706 Depth=3
	s_and_not1_saveexec_b32 s43, s13
; %bb.3878:                             ;   in Loop: Header=BB2_3706 Depth=3
	v_cmp_lt_i32_e64 s13, -1, v19
	s_delay_alu instid0(VALU_DEP_1)
	v_cndmask_b32_e64 v60, 0xfc, v110, s13
; %bb.3879:                             ;   in Loop: Header=BB2_3706 Depth=3
	s_or_b32 exec_lo, exec_lo, s43
.LBB2_3880:                             ;   in Loop: Header=BB2_3706 Depth=3
	s_delay_alu instid0(SALU_CYCLE_1) | instskip(SKIP_3) | instid1(VALU_DEP_2)
	s_or_b32 exec_lo, exec_lo, s14
	v_lshrrev_b16 v58, 8, v2
	v_mov_b32_e32 v18, 0
	s_mov_b32 s14, exec_lo
	v_cmpx_ne_u16_e32 0, v58
	s_cbranch_execz .LBB2_3890
; %bb.3881:                             ;   in Loop: Header=BB2_3706 Depth=3
	v_bfrev_b32_e32 v18, 1
	s_mov_b32 s43, exec_lo
	v_cmpx_ne_u16_e32 0x80, v58
	s_cbranch_execz .LBB2_3889
; %bb.3882:                             ;   in Loop: Header=BB2_3706 Depth=3
	v_and_b32_e32 v57, 0xffff, v58
	s_delay_alu instid0(VALU_DEP_1) | instskip(SKIP_1) | instid1(VALU_DEP_2)
	v_and_b32_e32 v18, 0x7c, v57
	v_and_b32_e32 v19, 3, v57
	v_cmp_ne_u32_e64 s13, 0x7c, v18
                                        ; implicit-def: $vgpr18
	s_and_saveexec_b32 s72, s13
	s_delay_alu instid0(SALU_CYCLE_1)
	s_xor_b32 s72, exec_lo, s72
	s_cbranch_execz .LBB2_3886
; %bb.3883:                             ;   in Loop: Header=BB2_3706 Depth=3
	v_bfe_u32 v18, v57, 2, 5
	s_mov_b32 s73, exec_lo
	s_delay_alu instid0(VALU_DEP_1)
	v_cmpx_eq_u32_e32 0, v18
	s_cbranch_execz .LBB2_3885
; %bb.3884:                             ;   in Loop: Header=BB2_3706 Depth=3
	v_clz_i32_u32_e32 v18, v19
	s_delay_alu instid0(VALU_DEP_1) | instskip(SKIP_1) | instid1(VALU_DEP_2)
	v_min_u32_e32 v18, 32, v18
	v_mov_b32_e32 v59, v3
	v_subrev_nc_u32_e32 v19, 29, v18
	v_sub_nc_u32_e32 v18, 30, v18
	s_delay_alu instid0(VALU_DEP_2) | instskip(NEXT) | instid1(VALU_DEP_1)
	v_lshlrev_b64_e32 v[58:59], v19, v[58:59]
	v_and_b32_e32 v19, 3, v58
.LBB2_3885:                             ;   in Loop: Header=BB2_3706 Depth=3
	s_or_b32 exec_lo, exec_lo, s73
	v_lshlrev_b32_e32 v2, 16, v2
	s_delay_alu instid0(VALU_DEP_1) | instskip(NEXT) | instid1(VALU_DEP_1)
	v_and_b32_e32 v2, 0x80000000, v2
	v_lshl_add_u32 v2, v18, 23, v2
	s_delay_alu instid0(VALU_DEP_1) | instskip(NEXT) | instid1(VALU_DEP_1)
	v_lshl_or_b32 v2, v19, 21, v2
                                        ; implicit-def: $vgpr19
	v_add_nc_u32_e32 v18, 0x38000000, v2
.LBB2_3886:                             ;   in Loop: Header=BB2_3706 Depth=3
	s_and_not1_saveexec_b32 s72, s72
; %bb.3887:                             ;   in Loop: Header=BB2_3706 Depth=3
	v_cmp_lt_i16_e64 s13, -1, v2
	s_delay_alu instid0(VALU_DEP_1) | instskip(SKIP_1) | instid1(VALU_DEP_1)
	v_cndmask_b32_e64 v2, 0xff800000, v109, s13
	v_cmp_eq_u32_e64 s13, 0, v19
	v_cndmask_b32_e64 v18, 0x7f800001, v2, s13
; %bb.3888:                             ;   in Loop: Header=BB2_3706 Depth=3
	s_or_b32 exec_lo, exec_lo, s72
.LBB2_3889:                             ;   in Loop: Header=BB2_3706 Depth=3
	s_delay_alu instid0(SALU_CYCLE_1)
	s_or_b32 exec_lo, exec_lo, s43
.LBB2_3890:                             ;   in Loop: Header=BB2_3706 Depth=3
	s_delay_alu instid0(SALU_CYCLE_1) | instskip(SKIP_3) | instid1(VALU_DEP_1)
	s_or_b32 exec_lo, exec_lo, s14
	v_lshrrev_b16 v2, 8, v56
	s_mov_b32 s43, 0
	s_mov_b32 s14, exec_lo
	v_cmpx_lt_i16_e32 0x7f, v2
	s_xor_b32 s14, exec_lo, s14
	s_cbranch_execz .LBB2_4265
; %bb.3891:                             ;   in Loop: Header=BB2_3706 Depth=3
	s_mov_b32 s43, -1
	s_mov_b32 s72, exec_lo
	v_cmpx_eq_u16_e32 0x80, v2
; %bb.3892:                             ;   in Loop: Header=BB2_3706 Depth=3
	s_xor_b32 s43, exec_lo, -1
; %bb.3893:                             ;   in Loop: Header=BB2_3706 Depth=3
	s_or_b32 exec_lo, exec_lo, s72
	s_delay_alu instid0(SALU_CYCLE_1)
	s_and_b32 s43, s43, exec_lo
	s_or_saveexec_b32 s14, s14
	v_bfrev_b32_e32 v19, 1
	s_xor_b32 exec_lo, exec_lo, s14
	s_cbranch_execnz .LBB2_4266
.LBB2_3894:                             ;   in Loop: Header=BB2_3706 Depth=3
	s_or_b32 exec_lo, exec_lo, s14
	s_and_saveexec_b32 s14, s43
	s_cbranch_execz .LBB2_3896
.LBB2_3895:                             ;   in Loop: Header=BB2_3706 Depth=3
	v_and_b32_e32 v19, 0xffff, v2
	s_delay_alu instid0(VALU_DEP_1) | instskip(NEXT) | instid1(VALU_DEP_1)
	v_and_b32_e32 v20, 3, v19
	v_clz_i32_u32_e32 v21, v20
	s_delay_alu instid0(VALU_DEP_1) | instskip(NEXT) | instid1(VALU_DEP_1)
	v_min_u32_e32 v21, 32, v21
	v_subrev_nc_u32_e32 v57, 29, v21
	s_delay_alu instid0(VALU_DEP_1) | instskip(SKIP_3) | instid1(VALU_DEP_3)
	v_lshlrev_b64_e32 v[58:59], v57, v[2:3]
	v_bfe_u32 v57, v19, 2, 5
	v_dual_lshlrev_b32 v2, 24, v2 :: v_dual_sub_nc_u32 v21, 30, v21
	v_and_b32_e32 v19, 0x7c, v19
	v_cmp_eq_u32_e64 s13, 0, v57
	s_delay_alu instid0(VALU_DEP_3) | instskip(NEXT) | instid1(VALU_DEP_2)
	v_and_b32_e32 v2, 0x80000000, v2
	v_dual_cndmask_b32 v21, v57, v21, s13 :: v_dual_bitop2_b32 v58, 3, v58 bitop3:0x40
	s_delay_alu instid0(VALU_DEP_1) | instskip(SKIP_1) | instid1(VALU_DEP_3)
	v_cndmask_b32_e64 v57, v20, v58, s13
	v_cmp_lt_i16_e64 s13, -1, v56
	v_lshl_add_u32 v2, v21, 23, v2
	s_delay_alu instid0(VALU_DEP_2) | instskip(SKIP_1) | instid1(VALU_DEP_3)
	v_cndmask_b32_e64 v21, 0xff800000, v109, s13
	v_cmp_eq_u32_e64 s13, 0, v20
	v_lshl_or_b32 v2, v57, 21, v2
	s_delay_alu instid0(VALU_DEP_2) | instskip(NEXT) | instid1(VALU_DEP_2)
	v_cndmask_b32_e64 v20, 0x7f800001, v21, s13
	v_add_nc_u32_e32 v2, 0x38000000, v2
	v_cmp_eq_u32_e64 s13, 0x7c, v19
	s_delay_alu instid0(VALU_DEP_1)
	v_cndmask_b32_e64 v19, v2, v20, s13
.LBB2_3896:                             ;   in Loop: Header=BB2_3706 Depth=3
	s_or_b32 exec_lo, exec_lo, s14
	s_delay_alu instid0(VALU_DEP_1) | instskip(SKIP_1) | instid1(VALU_DEP_1)
	v_dual_mul_f32 v19, v18, v19 :: v_dual_mov_b32 v57, v3
                                        ; implicit-def: $vgpr61
	s_mov_b32 s14, exec_lo
	v_and_b32_e32 v56, 0x7f800000, v19
	v_and_b32_e32 v2, 0x7fffff, v19
	v_lshrrev_b32_e32 v18, 24, v19
	s_delay_alu instid0(VALU_DEP_3)
	v_cmpx_ne_u64_e32 0x7f800000, v[56:57]
	s_xor_b32 s43, exec_lo, s14
	s_cbranch_execz .LBB2_3910
; %bb.3897:                             ;   in Loop: Header=BB2_3706 Depth=3
	v_and_b32_e32 v56, 0x7fffffff, v19
	v_mov_b32_e32 v57, v3
	v_and_b32_e32 v18, 0x80, v18
                                        ; implicit-def: $vgpr61
	s_mov_b32 s14, exec_lo
	s_delay_alu instid0(VALU_DEP_2)
	v_cmpx_gt_u64_e32 0x47600001, v[56:57]
	s_xor_b32 s72, exec_lo, s14
	s_cbranch_execz .LBB2_3907
; %bb.3898:                             ;   in Loop: Header=BB2_3706 Depth=3
	v_mov_b32_e32 v61, 0
	s_mov_b32 s73, exec_lo
	v_cmpx_ne_u32_e32 0, v19
	s_cbranch_execz .LBB2_3906
; %bb.3899:                             ;   in Loop: Header=BB2_3706 Depth=3
	v_bfe_u32 v19, v19, 23, 8
	v_or_b32_e32 v21, 0x800000, v2
	s_delay_alu instid0(VALU_DEP_2) | instskip(SKIP_1) | instid1(VALU_DEP_1)
	v_sub_nc_u32_e32 v20, 0x71, v19
	v_cmp_gt_u32_e64 s13, 0x72, v19
	v_cndmask_b32_e64 v20, 0, v20, s13
	v_cmp_eq_u32_e64 s13, 0, v19
	s_delay_alu instid0(VALU_DEP_1) | instskip(NEXT) | instid1(VALU_DEP_3)
	v_cndmask_b32_e64 v2, v21, v2, s13
	v_cndmask_b32_e64 v61, v20, 0x70, s13
	s_delay_alu instid0(VALU_DEP_1) | instskip(NEXT) | instid1(VALU_DEP_1)
	v_add_nc_u32_e32 v20, 21, v61
	v_lshlrev_b64_e64 v[56:57], v20, -1
	v_add_nc_u32_e32 v20, 20, v61
	s_delay_alu instid0(VALU_DEP_1) | instskip(NEXT) | instid1(VALU_DEP_3)
	v_lshlrev_b64_e64 v[58:59], v20, 1
	v_bfi_b32 v79, v57, 0, 0
	s_delay_alu instid0(VALU_DEP_4) | instskip(SKIP_1) | instid1(VALU_DEP_2)
	v_bfi_b32 v78, v56, 0, v2
	v_lshrrev_b64 v[56:57], v61, v[2:3]
	v_cmp_eq_u64_e64 s14, v[78:79], v[58:59]
	s_delay_alu instid0(VALU_DEP_2)
	v_mov_b64_e32 v[58:59], v[56:57]
	s_and_saveexec_b32 s74, s14
; %bb.3900:                             ;   in Loop: Header=BB2_3706 Depth=3
	v_bfe_u32 v2, v56, 21, 1
	s_delay_alu instid0(VALU_DEP_1) | instskip(NEXT) | instid1(VALU_DEP_1)
	v_add_nc_u64_e32 v[58:59], v[56:57], v[2:3]
	v_add_nc_u64_e32 v[58:59], -1, v[58:59]
; %bb.3901:                             ;   in Loop: Header=BB2_3706 Depth=3
	s_or_b32 exec_lo, exec_lo, s74
	v_add_nc_u32_e32 v2, 0xffffff81, v19
	v_lshrrev_b32_e32 v19, 23, v56
	s_mov_b32 s14, exec_lo
	s_delay_alu instid0(VALU_DEP_2) | instskip(NEXT) | instid1(VALU_DEP_1)
	v_cndmask_b32_e64 v2, v2, 0xffffff82, s13
	v_add3_u32 v59, v61, v2, v19
	v_and_b32_e32 v2, 0x1fffff, v58
                                        ; implicit-def: $vgpr19
	s_delay_alu instid0(VALU_DEP_1) | instskip(NEXT) | instid1(VALU_DEP_1)
	v_dual_add_nc_u32 v58, 14, v59 :: v_dual_add_nc_u32 v2, v2, v56
                                        ; implicit-def: $vgpr56_vgpr57
	v_cmpx_ne_u32_e32 0, v58
	s_xor_b32 s14, exec_lo, s14
; %bb.3902:                             ;   in Loop: Header=BB2_3706 Depth=3
	s_delay_alu instid0(VALU_DEP_2) | instskip(SKIP_1) | instid1(VALU_DEP_2)
	v_cmp_lt_u64_e64 s13, 0xffffff, v[2:3]
	v_add_nc_u32_e32 v19, 15, v59
	v_cndmask_b32_e64 v20, 0, 1, s13
	s_delay_alu instid0(VALU_DEP_2) | instskip(NEXT) | instid1(VALU_DEP_2)
	v_cndmask_b32_e64 v19, v58, v19, s13
	v_lshrrev_b64 v[56:57], v20, v[2:3]
; %bb.3903:                             ;   in Loop: Header=BB2_3706 Depth=3
	s_and_not1_saveexec_b32 s13, s14
; %bb.3904:                             ;   in Loop: Header=BB2_3706 Depth=3
	v_mov_b64_e32 v[56:57], v[2:3]
	v_bfe_u32 v19, v2, 23, 1
; %bb.3905:                             ;   in Loop: Header=BB2_3706 Depth=3
	s_or_b32 exec_lo, exec_lo, s13
	s_delay_alu instid0(VALU_DEP_2) | instskip(NEXT) | instid1(VALU_DEP_2)
	v_lshrrev_b64 v[56:57], 21, v[56:57]
	v_cmp_gt_i32_e64 s13, 32, v19
	v_min_i32_e32 v2, 31, v19
	v_cmp_eq_u32_e64 s14, 0, v19
	s_delay_alu instid0(VALU_DEP_2) | instskip(SKIP_1) | instid1(VALU_DEP_2)
	v_dual_cndmask_b32 v57, 0, v57, s13 :: v_dual_lshlrev_b32 v2, 2, v2
	v_cndmask_b32_e64 v56, 3, v56, s13
	v_and_b32_e32 v2, 0xfc, v2
	s_delay_alu instid0(VALU_DEP_2) | instskip(NEXT) | instid1(VALU_DEP_2)
	v_cmp_eq_u64_e64 s13, 0, v[56:57]
	v_and_or_b32 v2, v56, 3, v2
	s_and_b32 s13, s14, s13
	s_delay_alu instid0(VALU_DEP_1) | instid1(SALU_CYCLE_1)
	v_cndmask_b32_e64 v2, v2, 0, s13
	s_delay_alu instid0(VALU_DEP_1)
	v_or_b32_e32 v61, v2, v18
.LBB2_3906:                             ;   in Loop: Header=BB2_3706 Depth=3
	s_or_b32 exec_lo, exec_lo, s73
                                        ; implicit-def: $vgpr18
.LBB2_3907:                             ;   in Loop: Header=BB2_3706 Depth=3
	s_and_not1_saveexec_b32 s13, s72
; %bb.3908:                             ;   in Loop: Header=BB2_3706 Depth=3
	v_or_b32_e32 v61, 0x7b, v18
; %bb.3909:                             ;   in Loop: Header=BB2_3706 Depth=3
	s_or_b32 exec_lo, exec_lo, s13
                                        ; implicit-def: $vgpr19
                                        ; implicit-def: $vgpr18
.LBB2_3910:                             ;   in Loop: Header=BB2_3706 Depth=3
	s_and_not1_saveexec_b32 s14, s43
	s_cbranch_execz .LBB2_3916
; %bb.3911:                             ;   in Loop: Header=BB2_3706 Depth=3
	v_cmp_ne_u64_e64 s13, 0, v[2:3]
                                        ; implicit-def: $vgpr61
	s_and_saveexec_b32 s43, s13
	s_delay_alu instid0(SALU_CYCLE_1)
	s_xor_b32 s13, exec_lo, s43
; %bb.3912:                             ;   in Loop: Header=BB2_3706 Depth=3
	v_or_b32_e32 v61, 0x7f, v18
                                        ; implicit-def: $vgpr19
; %bb.3913:                             ;   in Loop: Header=BB2_3706 Depth=3
	s_and_not1_saveexec_b32 s43, s13
; %bb.3914:                             ;   in Loop: Header=BB2_3706 Depth=3
	v_cmp_lt_i32_e64 s13, -1, v19
	s_delay_alu instid0(VALU_DEP_1)
	v_cndmask_b32_e64 v61, 0xfc, v110, s13
; %bb.3915:                             ;   in Loop: Header=BB2_3706 Depth=3
	s_or_b32 exec_lo, exec_lo, s43
.LBB2_3916:                             ;   in Loop: Header=BB2_3706 Depth=3
	s_delay_alu instid0(SALU_CYCLE_1) | instskip(SKIP_2) | instid1(VALU_DEP_1)
	s_or_b32 exec_lo, exec_lo, s14
	v_dual_lshrrev_b32 v2, 16, v13 :: v_dual_mov_b32 v18, 0
	s_mov_b32 s14, exec_lo
	v_and_b32_e32 v19, 0xff, v2
	s_delay_alu instid0(VALU_DEP_1)
	v_cmpx_ne_u16_e32 0, v19
	s_cbranch_execz .LBB2_3926
; %bb.3917:                             ;   in Loop: Header=BB2_3706 Depth=3
	v_bfrev_b32_e32 v18, 1
	s_mov_b32 s43, exec_lo
	v_cmpx_ne_u16_e32 0x80, v19
	s_cbranch_execz .LBB2_3925
; %bb.3918:                             ;   in Loop: Header=BB2_3706 Depth=3
	v_and_b32_e32 v18, 0x7c0000, v13
	v_bfe_u32 v19, v13, 16, 2
	s_delay_alu instid0(VALU_DEP_2) | instskip(SKIP_1) | instid1(SALU_CYCLE_1)
	v_cmp_ne_u32_e64 s13, 0x7c0000, v18
                                        ; implicit-def: $vgpr18
	s_and_saveexec_b32 s72, s13
	s_xor_b32 s72, exec_lo, s72
	s_cbranch_execz .LBB2_3922
; %bb.3919:                             ;   in Loop: Header=BB2_3706 Depth=3
	v_bfe_u32 v18, v13, 18, 5
	s_mov_b32 s73, exec_lo
	s_delay_alu instid0(VALU_DEP_1)
	v_cmpx_eq_u32_e32 0, v18
; %bb.3920:                             ;   in Loop: Header=BB2_3706 Depth=3
	v_clz_i32_u32_e32 v18, v19
	s_delay_alu instid0(VALU_DEP_1) | instskip(NEXT) | instid1(VALU_DEP_1)
	v_min_u32_e32 v18, 32, v18
	v_subrev_nc_u32_e32 v19, 29, v18
	s_delay_alu instid0(VALU_DEP_1) | instskip(NEXT) | instid1(VALU_DEP_1)
	v_lshlrev_b64_e32 v[56:57], v19, v[2:3]
	v_dual_sub_nc_u32 v18, 30, v18 :: v_dual_bitop2_b32 v19, 3, v56 bitop3:0x40
; %bb.3921:                             ;   in Loop: Header=BB2_3706 Depth=3
	s_or_b32 exec_lo, exec_lo, s73
	v_lshlrev_b32_e32 v2, 24, v2
	s_delay_alu instid0(VALU_DEP_1) | instskip(NEXT) | instid1(VALU_DEP_1)
	v_and_b32_e32 v2, 0x80000000, v2
	v_lshl_add_u32 v2, v18, 23, v2
	s_delay_alu instid0(VALU_DEP_1) | instskip(NEXT) | instid1(VALU_DEP_1)
	v_lshl_or_b32 v2, v19, 21, v2
                                        ; implicit-def: $vgpr19
	v_add_nc_u32_e32 v18, 0x38000000, v2
                                        ; implicit-def: $vgpr2
.LBB2_3922:                             ;   in Loop: Header=BB2_3706 Depth=3
	s_and_not1_saveexec_b32 s72, s72
; %bb.3923:                             ;   in Loop: Header=BB2_3706 Depth=3
	v_bfe_i32 v2, v2, 0, 8
	s_delay_alu instid0(VALU_DEP_1) | instskip(NEXT) | instid1(VALU_DEP_1)
	v_cmp_lt_i16_e64 s13, -1, v2
	v_cndmask_b32_e64 v2, 0xff800000, v109, s13
	v_cmp_eq_u32_e64 s13, 0, v19
	s_delay_alu instid0(VALU_DEP_1)
	v_cndmask_b32_e64 v18, 0x7f800001, v2, s13
; %bb.3924:                             ;   in Loop: Header=BB2_3706 Depth=3
	s_or_b32 exec_lo, exec_lo, s72
.LBB2_3925:                             ;   in Loop: Header=BB2_3706 Depth=3
	s_delay_alu instid0(SALU_CYCLE_1)
	s_or_b32 exec_lo, exec_lo, s43
.LBB2_3926:                             ;   in Loop: Header=BB2_3706 Depth=3
	s_delay_alu instid0(SALU_CYCLE_1) | instskip(SKIP_3) | instid1(VALU_DEP_1)
	s_or_b32 exec_lo, exec_lo, s14
	v_lshrrev_b32_e32 v2, 16, v9
	s_mov_b32 s43, 0
	s_mov_b32 s14, exec_lo
	v_and_b32_e32 v56, 0xff, v2
	s_delay_alu instid0(VALU_DEP_1)
	v_cmpx_lt_i16_e32 0x7f, v56
	s_xor_b32 s14, exec_lo, s14
	s_cbranch_execz .LBB2_4267
; %bb.3927:                             ;   in Loop: Header=BB2_3706 Depth=3
	s_mov_b32 s43, -1
	s_mov_b32 s72, exec_lo
	v_cmpx_eq_u16_e32 0x80, v56
; %bb.3928:                             ;   in Loop: Header=BB2_3706 Depth=3
	s_xor_b32 s43, exec_lo, -1
; %bb.3929:                             ;   in Loop: Header=BB2_3706 Depth=3
	s_or_b32 exec_lo, exec_lo, s72
	s_delay_alu instid0(SALU_CYCLE_1)
	s_and_b32 s43, s43, exec_lo
                                        ; implicit-def: $vgpr56
	s_or_saveexec_b32 s14, s14
	v_bfrev_b32_e32 v19, 1
	s_xor_b32 exec_lo, exec_lo, s14
	s_cbranch_execnz .LBB2_4268
.LBB2_3930:                             ;   in Loop: Header=BB2_3706 Depth=3
	s_or_b32 exec_lo, exec_lo, s14
	s_and_saveexec_b32 s14, s43
	s_cbranch_execz .LBB2_3932
.LBB2_3931:                             ;   in Loop: Header=BB2_3706 Depth=3
	v_and_b32_e32 v19, 3, v2
	s_delay_alu instid0(VALU_DEP_1) | instskip(NEXT) | instid1(VALU_DEP_1)
	v_clz_i32_u32_e32 v20, v19
	v_min_u32_e32 v20, 32, v20
	s_delay_alu instid0(VALU_DEP_1) | instskip(SKIP_1) | instid1(VALU_DEP_2)
	v_subrev_nc_u32_e32 v21, 29, v20
	v_sub_nc_u32_e32 v20, 30, v20
	v_lshlrev_b64_e32 v[56:57], v21, v[2:3]
	v_bfe_u32 v57, v9, 18, 5
	v_lshlrev_b32_e32 v21, 24, v2
	v_bfe_i32 v2, v2, 0, 8
	s_delay_alu instid0(VALU_DEP_3) | instskip(NEXT) | instid1(VALU_DEP_3)
	v_cmp_eq_u32_e64 s13, 0, v57
	v_and_b32_e32 v21, 0x80000000, v21
	v_and_b32_e32 v56, 3, v56
	s_delay_alu instid0(VALU_DEP_3) | instskip(NEXT) | instid1(VALU_DEP_2)
	v_cndmask_b32_e64 v20, v57, v20, s13
	v_cndmask_b32_e64 v56, v19, v56, s13
	v_cmp_lt_i16_e64 s13, -1, v2
	s_delay_alu instid0(VALU_DEP_3) | instskip(SKIP_1) | instid1(VALU_DEP_3)
	v_lshl_add_u32 v20, v20, 23, v21
	v_and_b32_e32 v21, 0x7c0000, v9
	v_cndmask_b32_e64 v2, 0xff800000, v109, s13
	v_cmp_eq_u32_e64 s13, 0, v19
	s_delay_alu instid0(VALU_DEP_4) | instskip(NEXT) | instid1(VALU_DEP_2)
	v_lshl_or_b32 v20, v56, 21, v20
	v_cndmask_b32_e64 v2, 0x7f800001, v2, s13
	s_delay_alu instid0(VALU_DEP_2) | instskip(SKIP_1) | instid1(VALU_DEP_1)
	v_add_nc_u32_e32 v19, 0x38000000, v20
	v_cmp_eq_u32_e64 s13, 0x7c0000, v21
	v_cndmask_b32_e64 v19, v19, v2, s13
.LBB2_3932:                             ;   in Loop: Header=BB2_3706 Depth=3
	s_or_b32 exec_lo, exec_lo, s14
	s_delay_alu instid0(VALU_DEP_1) | instskip(SKIP_1) | instid1(VALU_DEP_1)
	v_dual_mul_f32 v19, v18, v19 :: v_dual_mov_b32 v57, v3
                                        ; implicit-def: $vgpr58
	s_mov_b32 s14, exec_lo
	v_and_b32_e32 v56, 0x7f800000, v19
	v_and_b32_e32 v2, 0x7fffff, v19
	v_lshrrev_b32_e32 v18, 24, v19
	s_delay_alu instid0(VALU_DEP_3)
	v_cmpx_ne_u64_e32 0x7f800000, v[56:57]
	s_xor_b32 s43, exec_lo, s14
	s_cbranch_execz .LBB2_3946
; %bb.3933:                             ;   in Loop: Header=BB2_3706 Depth=3
	v_and_b32_e32 v56, 0x7fffffff, v19
	v_mov_b32_e32 v57, v3
	v_and_b32_e32 v18, 0x80, v18
                                        ; implicit-def: $vgpr58
	s_mov_b32 s14, exec_lo
	s_delay_alu instid0(VALU_DEP_2)
	v_cmpx_gt_u64_e32 0x47600001, v[56:57]
	s_xor_b32 s72, exec_lo, s14
	s_cbranch_execz .LBB2_3943
; %bb.3934:                             ;   in Loop: Header=BB2_3706 Depth=3
	v_mov_b32_e32 v58, 0
	s_mov_b32 s73, exec_lo
	v_cmpx_ne_u32_e32 0, v19
	s_cbranch_execz .LBB2_3942
; %bb.3935:                             ;   in Loop: Header=BB2_3706 Depth=3
	v_bfe_u32 v19, v19, 23, 8
	v_or_b32_e32 v21, 0x800000, v2
	s_delay_alu instid0(VALU_DEP_2) | instskip(SKIP_1) | instid1(VALU_DEP_1)
	v_sub_nc_u32_e32 v20, 0x71, v19
	v_cmp_gt_u32_e64 s13, 0x72, v19
	v_cndmask_b32_e64 v20, 0, v20, s13
	v_cmp_eq_u32_e64 s13, 0, v19
	s_delay_alu instid0(VALU_DEP_1) | instskip(NEXT) | instid1(VALU_DEP_3)
	v_cndmask_b32_e64 v2, v21, v2, s13
	v_cndmask_b32_e64 v77, v20, 0x70, s13
	s_delay_alu instid0(VALU_DEP_1) | instskip(NEXT) | instid1(VALU_DEP_1)
	v_add_nc_u32_e32 v20, 21, v77
	v_lshlrev_b64_e64 v[56:57], v20, -1
	v_add_nc_u32_e32 v20, 20, v77
	s_delay_alu instid0(VALU_DEP_1) | instskip(NEXT) | instid1(VALU_DEP_3)
	v_lshlrev_b64_e64 v[58:59], v20, 1
	v_bfi_b32 v79, v57, 0, 0
	s_delay_alu instid0(VALU_DEP_4) | instskip(SKIP_1) | instid1(VALU_DEP_2)
	v_bfi_b32 v78, v56, 0, v2
	v_lshrrev_b64 v[56:57], v77, v[2:3]
	v_cmp_eq_u64_e64 s14, v[78:79], v[58:59]
	s_delay_alu instid0(VALU_DEP_2)
	v_mov_b64_e32 v[58:59], v[56:57]
	s_and_saveexec_b32 s74, s14
; %bb.3936:                             ;   in Loop: Header=BB2_3706 Depth=3
	v_bfe_u32 v2, v56, 21, 1
	s_delay_alu instid0(VALU_DEP_1) | instskip(NEXT) | instid1(VALU_DEP_1)
	v_add_nc_u64_e32 v[58:59], v[56:57], v[2:3]
	v_add_nc_u64_e32 v[58:59], -1, v[58:59]
; %bb.3937:                             ;   in Loop: Header=BB2_3706 Depth=3
	s_or_b32 exec_lo, exec_lo, s74
	v_add_nc_u32_e32 v2, 0xffffff81, v19
	v_lshrrev_b32_e32 v19, 23, v56
	s_mov_b32 s14, exec_lo
	s_delay_alu instid0(VALU_DEP_2) | instskip(NEXT) | instid1(VALU_DEP_1)
	v_cndmask_b32_e64 v2, v2, 0xffffff82, s13
	v_add3_u32 v59, v77, v2, v19
	v_and_b32_e32 v2, 0x1fffff, v58
                                        ; implicit-def: $vgpr19
	s_delay_alu instid0(VALU_DEP_1) | instskip(NEXT) | instid1(VALU_DEP_1)
	v_dual_add_nc_u32 v58, 14, v59 :: v_dual_add_nc_u32 v2, v2, v56
                                        ; implicit-def: $vgpr56_vgpr57
	v_cmpx_ne_u32_e32 0, v58
	s_xor_b32 s14, exec_lo, s14
; %bb.3938:                             ;   in Loop: Header=BB2_3706 Depth=3
	s_delay_alu instid0(VALU_DEP_2) | instskip(SKIP_1) | instid1(VALU_DEP_2)
	v_cmp_lt_u64_e64 s13, 0xffffff, v[2:3]
	v_add_nc_u32_e32 v19, 15, v59
	v_cndmask_b32_e64 v20, 0, 1, s13
	s_delay_alu instid0(VALU_DEP_2) | instskip(NEXT) | instid1(VALU_DEP_2)
	v_cndmask_b32_e64 v19, v58, v19, s13
	v_lshrrev_b64 v[56:57], v20, v[2:3]
; %bb.3939:                             ;   in Loop: Header=BB2_3706 Depth=3
	s_and_not1_saveexec_b32 s13, s14
; %bb.3940:                             ;   in Loop: Header=BB2_3706 Depth=3
	v_mov_b64_e32 v[56:57], v[2:3]
	v_bfe_u32 v19, v2, 23, 1
; %bb.3941:                             ;   in Loop: Header=BB2_3706 Depth=3
	s_or_b32 exec_lo, exec_lo, s13
	s_delay_alu instid0(VALU_DEP_2) | instskip(NEXT) | instid1(VALU_DEP_2)
	v_lshrrev_b64 v[56:57], 21, v[56:57]
	v_cmp_gt_i32_e64 s13, 32, v19
	v_min_i32_e32 v2, 31, v19
	v_cmp_eq_u32_e64 s14, 0, v19
	s_delay_alu instid0(VALU_DEP_2) | instskip(SKIP_1) | instid1(VALU_DEP_2)
	v_dual_cndmask_b32 v57, 0, v57, s13 :: v_dual_lshlrev_b32 v2, 2, v2
	v_cndmask_b32_e64 v56, 3, v56, s13
	v_and_b32_e32 v2, 0xfc, v2
	s_delay_alu instid0(VALU_DEP_2) | instskip(NEXT) | instid1(VALU_DEP_2)
	v_cmp_eq_u64_e64 s13, 0, v[56:57]
	v_and_or_b32 v2, v56, 3, v2
	s_and_b32 s13, s14, s13
	s_delay_alu instid0(VALU_DEP_1) | instid1(SALU_CYCLE_1)
	v_cndmask_b32_e64 v2, v2, 0, s13
	s_delay_alu instid0(VALU_DEP_1)
	v_or_b32_e32 v58, v2, v18
.LBB2_3942:                             ;   in Loop: Header=BB2_3706 Depth=3
	s_or_b32 exec_lo, exec_lo, s73
                                        ; implicit-def: $vgpr18
.LBB2_3943:                             ;   in Loop: Header=BB2_3706 Depth=3
	s_and_not1_saveexec_b32 s13, s72
; %bb.3944:                             ;   in Loop: Header=BB2_3706 Depth=3
	v_or_b32_e32 v58, 0x7b, v18
; %bb.3945:                             ;   in Loop: Header=BB2_3706 Depth=3
	s_or_b32 exec_lo, exec_lo, s13
                                        ; implicit-def: $vgpr19
                                        ; implicit-def: $vgpr18
.LBB2_3946:                             ;   in Loop: Header=BB2_3706 Depth=3
	s_and_not1_saveexec_b32 s14, s43
	s_cbranch_execz .LBB2_3952
; %bb.3947:                             ;   in Loop: Header=BB2_3706 Depth=3
	v_cmp_ne_u64_e64 s13, 0, v[2:3]
                                        ; implicit-def: $vgpr58
	s_and_saveexec_b32 s43, s13
	s_delay_alu instid0(SALU_CYCLE_1)
	s_xor_b32 s13, exec_lo, s43
; %bb.3948:                             ;   in Loop: Header=BB2_3706 Depth=3
	v_or_b32_e32 v58, 0x7f, v18
                                        ; implicit-def: $vgpr19
; %bb.3949:                             ;   in Loop: Header=BB2_3706 Depth=3
	s_and_not1_saveexec_b32 s43, s13
; %bb.3950:                             ;   in Loop: Header=BB2_3706 Depth=3
	v_cmp_lt_i32_e64 s13, -1, v19
	s_delay_alu instid0(VALU_DEP_1)
	v_cndmask_b32_e64 v58, 0xfc, v110, s13
; %bb.3951:                             ;   in Loop: Header=BB2_3706 Depth=3
	s_or_b32 exec_lo, exec_lo, s43
.LBB2_3952:                             ;   in Loop: Header=BB2_3706 Depth=3
	s_delay_alu instid0(SALU_CYCLE_1)
	s_or_b32 exec_lo, exec_lo, s14
	v_mov_b32_e32 v18, 0
	s_mov_b32 s14, exec_lo
	v_cmpx_lt_u64_e64 s[22:23], v[12:13]
	s_cbranch_execz .LBB2_3962
; %bb.3953:                             ;   in Loop: Header=BB2_3706 Depth=3
	v_lshrrev_b32_e32 v2, 24, v13
	v_bfrev_b32_e32 v18, 1
	s_mov_b32 s43, exec_lo
	s_delay_alu instid0(VALU_DEP_2)
	v_cmpx_ne_u32_e32 0x80, v2
	s_cbranch_execz .LBB2_3961
; %bb.3954:                             ;   in Loop: Header=BB2_3706 Depth=3
	v_and_b32_e32 v18, 0x7c000000, v13
	v_bfe_u32 v19, v13, 24, 2
	s_delay_alu instid0(VALU_DEP_2) | instskip(SKIP_1) | instid1(SALU_CYCLE_1)
	v_cmp_ne_u32_e64 s13, 0x7c000000, v18
                                        ; implicit-def: $vgpr18
	s_and_saveexec_b32 s72, s13
	s_xor_b32 s72, exec_lo, s72
	s_cbranch_execz .LBB2_3958
; %bb.3955:                             ;   in Loop: Header=BB2_3706 Depth=3
	v_bfe_u32 v18, v13, 26, 5
	s_mov_b32 s73, exec_lo
	s_delay_alu instid0(VALU_DEP_1)
	v_cmpx_eq_u32_e32 0, v18
; %bb.3956:                             ;   in Loop: Header=BB2_3706 Depth=3
	v_clz_i32_u32_e32 v18, v19
	s_delay_alu instid0(VALU_DEP_1) | instskip(NEXT) | instid1(VALU_DEP_1)
	v_min_u32_e32 v18, 32, v18
	v_subrev_nc_u32_e32 v19, 29, v18
	s_delay_alu instid0(VALU_DEP_1) | instskip(NEXT) | instid1(VALU_DEP_1)
	v_lshlrev_b64_e32 v[56:57], v19, v[2:3]
	v_dual_sub_nc_u32 v18, 30, v18 :: v_dual_bitop2_b32 v19, 3, v56 bitop3:0x40
; %bb.3957:                             ;   in Loop: Header=BB2_3706 Depth=3
	s_or_b32 exec_lo, exec_lo, s73
	v_and_b32_e32 v2, 0x80000000, v13
	s_delay_alu instid0(VALU_DEP_1) | instskip(NEXT) | instid1(VALU_DEP_1)
	v_lshl_add_u32 v2, v18, 23, v2
	v_lshl_or_b32 v2, v19, 21, v2
                                        ; implicit-def: $vgpr19
	s_delay_alu instid0(VALU_DEP_1)
	v_add_nc_u32_e32 v18, 0x38000000, v2
.LBB2_3958:                             ;   in Loop: Header=BB2_3706 Depth=3
	s_and_not1_saveexec_b32 s72, s72
; %bb.3959:                             ;   in Loop: Header=BB2_3706 Depth=3
	v_cmp_lt_i64_e64 s13, -1, v[12:13]
	s_delay_alu instid0(VALU_DEP_1) | instskip(SKIP_1) | instid1(VALU_DEP_1)
	v_cndmask_b32_e64 v2, 0xff800000, v109, s13
	v_cmp_eq_u32_e64 s13, 0, v19
	v_cndmask_b32_e64 v18, 0x7f800001, v2, s13
; %bb.3960:                             ;   in Loop: Header=BB2_3706 Depth=3
	s_or_b32 exec_lo, exec_lo, s72
.LBB2_3961:                             ;   in Loop: Header=BB2_3706 Depth=3
	s_delay_alu instid0(SALU_CYCLE_1)
	s_or_b32 exec_lo, exec_lo, s43
.LBB2_3962:                             ;   in Loop: Header=BB2_3706 Depth=3
	s_delay_alu instid0(SALU_CYCLE_1) | instskip(SKIP_3) | instid1(VALU_DEP_2)
	s_or_b32 exec_lo, exec_lo, s14
	v_bfe_u32 v19, v9, 24, 2
	v_bfe_u32 v21, v9, 26, 5
	s_mov_b32 s14, exec_lo
	v_clz_i32_u32_e32 v2, v19
	s_delay_alu instid0(VALU_DEP_2) | instskip(NEXT) | instid1(VALU_DEP_2)
	v_cmp_eq_u32_e64 s13, 0, v21
	v_min_u32_e32 v20, 32, v2
	v_lshrrev_b32_e32 v2, 24, v9
	s_delay_alu instid0(VALU_DEP_2) | instskip(NEXT) | instid1(VALU_DEP_1)
	v_subrev_nc_u32_e32 v12, 29, v20
	v_lshlrev_b64_e32 v[12:13], v12, v[2:3]
	v_sub_nc_u32_e32 v13, 30, v20
	v_and_b32_e32 v20, 0x80000000, v9
	s_delay_alu instid0(VALU_DEP_2) | instskip(NEXT) | instid1(VALU_DEP_1)
	v_dual_cndmask_b32 v13, v21, v13, s13 :: v_dual_bitop2_b32 v12, 3, v12 bitop3:0x40
	v_lshl_add_u32 v13, v13, 23, v20
	s_delay_alu instid0(VALU_DEP_2) | instskip(SKIP_1) | instid1(VALU_DEP_2)
	v_cndmask_b32_e64 v12, v19, v12, s13
	v_cmp_lt_i64_e64 s13, -1, v[8:9]
	v_lshl_or_b32 v12, v12, 21, v13
	v_and_b32_e32 v13, 0x7c000000, v9
	s_delay_alu instid0(VALU_DEP_3) | instskip(SKIP_1) | instid1(VALU_DEP_4)
	v_cndmask_b32_e64 v20, 0xff800000, v109, s13
	v_cmp_eq_u32_e64 s13, 0, v19
	v_add_nc_u32_e32 v12, 0x38000000, v12
	s_delay_alu instid0(VALU_DEP_2) | instskip(SKIP_1) | instid1(VALU_DEP_1)
	v_cndmask_b32_e64 v19, 0x7f800001, v20, s13
	v_cmp_eq_u32_e64 s13, 0x7c000000, v13
	v_dual_mov_b32 v13, v3 :: v_dual_cndmask_b32 v12, v12, v19, s13
	v_cmp_ne_u32_e64 s13, 0x80, v2
	s_delay_alu instid0(VALU_DEP_1) | instskip(SKIP_1) | instid1(VALU_DEP_1)
	v_cndmask_b32_e64 v2, 0x80000000, v12, s13
	v_cmp_lt_u64_e64 s13, s[22:23], v[8:9]
	v_cndmask_b32_e64 v2, 0, v2, s13
	s_delay_alu instid0(VALU_DEP_1) | instskip(NEXT) | instid1(VALU_DEP_1)
	v_mul_f32_e32 v8, v2, v18
                                        ; implicit-def: $vgpr18
	v_and_b32_e32 v12, 0x7f800000, v8
	v_and_b32_e32 v2, 0x7fffff, v8
	v_lshrrev_b32_e32 v9, 24, v8
	s_delay_alu instid0(VALU_DEP_3)
	v_cmpx_ne_u64_e32 0x7f800000, v[12:13]
	s_xor_b32 s43, exec_lo, s14
	s_cbranch_execz .LBB2_3976
; %bb.3963:                             ;   in Loop: Header=BB2_3706 Depth=3
	v_and_b32_e32 v12, 0x7fffffff, v8
	v_mov_b32_e32 v13, v3
	v_and_b32_e32 v19, 0x80, v9
                                        ; implicit-def: $vgpr18
	s_mov_b32 s14, exec_lo
	s_delay_alu instid0(VALU_DEP_2)
	v_cmpx_gt_u64_e32 0x47600001, v[12:13]
	s_xor_b32 s72, exec_lo, s14
	s_cbranch_execz .LBB2_3973
; %bb.3964:                             ;   in Loop: Header=BB2_3706 Depth=3
	v_mov_b32_e32 v18, 0
	s_mov_b32 s73, exec_lo
	v_cmpx_ne_u32_e32 0, v8
	s_cbranch_execz .LBB2_3972
; %bb.3965:                             ;   in Loop: Header=BB2_3706 Depth=3
	v_bfe_u32 v18, v8, 23, 8
	v_or_b32_e32 v12, 0x800000, v2
	s_delay_alu instid0(VALU_DEP_2) | instskip(SKIP_1) | instid1(VALU_DEP_1)
	v_sub_nc_u32_e32 v8, 0x71, v18
	v_cmp_gt_u32_e64 s13, 0x72, v18
	v_cndmask_b32_e64 v8, 0, v8, s13
	v_cmp_eq_u32_e64 s13, 0, v18
	s_delay_alu instid0(VALU_DEP_1) | instskip(NEXT) | instid1(VALU_DEP_3)
	v_cndmask_b32_e64 v2, v12, v2, s13
	v_cndmask_b32_e64 v56, v8, 0x70, s13
	s_delay_alu instid0(VALU_DEP_1) | instskip(NEXT) | instid1(VALU_DEP_1)
	v_dual_add_nc_u32 v8, 21, v56 :: v_dual_add_nc_u32 v13, 20, v56
	v_lshlrev_b64_e64 v[8:9], v8, -1
	s_delay_alu instid0(VALU_DEP_2) | instskip(NEXT) | instid1(VALU_DEP_2)
	v_lshlrev_b64_e64 v[12:13], v13, 1
	v_bfi_b32 v79, v9, 0, 0
	s_delay_alu instid0(VALU_DEP_3) | instskip(SKIP_1) | instid1(VALU_DEP_2)
	v_bfi_b32 v78, v8, 0, v2
	v_lshrrev_b64 v[8:9], v56, v[2:3]
	v_cmp_eq_u64_e64 s14, v[78:79], v[12:13]
	s_delay_alu instid0(VALU_DEP_2)
	v_mov_b64_e32 v[12:13], v[8:9]
	s_and_saveexec_b32 s74, s14
; %bb.3966:                             ;   in Loop: Header=BB2_3706 Depth=3
	v_bfe_u32 v2, v8, 21, 1
	s_delay_alu instid0(VALU_DEP_1) | instskip(NEXT) | instid1(VALU_DEP_1)
	v_add_nc_u64_e32 v[12:13], v[8:9], v[2:3]
	v_add_nc_u64_e32 v[12:13], -1, v[12:13]
; %bb.3967:                             ;   in Loop: Header=BB2_3706 Depth=3
	s_or_b32 exec_lo, exec_lo, s74
	v_add_nc_u32_e32 v2, 0xffffff81, v18
	v_lshrrev_b32_e32 v9, 23, v8
	s_mov_b32 s14, exec_lo
	s_delay_alu instid0(VALU_DEP_2) | instskip(NEXT) | instid1(VALU_DEP_1)
	v_cndmask_b32_e64 v2, v2, 0xffffff82, s13
	v_add3_u32 v13, v56, v2, v9
	v_and_b32_e32 v2, 0x1fffff, v12
                                        ; implicit-def: $vgpr12
	s_delay_alu instid0(VALU_DEP_1) | instskip(NEXT) | instid1(VALU_DEP_1)
	v_dual_add_nc_u32 v18, 14, v13 :: v_dual_add_nc_u32 v2, v2, v8
                                        ; implicit-def: $vgpr8_vgpr9
	v_cmpx_ne_u32_e32 0, v18
	s_xor_b32 s14, exec_lo, s14
; %bb.3968:                             ;   in Loop: Header=BB2_3706 Depth=3
	s_delay_alu instid0(VALU_DEP_2) | instskip(SKIP_1) | instid1(VALU_DEP_1)
	v_cmp_lt_u64_e64 s13, 0xffffff, v[2:3]
	v_add_nc_u32_e32 v8, 15, v13
	v_cndmask_b32_e64 v12, v18, v8, s13
	v_cndmask_b32_e64 v8, 0, 1, s13
	s_delay_alu instid0(VALU_DEP_1)
	v_lshrrev_b64 v[8:9], v8, v[2:3]
; %bb.3969:                             ;   in Loop: Header=BB2_3706 Depth=3
	s_and_not1_saveexec_b32 s13, s14
; %bb.3970:                             ;   in Loop: Header=BB2_3706 Depth=3
	v_mov_b64_e32 v[8:9], v[2:3]
	v_bfe_u32 v12, v2, 23, 1
; %bb.3971:                             ;   in Loop: Header=BB2_3706 Depth=3
	s_or_b32 exec_lo, exec_lo, s13
	s_delay_alu instid0(VALU_DEP_2) | instskip(NEXT) | instid1(VALU_DEP_2)
	v_lshrrev_b64 v[8:9], 21, v[8:9]
	v_cmp_gt_i32_e64 s13, 32, v12
	v_min_i32_e32 v2, 31, v12
	v_cmp_eq_u32_e64 s14, 0, v12
	s_delay_alu instid0(VALU_DEP_2) | instskip(SKIP_1) | instid1(VALU_DEP_2)
	v_dual_cndmask_b32 v9, 0, v9, s13 :: v_dual_lshlrev_b32 v2, 2, v2
	v_cndmask_b32_e64 v8, 3, v8, s13
	v_and_b32_e32 v2, 0xfc, v2
	s_delay_alu instid0(VALU_DEP_2) | instskip(NEXT) | instid1(VALU_DEP_2)
	v_cmp_eq_u64_e64 s13, 0, v[8:9]
	v_and_or_b32 v2, v8, 3, v2
	s_and_b32 s13, s14, s13
	s_delay_alu instid0(VALU_DEP_1) | instid1(SALU_CYCLE_1)
	v_cndmask_b32_e64 v2, v2, 0, s13
	s_delay_alu instid0(VALU_DEP_1)
	v_or_b32_e32 v18, v2, v19
.LBB2_3972:                             ;   in Loop: Header=BB2_3706 Depth=3
	s_or_b32 exec_lo, exec_lo, s73
                                        ; implicit-def: $vgpr19
.LBB2_3973:                             ;   in Loop: Header=BB2_3706 Depth=3
	s_and_not1_saveexec_b32 s13, s72
; %bb.3974:                             ;   in Loop: Header=BB2_3706 Depth=3
	v_or_b32_e32 v18, 0x7b, v19
; %bb.3975:                             ;   in Loop: Header=BB2_3706 Depth=3
	s_or_b32 exec_lo, exec_lo, s13
                                        ; implicit-def: $vgpr8
                                        ; implicit-def: $vgpr9
.LBB2_3976:                             ;   in Loop: Header=BB2_3706 Depth=3
	s_and_not1_saveexec_b32 s14, s43
	s_cbranch_execz .LBB2_3982
; %bb.3977:                             ;   in Loop: Header=BB2_3706 Depth=3
	v_cmp_ne_u64_e64 s13, 0, v[2:3]
                                        ; implicit-def: $vgpr18
	s_and_saveexec_b32 s43, s13
	s_delay_alu instid0(SALU_CYCLE_1)
	s_xor_b32 s13, exec_lo, s43
; %bb.3978:                             ;   in Loop: Header=BB2_3706 Depth=3
	v_or_b32_e32 v18, 0x7f, v9
                                        ; implicit-def: $vgpr8
; %bb.3979:                             ;   in Loop: Header=BB2_3706 Depth=3
	s_and_not1_saveexec_b32 s43, s13
; %bb.3980:                             ;   in Loop: Header=BB2_3706 Depth=3
	v_cmp_lt_i32_e64 s13, -1, v8
	s_delay_alu instid0(VALU_DEP_1)
	v_cndmask_b32_e64 v18, 0xfc, v110, s13
; %bb.3981:                             ;   in Loop: Header=BB2_3706 Depth=3
	s_or_b32 exec_lo, exec_lo, s43
.LBB2_3982:                             ;   in Loop: Header=BB2_3706 Depth=3
	s_delay_alu instid0(SALU_CYCLE_1) | instskip(SKIP_1) | instid1(VALU_DEP_1)
	s_or_b32 exec_lo, exec_lo, s14
	v_and_b32_e32 v2, 0xff, v14
	v_cmp_ne_u16_e64 s13, 0, v2
	v_mov_b32_e32 v2, 0
	s_and_saveexec_b32 s14, s13
	s_cbranch_execz .LBB2_3992
; %bb.3983:                             ;   in Loop: Header=BB2_3706 Depth=3
	v_bfe_i32 v9, v14, 0, 8
	v_bfrev_b32_e32 v2, 1
	s_mov_b32 s43, exec_lo
	s_delay_alu instid0(VALU_DEP_2)
	v_cmpx_ne_u16_e32 0xff80, v9
	s_cbranch_execz .LBB2_3991
; %bb.3984:                             ;   in Loop: Header=BB2_3706 Depth=3
	v_and_b32_e32 v2, 0x7c, v14
	v_and_b32_e32 v8, 3, v14
	s_delay_alu instid0(VALU_DEP_2) | instskip(SKIP_1) | instid1(SALU_CYCLE_1)
	v_cmp_ne_u32_e64 s13, 0x7c, v2
                                        ; implicit-def: $vgpr2
	s_and_saveexec_b32 s72, s13
	s_xor_b32 s72, exec_lo, s72
	s_cbranch_execz .LBB2_3988
; %bb.3985:                             ;   in Loop: Header=BB2_3706 Depth=3
	v_bfe_u32 v2, v14, 2, 5
	s_mov_b32 s73, exec_lo
	s_delay_alu instid0(VALU_DEP_1)
	v_cmpx_eq_u32_e32 0, v2
; %bb.3986:                             ;   in Loop: Header=BB2_3706 Depth=3
	v_clz_i32_u32_e32 v2, v8
	s_delay_alu instid0(VALU_DEP_1) | instskip(NEXT) | instid1(VALU_DEP_1)
	v_min_u32_e32 v2, 32, v2
	v_subrev_nc_u32_e32 v8, 29, v2
	s_delay_alu instid0(VALU_DEP_1) | instskip(NEXT) | instid1(VALU_DEP_1)
	v_lshlrev_b64_e32 v[8:9], v8, v[14:15]
	v_dual_sub_nc_u32 v2, 30, v2 :: v_dual_bitop2_b32 v8, 3, v8 bitop3:0x40
; %bb.3987:                             ;   in Loop: Header=BB2_3706 Depth=3
	s_or_b32 exec_lo, exec_lo, s73
	v_lshlrev_b32_e32 v9, 24, v14
	s_delay_alu instid0(VALU_DEP_1) | instskip(NEXT) | instid1(VALU_DEP_1)
	v_and_b32_e32 v9, 0x80000000, v9
	v_lshl_add_u32 v2, v2, 23, v9
                                        ; implicit-def: $vgpr9
	s_delay_alu instid0(VALU_DEP_1) | instskip(NEXT) | instid1(VALU_DEP_1)
	v_lshl_or_b32 v2, v8, 21, v2
                                        ; implicit-def: $vgpr8
	v_add_nc_u32_e32 v2, 0x38000000, v2
.LBB2_3988:                             ;   in Loop: Header=BB2_3706 Depth=3
	s_and_not1_saveexec_b32 s72, s72
; %bb.3989:                             ;   in Loop: Header=BB2_3706 Depth=3
	v_cmp_lt_i16_e64 s13, -1, v9
	s_delay_alu instid0(VALU_DEP_1) | instskip(SKIP_1) | instid1(VALU_DEP_1)
	v_cndmask_b32_e64 v2, 0xff800000, v109, s13
	v_cmp_eq_u32_e64 s13, 0, v8
	v_cndmask_b32_e64 v2, 0x7f800001, v2, s13
; %bb.3990:                             ;   in Loop: Header=BB2_3706 Depth=3
	s_or_b32 exec_lo, exec_lo, s72
.LBB2_3991:                             ;   in Loop: Header=BB2_3706 Depth=3
	s_delay_alu instid0(SALU_CYCLE_1)
	s_or_b32 exec_lo, exec_lo, s43
.LBB2_3992:                             ;   in Loop: Header=BB2_3706 Depth=3
	s_delay_alu instid0(SALU_CYCLE_1) | instskip(SKIP_3) | instid1(VALU_DEP_1)
	s_or_b32 exec_lo, exec_lo, s14
	v_and_b32_e32 v9, 0xff, v10
	s_mov_b32 s43, 0
	s_mov_b32 s14, exec_lo
	v_cmpx_lt_i16_e32 0x7f, v9
	s_xor_b32 s14, exec_lo, s14
	s_cbranch_execz .LBB2_4269
; %bb.3993:                             ;   in Loop: Header=BB2_3706 Depth=3
	s_mov_b32 s43, -1
	s_mov_b32 s72, exec_lo
	v_cmpx_eq_u16_e32 0x80, v9
; %bb.3994:                             ;   in Loop: Header=BB2_3706 Depth=3
	s_xor_b32 s43, exec_lo, -1
; %bb.3995:                             ;   in Loop: Header=BB2_3706 Depth=3
	s_or_b32 exec_lo, exec_lo, s72
	s_delay_alu instid0(SALU_CYCLE_1)
	s_and_b32 s43, s43, exec_lo
                                        ; implicit-def: $vgpr9
	s_or_saveexec_b32 s14, s14
	v_bfrev_b32_e32 v8, 1
	s_xor_b32 exec_lo, exec_lo, s14
	s_cbranch_execnz .LBB2_4270
.LBB2_3996:                             ;   in Loop: Header=BB2_3706 Depth=3
	s_or_b32 exec_lo, exec_lo, s14
	s_and_saveexec_b32 s14, s43
	s_cbranch_execz .LBB2_3998
.LBB2_3997:                             ;   in Loop: Header=BB2_3706 Depth=3
	v_and_b32_e32 v12, 3, v10
	v_bfe_u32 v19, v10, 2, 5
	s_delay_alu instid0(VALU_DEP_2) | instskip(NEXT) | instid1(VALU_DEP_2)
	v_clz_i32_u32_e32 v8, v12
	v_cmp_eq_u32_e64 s13, 0, v19
	s_delay_alu instid0(VALU_DEP_2) | instskip(NEXT) | instid1(VALU_DEP_1)
	v_min_u32_e32 v13, 32, v8
	v_subrev_nc_u32_e32 v8, 29, v13
	s_delay_alu instid0(VALU_DEP_1) | instskip(SKIP_1) | instid1(VALU_DEP_1)
	v_lshlrev_b64_e32 v[8:9], v8, v[10:11]
	v_dual_lshlrev_b32 v9, 24, v10 :: v_dual_sub_nc_u32 v13, 30, v13
	v_and_b32_e32 v9, 0x80000000, v9
	s_delay_alu instid0(VALU_DEP_2) | instskip(SKIP_1) | instid1(VALU_DEP_2)
	v_dual_cndmask_b32 v13, v19, v13, s13 :: v_dual_bitop2_b32 v8, 3, v8 bitop3:0x40
	v_bfe_i32 v19, v10, 0, 8
	v_cndmask_b32_e64 v8, v12, v8, s13
	s_delay_alu instid0(VALU_DEP_3) | instskip(NEXT) | instid1(VALU_DEP_3)
	v_lshl_add_u32 v9, v13, 23, v9
	v_cmp_lt_i16_e64 s13, -1, v19
	s_delay_alu instid0(VALU_DEP_2) | instskip(NEXT) | instid1(VALU_DEP_2)
	v_lshl_or_b32 v8, v8, 21, v9
	v_cndmask_b32_e64 v13, 0xff800000, v109, s13
	v_and_b32_e32 v9, 0x7c, v10
	v_cmp_eq_u32_e64 s13, 0, v12
	s_delay_alu instid0(VALU_DEP_4) | instskip(NEXT) | instid1(VALU_DEP_2)
	v_add_nc_u32_e32 v8, 0x38000000, v8
	v_cndmask_b32_e64 v12, 0x7f800001, v13, s13
	s_delay_alu instid0(VALU_DEP_4) | instskip(NEXT) | instid1(VALU_DEP_1)
	v_cmp_eq_u32_e64 s13, 0x7c, v9
	v_cndmask_b32_e64 v8, v8, v12, s13
.LBB2_3998:                             ;   in Loop: Header=BB2_3706 Depth=3
	s_or_b32 exec_lo, exec_lo, s14
	s_delay_alu instid0(VALU_DEP_1) | instskip(SKIP_1) | instid1(VALU_DEP_1)
	v_dual_mul_f32 v8, v2, v8 :: v_dual_mov_b32 v13, v3
                                        ; implicit-def: $vgpr19
	s_mov_b32 s14, exec_lo
	v_and_b32_e32 v12, 0x7f800000, v8
	v_and_b32_e32 v2, 0x7fffff, v8
	v_lshrrev_b32_e32 v9, 24, v8
	s_delay_alu instid0(VALU_DEP_3)
	v_cmpx_ne_u64_e32 0x7f800000, v[12:13]
	s_xor_b32 s43, exec_lo, s14
	s_cbranch_execz .LBB2_4012
; %bb.3999:                             ;   in Loop: Header=BB2_3706 Depth=3
	v_and_b32_e32 v12, 0x7fffffff, v8
	v_mov_b32_e32 v13, v3
	v_and_b32_e32 v56, 0x80, v9
                                        ; implicit-def: $vgpr19
	s_mov_b32 s14, exec_lo
	s_delay_alu instid0(VALU_DEP_2)
	v_cmpx_gt_u64_e32 0x47600001, v[12:13]
	s_xor_b32 s72, exec_lo, s14
	s_cbranch_execz .LBB2_4009
; %bb.4000:                             ;   in Loop: Header=BB2_3706 Depth=3
	v_mov_b32_e32 v19, 0
	s_mov_b32 s73, exec_lo
	v_cmpx_ne_u32_e32 0, v8
	s_cbranch_execz .LBB2_4008
; %bb.4001:                             ;   in Loop: Header=BB2_3706 Depth=3
	v_bfe_u32 v19, v8, 23, 8
	v_or_b32_e32 v12, 0x800000, v2
	s_delay_alu instid0(VALU_DEP_2) | instskip(SKIP_1) | instid1(VALU_DEP_1)
	v_sub_nc_u32_e32 v8, 0x71, v19
	v_cmp_gt_u32_e64 s13, 0x72, v19
	v_cndmask_b32_e64 v8, 0, v8, s13
	v_cmp_eq_u32_e64 s13, 0, v19
	s_delay_alu instid0(VALU_DEP_1) | instskip(NEXT) | instid1(VALU_DEP_1)
	v_cndmask_b32_e64 v57, v8, 0x70, s13
	v_dual_cndmask_b32 v2, v12, v2, s13 :: v_dual_add_nc_u32 v8, 21, v57
	v_add_nc_u32_e32 v13, 20, v57
	s_delay_alu instid0(VALU_DEP_2) | instskip(NEXT) | instid1(VALU_DEP_2)
	v_lshlrev_b64_e64 v[8:9], v8, -1
	v_lshlrev_b64_e64 v[12:13], v13, 1
	s_delay_alu instid0(VALU_DEP_2) | instskip(NEXT) | instid1(VALU_DEP_3)
	v_bfi_b32 v79, v9, 0, 0
	v_bfi_b32 v78, v8, 0, v2
	v_lshrrev_b64 v[8:9], v57, v[2:3]
	s_delay_alu instid0(VALU_DEP_2) | instskip(NEXT) | instid1(VALU_DEP_2)
	v_cmp_eq_u64_e64 s14, v[78:79], v[12:13]
	v_mov_b64_e32 v[12:13], v[8:9]
	s_and_saveexec_b32 s74, s14
; %bb.4002:                             ;   in Loop: Header=BB2_3706 Depth=3
	v_bfe_u32 v2, v8, 21, 1
	s_delay_alu instid0(VALU_DEP_1) | instskip(NEXT) | instid1(VALU_DEP_1)
	v_add_nc_u64_e32 v[12:13], v[8:9], v[2:3]
	v_add_nc_u64_e32 v[12:13], -1, v[12:13]
; %bb.4003:                             ;   in Loop: Header=BB2_3706 Depth=3
	s_or_b32 exec_lo, exec_lo, s74
	v_add_nc_u32_e32 v2, 0xffffff81, v19
	v_lshrrev_b32_e32 v9, 23, v8
	s_mov_b32 s14, exec_lo
	s_delay_alu instid0(VALU_DEP_2) | instskip(NEXT) | instid1(VALU_DEP_1)
	v_cndmask_b32_e64 v2, v2, 0xffffff82, s13
	v_add3_u32 v13, v57, v2, v9
	v_and_b32_e32 v2, 0x1fffff, v12
                                        ; implicit-def: $vgpr12
	s_delay_alu instid0(VALU_DEP_1) | instskip(NEXT) | instid1(VALU_DEP_1)
	v_dual_add_nc_u32 v19, 14, v13 :: v_dual_add_nc_u32 v2, v2, v8
                                        ; implicit-def: $vgpr8_vgpr9
	v_cmpx_ne_u32_e32 0, v19
	s_xor_b32 s14, exec_lo, s14
; %bb.4004:                             ;   in Loop: Header=BB2_3706 Depth=3
	s_delay_alu instid0(VALU_DEP_2) | instskip(SKIP_1) | instid1(VALU_DEP_1)
	v_cmp_lt_u64_e64 s13, 0xffffff, v[2:3]
	v_add_nc_u32_e32 v8, 15, v13
	v_cndmask_b32_e64 v12, v19, v8, s13
	v_cndmask_b32_e64 v8, 0, 1, s13
	s_delay_alu instid0(VALU_DEP_1)
	v_lshrrev_b64 v[8:9], v8, v[2:3]
; %bb.4005:                             ;   in Loop: Header=BB2_3706 Depth=3
	s_and_not1_saveexec_b32 s13, s14
; %bb.4006:                             ;   in Loop: Header=BB2_3706 Depth=3
	v_mov_b64_e32 v[8:9], v[2:3]
	v_bfe_u32 v12, v2, 23, 1
; %bb.4007:                             ;   in Loop: Header=BB2_3706 Depth=3
	s_or_b32 exec_lo, exec_lo, s13
	s_delay_alu instid0(VALU_DEP_2) | instskip(NEXT) | instid1(VALU_DEP_2)
	v_lshrrev_b64 v[8:9], 21, v[8:9]
	v_cmp_gt_i32_e64 s13, 32, v12
	v_min_i32_e32 v2, 31, v12
	v_cmp_eq_u32_e64 s14, 0, v12
	s_delay_alu instid0(VALU_DEP_2) | instskip(SKIP_1) | instid1(VALU_DEP_2)
	v_dual_cndmask_b32 v9, 0, v9, s13 :: v_dual_lshlrev_b32 v2, 2, v2
	v_cndmask_b32_e64 v8, 3, v8, s13
	v_and_b32_e32 v2, 0xfc, v2
	s_delay_alu instid0(VALU_DEP_2) | instskip(NEXT) | instid1(VALU_DEP_2)
	v_cmp_eq_u64_e64 s13, 0, v[8:9]
	v_and_or_b32 v2, v8, 3, v2
	s_and_b32 s13, s14, s13
	s_delay_alu instid0(VALU_DEP_1) | instid1(SALU_CYCLE_1)
	v_cndmask_b32_e64 v2, v2, 0, s13
	s_delay_alu instid0(VALU_DEP_1)
	v_or_b32_e32 v19, v2, v56
.LBB2_4008:                             ;   in Loop: Header=BB2_3706 Depth=3
	s_or_b32 exec_lo, exec_lo, s73
                                        ; implicit-def: $vgpr56
.LBB2_4009:                             ;   in Loop: Header=BB2_3706 Depth=3
	s_and_not1_saveexec_b32 s13, s72
; %bb.4010:                             ;   in Loop: Header=BB2_3706 Depth=3
	v_or_b32_e32 v19, 0x7b, v56
; %bb.4011:                             ;   in Loop: Header=BB2_3706 Depth=3
	s_or_b32 exec_lo, exec_lo, s13
                                        ; implicit-def: $vgpr8
                                        ; implicit-def: $vgpr9
.LBB2_4012:                             ;   in Loop: Header=BB2_3706 Depth=3
	s_and_not1_saveexec_b32 s14, s43
	s_cbranch_execz .LBB2_4018
; %bb.4013:                             ;   in Loop: Header=BB2_3706 Depth=3
	v_cmp_ne_u64_e64 s13, 0, v[2:3]
                                        ; implicit-def: $vgpr19
	s_and_saveexec_b32 s43, s13
	s_delay_alu instid0(SALU_CYCLE_1)
	s_xor_b32 s13, exec_lo, s43
; %bb.4014:                             ;   in Loop: Header=BB2_3706 Depth=3
	v_or_b32_e32 v19, 0x7f, v9
                                        ; implicit-def: $vgpr8
; %bb.4015:                             ;   in Loop: Header=BB2_3706 Depth=3
	s_and_not1_saveexec_b32 s43, s13
; %bb.4016:                             ;   in Loop: Header=BB2_3706 Depth=3
	v_cmp_lt_i32_e64 s13, -1, v8
	s_delay_alu instid0(VALU_DEP_1)
	v_cndmask_b32_e64 v19, 0xfc, v110, s13
; %bb.4017:                             ;   in Loop: Header=BB2_3706 Depth=3
	s_or_b32 exec_lo, exec_lo, s43
.LBB2_4018:                             ;   in Loop: Header=BB2_3706 Depth=3
	s_delay_alu instid0(SALU_CYCLE_1) | instskip(SKIP_3) | instid1(VALU_DEP_2)
	s_or_b32 exec_lo, exec_lo, s14
	v_lshrrev_b16 v2, 8, v14
	v_mov_b32_e32 v8, 0
	s_mov_b32 s14, exec_lo
	v_cmpx_ne_u16_e32 0, v2
	s_cbranch_execz .LBB2_4028
; %bb.4019:                             ;   in Loop: Header=BB2_3706 Depth=3
	v_bfrev_b32_e32 v8, 1
	s_mov_b32 s43, exec_lo
	v_cmpx_ne_u16_e32 0x80, v2
	s_cbranch_execz .LBB2_4027
; %bb.4020:                             ;   in Loop: Header=BB2_3706 Depth=3
	v_and_b32_e32 v12, 0xffff, v2
	s_delay_alu instid0(VALU_DEP_1) | instskip(SKIP_1) | instid1(VALU_DEP_2)
	v_and_b32_e32 v8, 0x7c, v12
	v_and_b32_e32 v9, 3, v12
	v_cmp_ne_u32_e64 s13, 0x7c, v8
                                        ; implicit-def: $vgpr8
	s_and_saveexec_b32 s72, s13
	s_delay_alu instid0(SALU_CYCLE_1)
	s_xor_b32 s72, exec_lo, s72
	s_cbranch_execz .LBB2_4024
; %bb.4021:                             ;   in Loop: Header=BB2_3706 Depth=3
	v_bfe_u32 v8, v12, 2, 5
	s_mov_b32 s73, exec_lo
	s_delay_alu instid0(VALU_DEP_1)
	v_cmpx_eq_u32_e32 0, v8
; %bb.4022:                             ;   in Loop: Header=BB2_3706 Depth=3
	v_clz_i32_u32_e32 v8, v9
	s_delay_alu instid0(VALU_DEP_1) | instskip(NEXT) | instid1(VALU_DEP_1)
	v_min_u32_e32 v8, 32, v8
	v_subrev_nc_u32_e32 v9, 29, v8
	v_sub_nc_u32_e32 v8, 30, v8
	s_delay_alu instid0(VALU_DEP_2) | instskip(NEXT) | instid1(VALU_DEP_1)
	v_lshlrev_b64_e32 v[12:13], v9, v[2:3]
	v_and_b32_e32 v9, 3, v12
; %bb.4023:                             ;   in Loop: Header=BB2_3706 Depth=3
	s_or_b32 exec_lo, exec_lo, s73
	v_lshlrev_b32_e32 v2, 16, v14
	s_delay_alu instid0(VALU_DEP_1) | instskip(NEXT) | instid1(VALU_DEP_1)
	v_and_b32_e32 v2, 0x80000000, v2
	v_lshl_add_u32 v2, v8, 23, v2
	s_delay_alu instid0(VALU_DEP_1) | instskip(NEXT) | instid1(VALU_DEP_1)
	v_lshl_or_b32 v2, v9, 21, v2
                                        ; implicit-def: $vgpr9
	v_add_nc_u32_e32 v8, 0x38000000, v2
.LBB2_4024:                             ;   in Loop: Header=BB2_3706 Depth=3
	s_and_not1_saveexec_b32 s72, s72
; %bb.4025:                             ;   in Loop: Header=BB2_3706 Depth=3
	v_cmp_lt_i16_e64 s13, -1, v14
	s_delay_alu instid0(VALU_DEP_1) | instskip(SKIP_1) | instid1(VALU_DEP_1)
	v_cndmask_b32_e64 v2, 0xff800000, v109, s13
	v_cmp_eq_u32_e64 s13, 0, v9
	v_cndmask_b32_e64 v8, 0x7f800001, v2, s13
; %bb.4026:                             ;   in Loop: Header=BB2_3706 Depth=3
	s_or_b32 exec_lo, exec_lo, s72
.LBB2_4027:                             ;   in Loop: Header=BB2_3706 Depth=3
	s_delay_alu instid0(SALU_CYCLE_1)
	s_or_b32 exec_lo, exec_lo, s43
.LBB2_4028:                             ;   in Loop: Header=BB2_3706 Depth=3
	s_delay_alu instid0(SALU_CYCLE_1) | instskip(SKIP_3) | instid1(VALU_DEP_1)
	s_or_b32 exec_lo, exec_lo, s14
	v_lshrrev_b16 v2, 8, v10
	s_mov_b32 s43, 0
	s_mov_b32 s14, exec_lo
	v_cmpx_lt_i16_e32 0x7f, v2
	s_xor_b32 s14, exec_lo, s14
	s_cbranch_execz .LBB2_4271
; %bb.4029:                             ;   in Loop: Header=BB2_3706 Depth=3
	s_mov_b32 s43, -1
	s_mov_b32 s72, exec_lo
	v_cmpx_eq_u16_e32 0x80, v2
; %bb.4030:                             ;   in Loop: Header=BB2_3706 Depth=3
	s_xor_b32 s43, exec_lo, -1
; %bb.4031:                             ;   in Loop: Header=BB2_3706 Depth=3
	s_or_b32 exec_lo, exec_lo, s72
	s_delay_alu instid0(SALU_CYCLE_1)
	s_and_b32 s43, s43, exec_lo
	s_or_saveexec_b32 s14, s14
	v_bfrev_b32_e32 v9, 1
	s_xor_b32 exec_lo, exec_lo, s14
	s_cbranch_execnz .LBB2_4272
.LBB2_4032:                             ;   in Loop: Header=BB2_3706 Depth=3
	s_or_b32 exec_lo, exec_lo, s14
	s_and_saveexec_b32 s14, s43
	s_cbranch_execz .LBB2_4034
.LBB2_4033:                             ;   in Loop: Header=BB2_3706 Depth=3
	v_and_b32_e32 v9, 0xffff, v2
	s_delay_alu instid0(VALU_DEP_1) | instskip(NEXT) | instid1(VALU_DEP_1)
	v_and_b32_e32 v20, 3, v9
	v_clz_i32_u32_e32 v12, v20
	s_delay_alu instid0(VALU_DEP_1) | instskip(NEXT) | instid1(VALU_DEP_1)
	v_min_u32_e32 v21, 32, v12
	v_subrev_nc_u32_e32 v12, 29, v21
	s_delay_alu instid0(VALU_DEP_1) | instskip(SKIP_3) | instid1(VALU_DEP_3)
	v_lshlrev_b64_e32 v[12:13], v12, v[2:3]
	v_bfe_u32 v13, v9, 2, 5
	v_dual_lshlrev_b32 v2, 24, v2 :: v_dual_sub_nc_u32 v21, 30, v21
	v_and_b32_e32 v9, 0x7c, v9
	v_cmp_eq_u32_e64 s13, 0, v13
	s_delay_alu instid0(VALU_DEP_3) | instskip(NEXT) | instid1(VALU_DEP_2)
	v_and_b32_e32 v2, 0x80000000, v2
	v_dual_cndmask_b32 v13, v13, v21, s13 :: v_dual_bitop2_b32 v12, 3, v12 bitop3:0x40
	s_delay_alu instid0(VALU_DEP_1) | instskip(SKIP_1) | instid1(VALU_DEP_3)
	v_cndmask_b32_e64 v12, v20, v12, s13
	v_cmp_lt_i16_e64 s13, -1, v10
	v_lshl_add_u32 v2, v13, 23, v2
	s_delay_alu instid0(VALU_DEP_2) | instskip(SKIP_1) | instid1(VALU_DEP_3)
	v_cndmask_b32_e64 v13, 0xff800000, v109, s13
	v_cmp_eq_u32_e64 s13, 0, v20
	v_lshl_or_b32 v2, v12, 21, v2
	s_delay_alu instid0(VALU_DEP_2) | instskip(NEXT) | instid1(VALU_DEP_2)
	v_cndmask_b32_e64 v12, 0x7f800001, v13, s13
	v_add_nc_u32_e32 v2, 0x38000000, v2
	v_cmp_eq_u32_e64 s13, 0x7c, v9
	s_delay_alu instid0(VALU_DEP_1)
	v_cndmask_b32_e64 v9, v2, v12, s13
.LBB2_4034:                             ;   in Loop: Header=BB2_3706 Depth=3
	s_or_b32 exec_lo, exec_lo, s14
	s_delay_alu instid0(VALU_DEP_1) | instskip(SKIP_1) | instid1(VALU_DEP_1)
	v_dual_mul_f32 v8, v8, v9 :: v_dual_mov_b32 v13, v3
                                        ; implicit-def: $vgpr59
	s_mov_b32 s14, exec_lo
	v_and_b32_e32 v12, 0x7f800000, v8
	v_and_b32_e32 v2, 0x7fffff, v8
	v_lshrrev_b32_e32 v9, 24, v8
	s_delay_alu instid0(VALU_DEP_3)
	v_cmpx_ne_u64_e32 0x7f800000, v[12:13]
	s_xor_b32 s43, exec_lo, s14
	s_cbranch_execz .LBB2_4048
; %bb.4035:                             ;   in Loop: Header=BB2_3706 Depth=3
	v_and_b32_e32 v12, 0x7fffffff, v8
	v_mov_b32_e32 v13, v3
	v_and_b32_e32 v56, 0x80, v9
                                        ; implicit-def: $vgpr59
	s_mov_b32 s14, exec_lo
	s_delay_alu instid0(VALU_DEP_2)
	v_cmpx_gt_u64_e32 0x47600001, v[12:13]
	s_xor_b32 s72, exec_lo, s14
	s_cbranch_execz .LBB2_4045
; %bb.4036:                             ;   in Loop: Header=BB2_3706 Depth=3
	v_mov_b32_e32 v59, 0
	s_mov_b32 s73, exec_lo
	v_cmpx_ne_u32_e32 0, v8
	s_cbranch_execz .LBB2_4044
; %bb.4037:                             ;   in Loop: Header=BB2_3706 Depth=3
	v_bfe_u32 v57, v8, 23, 8
	v_or_b32_e32 v12, 0x800000, v2
	s_delay_alu instid0(VALU_DEP_2) | instskip(SKIP_1) | instid1(VALU_DEP_1)
	v_sub_nc_u32_e32 v8, 0x71, v57
	v_cmp_gt_u32_e64 s13, 0x72, v57
	v_cndmask_b32_e64 v8, 0, v8, s13
	v_cmp_eq_u32_e64 s13, 0, v57
	s_delay_alu instid0(VALU_DEP_1) | instskip(NEXT) | instid1(VALU_DEP_1)
	v_cndmask_b32_e64 v59, v8, 0x70, s13
	v_dual_cndmask_b32 v2, v12, v2, s13 :: v_dual_add_nc_u32 v8, 21, v59
	v_add_nc_u32_e32 v13, 20, v59
	s_delay_alu instid0(VALU_DEP_2) | instskip(NEXT) | instid1(VALU_DEP_2)
	v_lshlrev_b64_e64 v[8:9], v8, -1
	v_lshlrev_b64_e64 v[12:13], v13, 1
	s_delay_alu instid0(VALU_DEP_2) | instskip(NEXT) | instid1(VALU_DEP_3)
	v_bfi_b32 v79, v9, 0, 0
	v_bfi_b32 v78, v8, 0, v2
	v_lshrrev_b64 v[8:9], v59, v[2:3]
	s_delay_alu instid0(VALU_DEP_2) | instskip(NEXT) | instid1(VALU_DEP_2)
	v_cmp_eq_u64_e64 s14, v[78:79], v[12:13]
	v_mov_b64_e32 v[12:13], v[8:9]
	s_and_saveexec_b32 s74, s14
; %bb.4038:                             ;   in Loop: Header=BB2_3706 Depth=3
	v_bfe_u32 v2, v8, 21, 1
	s_delay_alu instid0(VALU_DEP_1) | instskip(NEXT) | instid1(VALU_DEP_1)
	v_add_nc_u64_e32 v[12:13], v[8:9], v[2:3]
	v_add_nc_u64_e32 v[12:13], -1, v[12:13]
; %bb.4039:                             ;   in Loop: Header=BB2_3706 Depth=3
	s_or_b32 exec_lo, exec_lo, s74
	v_add_nc_u32_e32 v2, 0xffffff81, v57
	v_lshrrev_b32_e32 v9, 23, v8
	s_mov_b32 s14, exec_lo
	s_delay_alu instid0(VALU_DEP_2) | instskip(NEXT) | instid1(VALU_DEP_1)
	v_cndmask_b32_e64 v2, v2, 0xffffff82, s13
	v_add3_u32 v13, v59, v2, v9
	v_and_b32_e32 v2, 0x1fffff, v12
                                        ; implicit-def: $vgpr12
	s_delay_alu instid0(VALU_DEP_1) | instskip(NEXT) | instid1(VALU_DEP_1)
	v_dual_add_nc_u32 v57, 14, v13 :: v_dual_add_nc_u32 v2, v2, v8
                                        ; implicit-def: $vgpr8_vgpr9
	v_cmpx_ne_u32_e32 0, v57
	s_xor_b32 s14, exec_lo, s14
; %bb.4040:                             ;   in Loop: Header=BB2_3706 Depth=3
	s_delay_alu instid0(VALU_DEP_2) | instskip(SKIP_1) | instid1(VALU_DEP_1)
	v_cmp_lt_u64_e64 s13, 0xffffff, v[2:3]
	v_add_nc_u32_e32 v8, 15, v13
	v_cndmask_b32_e64 v12, v57, v8, s13
	v_cndmask_b32_e64 v8, 0, 1, s13
	s_delay_alu instid0(VALU_DEP_1)
	v_lshrrev_b64 v[8:9], v8, v[2:3]
; %bb.4041:                             ;   in Loop: Header=BB2_3706 Depth=3
	s_and_not1_saveexec_b32 s13, s14
; %bb.4042:                             ;   in Loop: Header=BB2_3706 Depth=3
	v_mov_b64_e32 v[8:9], v[2:3]
	v_bfe_u32 v12, v2, 23, 1
; %bb.4043:                             ;   in Loop: Header=BB2_3706 Depth=3
	s_or_b32 exec_lo, exec_lo, s13
	s_delay_alu instid0(VALU_DEP_2) | instskip(NEXT) | instid1(VALU_DEP_2)
	v_lshrrev_b64 v[8:9], 21, v[8:9]
	v_cmp_gt_i32_e64 s13, 32, v12
	v_min_i32_e32 v2, 31, v12
	v_cmp_eq_u32_e64 s14, 0, v12
	s_delay_alu instid0(VALU_DEP_2) | instskip(SKIP_1) | instid1(VALU_DEP_2)
	v_dual_cndmask_b32 v9, 0, v9, s13 :: v_dual_lshlrev_b32 v2, 2, v2
	v_cndmask_b32_e64 v8, 3, v8, s13
	v_and_b32_e32 v2, 0xfc, v2
	s_delay_alu instid0(VALU_DEP_2) | instskip(NEXT) | instid1(VALU_DEP_2)
	v_cmp_eq_u64_e64 s13, 0, v[8:9]
	v_and_or_b32 v2, v8, 3, v2
	s_and_b32 s13, s14, s13
	s_delay_alu instid0(VALU_DEP_1) | instid1(SALU_CYCLE_1)
	v_cndmask_b32_e64 v2, v2, 0, s13
	s_delay_alu instid0(VALU_DEP_1)
	v_or_b32_e32 v59, v2, v56
.LBB2_4044:                             ;   in Loop: Header=BB2_3706 Depth=3
	s_or_b32 exec_lo, exec_lo, s73
                                        ; implicit-def: $vgpr56
.LBB2_4045:                             ;   in Loop: Header=BB2_3706 Depth=3
	s_and_not1_saveexec_b32 s13, s72
; %bb.4046:                             ;   in Loop: Header=BB2_3706 Depth=3
	v_or_b32_e32 v59, 0x7b, v56
; %bb.4047:                             ;   in Loop: Header=BB2_3706 Depth=3
	s_or_b32 exec_lo, exec_lo, s13
                                        ; implicit-def: $vgpr8
                                        ; implicit-def: $vgpr9
.LBB2_4048:                             ;   in Loop: Header=BB2_3706 Depth=3
	s_and_not1_saveexec_b32 s14, s43
	s_cbranch_execz .LBB2_4054
; %bb.4049:                             ;   in Loop: Header=BB2_3706 Depth=3
	v_cmp_ne_u64_e64 s13, 0, v[2:3]
                                        ; implicit-def: $vgpr59
	s_and_saveexec_b32 s43, s13
	s_delay_alu instid0(SALU_CYCLE_1)
	s_xor_b32 s13, exec_lo, s43
; %bb.4050:                             ;   in Loop: Header=BB2_3706 Depth=3
	v_or_b32_e32 v59, 0x7f, v9
                                        ; implicit-def: $vgpr8
; %bb.4051:                             ;   in Loop: Header=BB2_3706 Depth=3
	s_and_not1_saveexec_b32 s43, s13
; %bb.4052:                             ;   in Loop: Header=BB2_3706 Depth=3
	v_cmp_lt_i32_e64 s13, -1, v8
	s_delay_alu instid0(VALU_DEP_1)
	v_cndmask_b32_e64 v59, 0xfc, v110, s13
; %bb.4053:                             ;   in Loop: Header=BB2_3706 Depth=3
	s_or_b32 exec_lo, exec_lo, s43
.LBB2_4054:                             ;   in Loop: Header=BB2_3706 Depth=3
	s_delay_alu instid0(SALU_CYCLE_1) | instskip(SKIP_2) | instid1(VALU_DEP_1)
	s_or_b32 exec_lo, exec_lo, s14
	v_dual_lshrrev_b32 v2, 16, v14 :: v_dual_mov_b32 v8, 0
	s_mov_b32 s14, exec_lo
	v_and_b32_e32 v9, 0xff, v2
	s_delay_alu instid0(VALU_DEP_1)
	v_cmpx_ne_u16_e32 0, v9
	s_cbranch_execz .LBB2_4064
; %bb.4055:                             ;   in Loop: Header=BB2_3706 Depth=3
	v_bfrev_b32_e32 v8, 1
	s_mov_b32 s43, exec_lo
	v_cmpx_ne_u16_e32 0x80, v9
	s_cbranch_execz .LBB2_4063
; %bb.4056:                             ;   in Loop: Header=BB2_3706 Depth=3
	v_and_b32_e32 v8, 0x7c0000, v14
	v_bfe_u32 v9, v14, 16, 2
	s_delay_alu instid0(VALU_DEP_2) | instskip(SKIP_1) | instid1(SALU_CYCLE_1)
	v_cmp_ne_u32_e64 s13, 0x7c0000, v8
                                        ; implicit-def: $vgpr8
	s_and_saveexec_b32 s72, s13
	s_xor_b32 s72, exec_lo, s72
	s_cbranch_execz .LBB2_4060
; %bb.4057:                             ;   in Loop: Header=BB2_3706 Depth=3
	v_bfe_u32 v8, v14, 18, 5
	s_mov_b32 s73, exec_lo
	s_delay_alu instid0(VALU_DEP_1)
	v_cmpx_eq_u32_e32 0, v8
; %bb.4058:                             ;   in Loop: Header=BB2_3706 Depth=3
	v_clz_i32_u32_e32 v8, v9
	s_delay_alu instid0(VALU_DEP_1) | instskip(NEXT) | instid1(VALU_DEP_1)
	v_min_u32_e32 v8, 32, v8
	v_subrev_nc_u32_e32 v9, 29, v8
	v_sub_nc_u32_e32 v8, 30, v8
	s_delay_alu instid0(VALU_DEP_2) | instskip(NEXT) | instid1(VALU_DEP_1)
	v_lshlrev_b64_e32 v[12:13], v9, v[2:3]
	v_and_b32_e32 v9, 3, v12
; %bb.4059:                             ;   in Loop: Header=BB2_3706 Depth=3
	s_or_b32 exec_lo, exec_lo, s73
	v_lshlrev_b32_e32 v2, 24, v2
	s_delay_alu instid0(VALU_DEP_1) | instskip(NEXT) | instid1(VALU_DEP_1)
	v_and_b32_e32 v2, 0x80000000, v2
	v_lshl_add_u32 v2, v8, 23, v2
	s_delay_alu instid0(VALU_DEP_1) | instskip(NEXT) | instid1(VALU_DEP_1)
	v_lshl_or_b32 v2, v9, 21, v2
                                        ; implicit-def: $vgpr9
	v_add_nc_u32_e32 v8, 0x38000000, v2
                                        ; implicit-def: $vgpr2
.LBB2_4060:                             ;   in Loop: Header=BB2_3706 Depth=3
	s_and_not1_saveexec_b32 s72, s72
; %bb.4061:                             ;   in Loop: Header=BB2_3706 Depth=3
	v_bfe_i32 v2, v2, 0, 8
	s_delay_alu instid0(VALU_DEP_1) | instskip(NEXT) | instid1(VALU_DEP_1)
	v_cmp_lt_i16_e64 s13, -1, v2
	v_cndmask_b32_e64 v2, 0xff800000, v109, s13
	v_cmp_eq_u32_e64 s13, 0, v9
	s_delay_alu instid0(VALU_DEP_1)
	v_cndmask_b32_e64 v8, 0x7f800001, v2, s13
; %bb.4062:                             ;   in Loop: Header=BB2_3706 Depth=3
	s_or_b32 exec_lo, exec_lo, s72
.LBB2_4063:                             ;   in Loop: Header=BB2_3706 Depth=3
	s_delay_alu instid0(SALU_CYCLE_1)
	s_or_b32 exec_lo, exec_lo, s43
.LBB2_4064:                             ;   in Loop: Header=BB2_3706 Depth=3
	s_delay_alu instid0(SALU_CYCLE_1) | instskip(SKIP_3) | instid1(VALU_DEP_1)
	s_or_b32 exec_lo, exec_lo, s14
	v_lshrrev_b32_e32 v2, 16, v10
	s_mov_b32 s43, 0
	s_mov_b32 s14, exec_lo
	v_and_b32_e32 v12, 0xff, v2
	s_delay_alu instid0(VALU_DEP_1)
	v_cmpx_lt_i16_e32 0x7f, v12
	s_xor_b32 s14, exec_lo, s14
	s_cbranch_execz .LBB2_4273
; %bb.4065:                             ;   in Loop: Header=BB2_3706 Depth=3
	s_mov_b32 s43, -1
	s_mov_b32 s72, exec_lo
	v_cmpx_eq_u16_e32 0x80, v12
; %bb.4066:                             ;   in Loop: Header=BB2_3706 Depth=3
	s_xor_b32 s43, exec_lo, -1
; %bb.4067:                             ;   in Loop: Header=BB2_3706 Depth=3
	s_or_b32 exec_lo, exec_lo, s72
	s_delay_alu instid0(SALU_CYCLE_1)
	s_and_b32 s43, s43, exec_lo
                                        ; implicit-def: $vgpr12
	s_or_saveexec_b32 s14, s14
	v_bfrev_b32_e32 v9, 1
	s_xor_b32 exec_lo, exec_lo, s14
	s_cbranch_execnz .LBB2_4274
.LBB2_4068:                             ;   in Loop: Header=BB2_3706 Depth=3
	s_or_b32 exec_lo, exec_lo, s14
	s_and_saveexec_b32 s14, s43
	s_cbranch_execz .LBB2_4070
.LBB2_4069:                             ;   in Loop: Header=BB2_3706 Depth=3
	v_and_b32_e32 v9, 3, v2
	v_bfe_u32 v21, v10, 18, 5
	s_delay_alu instid0(VALU_DEP_2) | instskip(NEXT) | instid1(VALU_DEP_2)
	v_clz_i32_u32_e32 v12, v9
	v_cmp_eq_u32_e64 s13, 0, v21
	s_delay_alu instid0(VALU_DEP_2) | instskip(NEXT) | instid1(VALU_DEP_1)
	v_min_u32_e32 v20, 32, v12
	v_subrev_nc_u32_e32 v12, 29, v20
	v_sub_nc_u32_e32 v20, 30, v20
	s_delay_alu instid0(VALU_DEP_2) | instskip(NEXT) | instid1(VALU_DEP_2)
	v_lshlrev_b64_e32 v[12:13], v12, v[2:3]
	v_dual_lshlrev_b32 v13, 24, v2 :: v_dual_cndmask_b32 v20, v21, v20, s13
	v_bfe_i32 v2, v2, 0, 8
	s_delay_alu instid0(VALU_DEP_2) | instskip(NEXT) | instid1(VALU_DEP_4)
	v_and_b32_e32 v13, 0x80000000, v13
	v_and_b32_e32 v12, 3, v12
	s_delay_alu instid0(VALU_DEP_2) | instskip(NEXT) | instid1(VALU_DEP_2)
	v_lshl_add_u32 v13, v20, 23, v13
	v_cndmask_b32_e64 v12, v9, v12, s13
	v_cmp_lt_i16_e64 s13, -1, v2
	s_delay_alu instid0(VALU_DEP_2) | instskip(NEXT) | instid1(VALU_DEP_2)
	v_lshl_or_b32 v12, v12, 21, v13
	v_cndmask_b32_e64 v2, 0xff800000, v109, s13
	v_and_b32_e32 v13, 0x7c0000, v10
	v_cmp_eq_u32_e64 s13, 0, v9
	s_delay_alu instid0(VALU_DEP_4) | instskip(NEXT) | instid1(VALU_DEP_2)
	v_add_nc_u32_e32 v9, 0x38000000, v12
	v_cndmask_b32_e64 v2, 0x7f800001, v2, s13
	s_delay_alu instid0(VALU_DEP_4) | instskip(NEXT) | instid1(VALU_DEP_1)
	v_cmp_eq_u32_e64 s13, 0x7c0000, v13
	v_cndmask_b32_e64 v9, v9, v2, s13
.LBB2_4070:                             ;   in Loop: Header=BB2_3706 Depth=3
	s_or_b32 exec_lo, exec_lo, s14
	s_delay_alu instid0(VALU_DEP_1) | instskip(SKIP_1) | instid1(VALU_DEP_1)
	v_dual_mul_f32 v8, v8, v9 :: v_dual_mov_b32 v13, v3
                                        ; implicit-def: $vgpr77
	s_mov_b32 s14, exec_lo
	v_and_b32_e32 v12, 0x7f800000, v8
	v_and_b32_e32 v2, 0x7fffff, v8
	v_lshrrev_b32_e32 v9, 24, v8
	s_delay_alu instid0(VALU_DEP_3)
	v_cmpx_ne_u64_e32 0x7f800000, v[12:13]
	s_xor_b32 s43, exec_lo, s14
	s_cbranch_execz .LBB2_4084
; %bb.4071:                             ;   in Loop: Header=BB2_3706 Depth=3
	v_and_b32_e32 v12, 0x7fffffff, v8
	v_mov_b32_e32 v13, v3
	v_and_b32_e32 v56, 0x80, v9
                                        ; implicit-def: $vgpr77
	s_mov_b32 s14, exec_lo
	s_delay_alu instid0(VALU_DEP_2)
	v_cmpx_gt_u64_e32 0x47600001, v[12:13]
	s_xor_b32 s72, exec_lo, s14
	s_cbranch_execz .LBB2_4081
; %bb.4072:                             ;   in Loop: Header=BB2_3706 Depth=3
	v_mov_b32_e32 v77, 0
	s_mov_b32 s73, exec_lo
	v_cmpx_ne_u32_e32 0, v8
	s_cbranch_execz .LBB2_4080
; %bb.4073:                             ;   in Loop: Header=BB2_3706 Depth=3
	v_bfe_u32 v57, v8, 23, 8
	v_or_b32_e32 v12, 0x800000, v2
	s_delay_alu instid0(VALU_DEP_2) | instskip(SKIP_1) | instid1(VALU_DEP_1)
	v_sub_nc_u32_e32 v8, 0x71, v57
	v_cmp_gt_u32_e64 s13, 0x72, v57
	v_cndmask_b32_e64 v8, 0, v8, s13
	v_cmp_eq_u32_e64 s13, 0, v57
	s_delay_alu instid0(VALU_DEP_1) | instskip(NEXT) | instid1(VALU_DEP_1)
	v_cndmask_b32_e64 v77, v8, 0x70, s13
	v_dual_cndmask_b32 v2, v12, v2, s13 :: v_dual_add_nc_u32 v8, 21, v77
	v_add_nc_u32_e32 v13, 20, v77
	s_delay_alu instid0(VALU_DEP_2) | instskip(NEXT) | instid1(VALU_DEP_2)
	v_lshlrev_b64_e64 v[8:9], v8, -1
	v_lshlrev_b64_e64 v[12:13], v13, 1
	s_delay_alu instid0(VALU_DEP_2) | instskip(NEXT) | instid1(VALU_DEP_3)
	v_bfi_b32 v79, v9, 0, 0
	v_bfi_b32 v78, v8, 0, v2
	v_lshrrev_b64 v[8:9], v77, v[2:3]
	s_delay_alu instid0(VALU_DEP_2) | instskip(NEXT) | instid1(VALU_DEP_2)
	v_cmp_eq_u64_e64 s14, v[78:79], v[12:13]
	v_mov_b64_e32 v[12:13], v[8:9]
	s_and_saveexec_b32 s74, s14
; %bb.4074:                             ;   in Loop: Header=BB2_3706 Depth=3
	v_bfe_u32 v2, v8, 21, 1
	s_delay_alu instid0(VALU_DEP_1) | instskip(NEXT) | instid1(VALU_DEP_1)
	v_add_nc_u64_e32 v[12:13], v[8:9], v[2:3]
	v_add_nc_u64_e32 v[12:13], -1, v[12:13]
; %bb.4075:                             ;   in Loop: Header=BB2_3706 Depth=3
	s_or_b32 exec_lo, exec_lo, s74
	v_add_nc_u32_e32 v2, 0xffffff81, v57
	v_lshrrev_b32_e32 v9, 23, v8
	s_mov_b32 s14, exec_lo
	s_delay_alu instid0(VALU_DEP_2) | instskip(NEXT) | instid1(VALU_DEP_1)
	v_cndmask_b32_e64 v2, v2, 0xffffff82, s13
	v_add3_u32 v13, v77, v2, v9
	v_and_b32_e32 v2, 0x1fffff, v12
                                        ; implicit-def: $vgpr12
	s_delay_alu instid0(VALU_DEP_1) | instskip(NEXT) | instid1(VALU_DEP_1)
	v_dual_add_nc_u32 v57, 14, v13 :: v_dual_add_nc_u32 v2, v2, v8
                                        ; implicit-def: $vgpr8_vgpr9
	v_cmpx_ne_u32_e32 0, v57
	s_xor_b32 s14, exec_lo, s14
; %bb.4076:                             ;   in Loop: Header=BB2_3706 Depth=3
	s_delay_alu instid0(VALU_DEP_2) | instskip(SKIP_1) | instid1(VALU_DEP_1)
	v_cmp_lt_u64_e64 s13, 0xffffff, v[2:3]
	v_add_nc_u32_e32 v8, 15, v13
	v_cndmask_b32_e64 v12, v57, v8, s13
	v_cndmask_b32_e64 v8, 0, 1, s13
	s_delay_alu instid0(VALU_DEP_1)
	v_lshrrev_b64 v[8:9], v8, v[2:3]
; %bb.4077:                             ;   in Loop: Header=BB2_3706 Depth=3
	s_and_not1_saveexec_b32 s13, s14
; %bb.4078:                             ;   in Loop: Header=BB2_3706 Depth=3
	v_mov_b64_e32 v[8:9], v[2:3]
	v_bfe_u32 v12, v2, 23, 1
; %bb.4079:                             ;   in Loop: Header=BB2_3706 Depth=3
	s_or_b32 exec_lo, exec_lo, s13
	s_delay_alu instid0(VALU_DEP_2) | instskip(NEXT) | instid1(VALU_DEP_2)
	v_lshrrev_b64 v[8:9], 21, v[8:9]
	v_cmp_gt_i32_e64 s13, 32, v12
	v_min_i32_e32 v2, 31, v12
	v_cmp_eq_u32_e64 s14, 0, v12
	s_delay_alu instid0(VALU_DEP_2) | instskip(SKIP_1) | instid1(VALU_DEP_2)
	v_dual_cndmask_b32 v9, 0, v9, s13 :: v_dual_lshlrev_b32 v2, 2, v2
	v_cndmask_b32_e64 v8, 3, v8, s13
	v_and_b32_e32 v2, 0xfc, v2
	s_delay_alu instid0(VALU_DEP_2) | instskip(NEXT) | instid1(VALU_DEP_2)
	v_cmp_eq_u64_e64 s13, 0, v[8:9]
	v_and_or_b32 v2, v8, 3, v2
	s_and_b32 s13, s14, s13
	s_delay_alu instid0(VALU_DEP_1) | instid1(SALU_CYCLE_1)
	v_cndmask_b32_e64 v2, v2, 0, s13
	s_delay_alu instid0(VALU_DEP_1)
	v_or_b32_e32 v77, v2, v56
.LBB2_4080:                             ;   in Loop: Header=BB2_3706 Depth=3
	s_or_b32 exec_lo, exec_lo, s73
                                        ; implicit-def: $vgpr56
.LBB2_4081:                             ;   in Loop: Header=BB2_3706 Depth=3
	s_and_not1_saveexec_b32 s13, s72
; %bb.4082:                             ;   in Loop: Header=BB2_3706 Depth=3
	v_or_b32_e32 v77, 0x7b, v56
; %bb.4083:                             ;   in Loop: Header=BB2_3706 Depth=3
	s_or_b32 exec_lo, exec_lo, s13
                                        ; implicit-def: $vgpr8
                                        ; implicit-def: $vgpr9
.LBB2_4084:                             ;   in Loop: Header=BB2_3706 Depth=3
	s_and_not1_saveexec_b32 s14, s43
	s_cbranch_execz .LBB2_4090
; %bb.4085:                             ;   in Loop: Header=BB2_3706 Depth=3
	v_cmp_ne_u64_e64 s13, 0, v[2:3]
                                        ; implicit-def: $vgpr77
	s_and_saveexec_b32 s43, s13
	s_delay_alu instid0(SALU_CYCLE_1)
	s_xor_b32 s13, exec_lo, s43
; %bb.4086:                             ;   in Loop: Header=BB2_3706 Depth=3
	v_or_b32_e32 v77, 0x7f, v9
                                        ; implicit-def: $vgpr8
; %bb.4087:                             ;   in Loop: Header=BB2_3706 Depth=3
	s_and_not1_saveexec_b32 s43, s13
; %bb.4088:                             ;   in Loop: Header=BB2_3706 Depth=3
	v_cmp_lt_i32_e64 s13, -1, v8
	s_delay_alu instid0(VALU_DEP_1)
	v_cndmask_b32_e64 v77, 0xfc, v110, s13
; %bb.4089:                             ;   in Loop: Header=BB2_3706 Depth=3
	s_or_b32 exec_lo, exec_lo, s43
.LBB2_4090:                             ;   in Loop: Header=BB2_3706 Depth=3
	s_delay_alu instid0(SALU_CYCLE_1)
	s_or_b32 exec_lo, exec_lo, s14
	v_mov_b32_e32 v8, 0
	s_mov_b32 s14, exec_lo
	v_cmpx_lt_u32_e32 0xffffff, v14
	s_cbranch_execz .LBB2_4100
; %bb.4091:                             ;   in Loop: Header=BB2_3706 Depth=3
	v_lshrrev_b32_e32 v2, 24, v14
	v_bfrev_b32_e32 v8, 1
	s_mov_b32 s43, exec_lo
	s_delay_alu instid0(VALU_DEP_2)
	v_cmpx_ne_u32_e32 0x80, v2
	s_cbranch_execz .LBB2_4099
; %bb.4092:                             ;   in Loop: Header=BB2_3706 Depth=3
	v_and_b32_e32 v8, 0x7c000000, v14
	v_bfe_u32 v9, v14, 24, 2
	s_delay_alu instid0(VALU_DEP_2) | instskip(SKIP_1) | instid1(SALU_CYCLE_1)
	v_cmp_ne_u32_e64 s13, 0x7c000000, v8
                                        ; implicit-def: $vgpr8
	s_and_saveexec_b32 s72, s13
	s_xor_b32 s72, exec_lo, s72
	s_cbranch_execz .LBB2_4096
; %bb.4093:                             ;   in Loop: Header=BB2_3706 Depth=3
	v_bfe_u32 v8, v14, 26, 5
	s_mov_b32 s73, exec_lo
	s_delay_alu instid0(VALU_DEP_1)
	v_cmpx_eq_u32_e32 0, v8
; %bb.4094:                             ;   in Loop: Header=BB2_3706 Depth=3
	v_clz_i32_u32_e32 v8, v9
	s_delay_alu instid0(VALU_DEP_1) | instskip(NEXT) | instid1(VALU_DEP_1)
	v_min_u32_e32 v8, 32, v8
	v_subrev_nc_u32_e32 v9, 29, v8
	v_sub_nc_u32_e32 v8, 30, v8
	s_delay_alu instid0(VALU_DEP_2) | instskip(NEXT) | instid1(VALU_DEP_1)
	v_lshlrev_b64_e32 v[12:13], v9, v[2:3]
	v_and_b32_e32 v9, 3, v12
; %bb.4095:                             ;   in Loop: Header=BB2_3706 Depth=3
	s_or_b32 exec_lo, exec_lo, s73
	v_and_b32_e32 v2, 0x80000000, v14
	s_delay_alu instid0(VALU_DEP_1) | instskip(NEXT) | instid1(VALU_DEP_1)
	v_lshl_add_u32 v2, v8, 23, v2
	v_lshl_or_b32 v2, v9, 21, v2
                                        ; implicit-def: $vgpr9
	s_delay_alu instid0(VALU_DEP_1)
	v_add_nc_u32_e32 v8, 0x38000000, v2
.LBB2_4096:                             ;   in Loop: Header=BB2_3706 Depth=3
	s_and_not1_saveexec_b32 s72, s72
; %bb.4097:                             ;   in Loop: Header=BB2_3706 Depth=3
	v_cmp_lt_i32_e64 s13, -1, v14
	s_delay_alu instid0(VALU_DEP_1) | instskip(SKIP_1) | instid1(VALU_DEP_1)
	v_cndmask_b32_e64 v2, 0xff800000, v109, s13
	v_cmp_eq_u32_e64 s13, 0, v9
	v_cndmask_b32_e64 v8, 0x7f800001, v2, s13
; %bb.4098:                             ;   in Loop: Header=BB2_3706 Depth=3
	s_or_b32 exec_lo, exec_lo, s72
.LBB2_4099:                             ;   in Loop: Header=BB2_3706 Depth=3
	s_delay_alu instid0(SALU_CYCLE_1)
	s_or_b32 exec_lo, exec_lo, s43
.LBB2_4100:                             ;   in Loop: Header=BB2_3706 Depth=3
	s_delay_alu instid0(SALU_CYCLE_1) | instskip(SKIP_3) | instid1(VALU_DEP_2)
	s_or_b32 exec_lo, exec_lo, s14
	v_bfe_u32 v9, v10, 24, 2
	v_bfe_u32 v21, v10, 26, 5
                                        ; implicit-def: $vgpr78
	s_mov_b32 s14, exec_lo
	v_clz_i32_u32_e32 v2, v9
	s_delay_alu instid0(VALU_DEP_2) | instskip(NEXT) | instid1(VALU_DEP_2)
	v_cmp_eq_u32_e64 s13, 0, v21
	v_min_u32_e32 v20, 32, v2
	v_lshrrev_b32_e32 v2, 24, v10
	s_delay_alu instid0(VALU_DEP_2) | instskip(NEXT) | instid1(VALU_DEP_1)
	v_subrev_nc_u32_e32 v12, 29, v20
	v_lshlrev_b64_e32 v[12:13], v12, v[2:3]
	v_sub_nc_u32_e32 v13, 30, v20
	v_and_b32_e32 v20, 0x80000000, v10
	s_delay_alu instid0(VALU_DEP_2) | instskip(NEXT) | instid1(VALU_DEP_1)
	v_dual_cndmask_b32 v13, v21, v13, s13 :: v_dual_bitop2_b32 v12, 3, v12 bitop3:0x40
	v_lshl_add_u32 v13, v13, 23, v20
	s_delay_alu instid0(VALU_DEP_2) | instskip(SKIP_1) | instid1(VALU_DEP_2)
	v_cndmask_b32_e64 v12, v9, v12, s13
	v_cmp_lt_i32_e64 s13, -1, v10
	v_lshl_or_b32 v12, v12, 21, v13
	s_delay_alu instid0(VALU_DEP_2) | instskip(SKIP_2) | instid1(VALU_DEP_4)
	v_cndmask_b32_e64 v20, 0xff800000, v109, s13
	v_and_b32_e32 v13, 0x7c000000, v10
	v_cmp_eq_u32_e64 s13, 0, v9
	v_add_nc_u32_e32 v12, 0x38000000, v12
	s_delay_alu instid0(VALU_DEP_2) | instskip(NEXT) | instid1(VALU_DEP_4)
	v_cndmask_b32_e64 v9, 0x7f800001, v20, s13
	v_cmp_eq_u32_e64 s13, 0x7c000000, v13
	s_delay_alu instid0(VALU_DEP_1) | instskip(SKIP_1) | instid1(VALU_DEP_1)
	v_dual_mov_b32 v13, v3 :: v_dual_cndmask_b32 v9, v12, v9, s13
	v_cmp_ne_u32_e64 s13, 0x80, v2
	v_cndmask_b32_e64 v2, 0x80000000, v9, s13
	v_cmp_lt_u32_e64 s13, 0xffffff, v10
	s_delay_alu instid0(VALU_DEP_1) | instskip(NEXT) | instid1(VALU_DEP_1)
	v_cndmask_b32_e64 v2, 0, v2, s13
	v_mul_f32_e32 v8, v2, v8
	s_delay_alu instid0(VALU_DEP_1) | instskip(SKIP_2) | instid1(VALU_DEP_3)
	v_and_b32_e32 v12, 0x7f800000, v8
	v_and_b32_e32 v2, 0x7fffff, v8
	v_lshrrev_b32_e32 v9, 24, v8
	v_cmpx_ne_u64_e32 0x7f800000, v[12:13]
	s_xor_b32 s43, exec_lo, s14
	s_cbranch_execz .LBB2_4114
; %bb.4101:                             ;   in Loop: Header=BB2_3706 Depth=3
	v_and_b32_e32 v12, 0x7fffffff, v8
	v_mov_b32_e32 v13, v3
	v_and_b32_e32 v56, 0x80, v9
                                        ; implicit-def: $vgpr78
	s_mov_b32 s14, exec_lo
	s_delay_alu instid0(VALU_DEP_2)
	v_cmpx_gt_u64_e32 0x47600001, v[12:13]
	s_xor_b32 s72, exec_lo, s14
	s_cbranch_execz .LBB2_4111
; %bb.4102:                             ;   in Loop: Header=BB2_3706 Depth=3
	v_mov_b32_e32 v78, 0
	s_mov_b32 s73, exec_lo
	v_cmpx_ne_u32_e32 0, v8
	s_cbranch_execz .LBB2_4110
; %bb.4103:                             ;   in Loop: Header=BB2_3706 Depth=3
	v_bfe_u32 v57, v8, 23, 8
	v_or_b32_e32 v12, 0x800000, v2
	s_delay_alu instid0(VALU_DEP_2) | instskip(SKIP_1) | instid1(VALU_DEP_1)
	v_sub_nc_u32_e32 v8, 0x71, v57
	v_cmp_gt_u32_e64 s13, 0x72, v57
	v_cndmask_b32_e64 v8, 0, v8, s13
	v_cmp_eq_u32_e64 s13, 0, v57
	s_delay_alu instid0(VALU_DEP_1) | instskip(SKIP_1) | instid1(VALU_DEP_2)
	v_cndmask_b32_e64 v78, v8, 0x70, s13
	v_cndmask_b32_e64 v2, v12, v2, s13
	v_dual_add_nc_u32 v8, 21, v78 :: v_dual_add_nc_u32 v13, 20, v78
	s_delay_alu instid0(VALU_DEP_1) | instskip(NEXT) | instid1(VALU_DEP_2)
	v_lshlrev_b64_e64 v[8:9], v8, -1
	v_lshlrev_b64_e64 v[12:13], v13, 1
	s_delay_alu instid0(VALU_DEP_2) | instskip(NEXT) | instid1(VALU_DEP_3)
	v_bfi_b32 v89, v9, 0, 0
	v_bfi_b32 v88, v8, 0, v2
	v_lshrrev_b64 v[8:9], v78, v[2:3]
	s_delay_alu instid0(VALU_DEP_2) | instskip(NEXT) | instid1(VALU_DEP_2)
	v_cmp_eq_u64_e64 s14, v[88:89], v[12:13]
	v_mov_b64_e32 v[12:13], v[8:9]
	s_and_saveexec_b32 s74, s14
; %bb.4104:                             ;   in Loop: Header=BB2_3706 Depth=3
	v_bfe_u32 v2, v8, 21, 1
	s_delay_alu instid0(VALU_DEP_1) | instskip(NEXT) | instid1(VALU_DEP_1)
	v_add_nc_u64_e32 v[12:13], v[8:9], v[2:3]
	v_add_nc_u64_e32 v[12:13], -1, v[12:13]
; %bb.4105:                             ;   in Loop: Header=BB2_3706 Depth=3
	s_or_b32 exec_lo, exec_lo, s74
	v_add_nc_u32_e32 v2, 0xffffff81, v57
	v_lshrrev_b32_e32 v9, 23, v8
	s_mov_b32 s14, exec_lo
	s_delay_alu instid0(VALU_DEP_2) | instskip(NEXT) | instid1(VALU_DEP_1)
	v_cndmask_b32_e64 v2, v2, 0xffffff82, s13
	v_add3_u32 v13, v78, v2, v9
	v_and_b32_e32 v2, 0x1fffff, v12
                                        ; implicit-def: $vgpr12
	s_delay_alu instid0(VALU_DEP_1) | instskip(NEXT) | instid1(VALU_DEP_1)
	v_dual_add_nc_u32 v57, 14, v13 :: v_dual_add_nc_u32 v2, v2, v8
                                        ; implicit-def: $vgpr8_vgpr9
	v_cmpx_ne_u32_e32 0, v57
	s_xor_b32 s14, exec_lo, s14
; %bb.4106:                             ;   in Loop: Header=BB2_3706 Depth=3
	s_delay_alu instid0(VALU_DEP_2) | instskip(SKIP_1) | instid1(VALU_DEP_1)
	v_cmp_lt_u64_e64 s13, 0xffffff, v[2:3]
	v_add_nc_u32_e32 v8, 15, v13
	v_cndmask_b32_e64 v12, v57, v8, s13
	v_cndmask_b32_e64 v8, 0, 1, s13
	s_delay_alu instid0(VALU_DEP_1)
	v_lshrrev_b64 v[8:9], v8, v[2:3]
; %bb.4107:                             ;   in Loop: Header=BB2_3706 Depth=3
	s_and_not1_saveexec_b32 s13, s14
; %bb.4108:                             ;   in Loop: Header=BB2_3706 Depth=3
	v_mov_b64_e32 v[8:9], v[2:3]
	v_bfe_u32 v12, v2, 23, 1
; %bb.4109:                             ;   in Loop: Header=BB2_3706 Depth=3
	s_or_b32 exec_lo, exec_lo, s13
	s_delay_alu instid0(VALU_DEP_2) | instskip(NEXT) | instid1(VALU_DEP_2)
	v_lshrrev_b64 v[8:9], 21, v[8:9]
	v_cmp_gt_i32_e64 s13, 32, v12
	v_min_i32_e32 v2, 31, v12
	v_cmp_eq_u32_e64 s14, 0, v12
	s_delay_alu instid0(VALU_DEP_2) | instskip(SKIP_1) | instid1(VALU_DEP_2)
	v_dual_cndmask_b32 v9, 0, v9, s13 :: v_dual_lshlrev_b32 v2, 2, v2
	v_cndmask_b32_e64 v8, 3, v8, s13
	v_and_b32_e32 v2, 0xfc, v2
	s_delay_alu instid0(VALU_DEP_2) | instskip(NEXT) | instid1(VALU_DEP_2)
	v_cmp_eq_u64_e64 s13, 0, v[8:9]
	v_and_or_b32 v2, v8, 3, v2
	s_and_b32 s13, s14, s13
	s_delay_alu instid0(VALU_DEP_1) | instid1(SALU_CYCLE_1)
	v_cndmask_b32_e64 v2, v2, 0, s13
	s_delay_alu instid0(VALU_DEP_1)
	v_or_b32_e32 v78, v2, v56
.LBB2_4110:                             ;   in Loop: Header=BB2_3706 Depth=3
	s_or_b32 exec_lo, exec_lo, s73
                                        ; implicit-def: $vgpr56
.LBB2_4111:                             ;   in Loop: Header=BB2_3706 Depth=3
	s_and_not1_saveexec_b32 s13, s72
; %bb.4112:                             ;   in Loop: Header=BB2_3706 Depth=3
	v_or_b32_e32 v78, 0x7b, v56
; %bb.4113:                             ;   in Loop: Header=BB2_3706 Depth=3
	s_or_b32 exec_lo, exec_lo, s13
                                        ; implicit-def: $vgpr8
                                        ; implicit-def: $vgpr9
.LBB2_4114:                             ;   in Loop: Header=BB2_3706 Depth=3
	s_and_not1_saveexec_b32 s14, s43
	s_cbranch_execz .LBB2_4120
; %bb.4115:                             ;   in Loop: Header=BB2_3706 Depth=3
	v_cmp_ne_u64_e64 s13, 0, v[2:3]
                                        ; implicit-def: $vgpr78
	s_and_saveexec_b32 s43, s13
	s_delay_alu instid0(SALU_CYCLE_1)
	s_xor_b32 s13, exec_lo, s43
; %bb.4116:                             ;   in Loop: Header=BB2_3706 Depth=3
	v_or_b32_e32 v78, 0x7f, v9
                                        ; implicit-def: $vgpr8
; %bb.4117:                             ;   in Loop: Header=BB2_3706 Depth=3
	s_and_not1_saveexec_b32 s43, s13
; %bb.4118:                             ;   in Loop: Header=BB2_3706 Depth=3
	v_cmp_lt_i32_e64 s13, -1, v8
	s_delay_alu instid0(VALU_DEP_1)
	v_cndmask_b32_e64 v78, 0xfc, v110, s13
; %bb.4119:                             ;   in Loop: Header=BB2_3706 Depth=3
	s_or_b32 exec_lo, exec_lo, s43
.LBB2_4120:                             ;   in Loop: Header=BB2_3706 Depth=3
	s_delay_alu instid0(SALU_CYCLE_1) | instskip(SKIP_3) | instid1(VALU_DEP_2)
	s_or_b32 exec_lo, exec_lo, s14
	v_and_b32_e32 v8, 0xff, v15
	v_dual_mov_b32 v2, v15 :: v_dual_mov_b32 v12, 0
	s_mov_b32 s14, exec_lo
	v_cmpx_ne_u16_e32 0, v8
	s_cbranch_execz .LBB2_4130
; %bb.4121:                             ;   in Loop: Header=BB2_3706 Depth=3
	v_bfrev_b32_e32 v12, 1
	s_mov_b32 s43, exec_lo
	v_cmpx_ne_u16_e32 0x80, v8
	s_cbranch_execz .LBB2_4129
; %bb.4122:                             ;   in Loop: Header=BB2_3706 Depth=3
	v_and_b32_e32 v9, 0x7c, v15
	v_and_b32_e32 v8, 3, v15
	s_mov_b32 s72, exec_lo
                                        ; implicit-def: $vgpr12
	s_delay_alu instid0(VALU_DEP_2)
	v_cmpx_ne_u32_e32 0x7c, v9
	s_xor_b32 s72, exec_lo, s72
	s_cbranch_execz .LBB2_4126
; %bb.4123:                             ;   in Loop: Header=BB2_3706 Depth=3
	v_bfe_u32 v9, v15, 2, 5
	s_mov_b32 s73, exec_lo
	s_delay_alu instid0(VALU_DEP_1)
	v_cmpx_eq_u32_e32 0, v9
; %bb.4124:                             ;   in Loop: Header=BB2_3706 Depth=3
	v_clz_i32_u32_e32 v8, v8
	s_delay_alu instid0(VALU_DEP_1) | instskip(NEXT) | instid1(VALU_DEP_1)
	v_min_u32_e32 v12, 32, v8
	v_subrev_nc_u32_e32 v8, 29, v12
	s_delay_alu instid0(VALU_DEP_1) | instskip(SKIP_1) | instid1(VALU_DEP_2)
	v_lshlrev_b64_e32 v[8:9], v8, v[2:3]
	v_sub_nc_u32_e32 v9, 30, v12
	v_and_b32_e32 v8, 3, v8
; %bb.4125:                             ;   in Loop: Header=BB2_3706 Depth=3
	s_or_b32 exec_lo, exec_lo, s73
	v_lshlrev_b32_e32 v12, 24, v15
	s_delay_alu instid0(VALU_DEP_1) | instskip(NEXT) | instid1(VALU_DEP_1)
	v_and_b32_e32 v12, 0x80000000, v12
	v_lshl_add_u32 v9, v9, 23, v12
	s_delay_alu instid0(VALU_DEP_1) | instskip(NEXT) | instid1(VALU_DEP_1)
	v_lshl_or_b32 v8, v8, 21, v9
	v_add_nc_u32_e32 v12, 0x38000000, v8
                                        ; implicit-def: $vgpr8
.LBB2_4126:                             ;   in Loop: Header=BB2_3706 Depth=3
	s_and_not1_saveexec_b32 s72, s72
; %bb.4127:                             ;   in Loop: Header=BB2_3706 Depth=3
	v_bfe_i32 v9, v15, 0, 8
	s_delay_alu instid0(VALU_DEP_1) | instskip(NEXT) | instid1(VALU_DEP_1)
	v_cmp_lt_i16_e64 s13, -1, v9
	v_cndmask_b32_e64 v9, 0xff800000, v109, s13
	v_cmp_eq_u32_e64 s13, 0, v8
	s_delay_alu instid0(VALU_DEP_1)
	v_cndmask_b32_e64 v12, 0x7f800001, v9, s13
; %bb.4128:                             ;   in Loop: Header=BB2_3706 Depth=3
	s_or_b32 exec_lo, exec_lo, s72
.LBB2_4129:                             ;   in Loop: Header=BB2_3706 Depth=3
	s_delay_alu instid0(SALU_CYCLE_1)
	s_or_b32 exec_lo, exec_lo, s43
.LBB2_4130:                             ;   in Loop: Header=BB2_3706 Depth=3
	s_delay_alu instid0(SALU_CYCLE_1) | instskip(SKIP_4) | instid1(VALU_DEP_2)
	s_or_b32 exec_lo, exec_lo, s14
	v_and_b32_e32 v9, 0xff, v11
	v_mov_b32_e32 v8, v11
	s_mov_b32 s43, 0
	s_mov_b32 s14, exec_lo
	v_cmpx_lt_i16_e32 0x7f, v9
	s_xor_b32 s14, exec_lo, s14
	s_cbranch_execz .LBB2_4275
; %bb.4131:                             ;   in Loop: Header=BB2_3706 Depth=3
	s_mov_b32 s43, -1
	s_mov_b32 s72, exec_lo
	v_cmpx_eq_u16_e32 0x80, v9
; %bb.4132:                             ;   in Loop: Header=BB2_3706 Depth=3
	s_xor_b32 s43, exec_lo, -1
; %bb.4133:                             ;   in Loop: Header=BB2_3706 Depth=3
	s_or_b32 exec_lo, exec_lo, s72
	s_delay_alu instid0(SALU_CYCLE_1)
	s_and_b32 s43, s43, exec_lo
                                        ; implicit-def: $vgpr9
	s_or_saveexec_b32 s14, s14
	v_bfrev_b32_e32 v13, 1
	s_xor_b32 exec_lo, exec_lo, s14
	s_cbranch_execnz .LBB2_4276
.LBB2_4134:                             ;   in Loop: Header=BB2_3706 Depth=3
	s_or_b32 exec_lo, exec_lo, s14
	v_mov_b32_e32 v9, v3
	s_and_saveexec_b32 s14, s43
	s_cbranch_execz .LBB2_4136
.LBB2_4135:                             ;   in Loop: Header=BB2_3706 Depth=3
	v_and_b32_e32 v13, 3, v11
	s_delay_alu instid0(VALU_DEP_1) | instskip(NEXT) | instid1(VALU_DEP_1)
	v_clz_i32_u32_e32 v20, v13
	v_min_u32_e32 v20, 32, v20
	s_delay_alu instid0(VALU_DEP_1) | instskip(SKIP_1) | instid1(VALU_DEP_2)
	v_subrev_nc_u32_e32 v21, 29, v20
	v_sub_nc_u32_e32 v20, 30, v20
	v_lshlrev_b64_e32 v[56:57], v21, v[8:9]
	v_bfe_u32 v21, v11, 2, 5
	v_lshlrev_b32_e32 v9, 24, v11
	s_delay_alu instid0(VALU_DEP_2) | instskip(NEXT) | instid1(VALU_DEP_2)
	v_cmp_eq_u32_e64 s13, 0, v21
	v_and_b32_e32 v9, 0x80000000, v9
	v_and_b32_e32 v56, 3, v56
	s_delay_alu instid0(VALU_DEP_3) | instskip(SKIP_1) | instid1(VALU_DEP_3)
	v_cndmask_b32_e64 v20, v21, v20, s13
	v_bfe_i32 v21, v11, 0, 8
	v_cndmask_b32_e64 v56, v13, v56, s13
	s_delay_alu instid0(VALU_DEP_3) | instskip(NEXT) | instid1(VALU_DEP_3)
	v_lshl_add_u32 v9, v20, 23, v9
	v_cmp_lt_i16_e64 s13, -1, v21
	v_and_b32_e32 v21, 0x7c, v11
	s_delay_alu instid0(VALU_DEP_3) | instskip(NEXT) | instid1(VALU_DEP_3)
	v_lshl_or_b32 v9, v56, 21, v9
	v_cndmask_b32_e64 v20, 0xff800000, v109, s13
	v_cmp_eq_u32_e64 s13, 0, v13
	s_delay_alu instid0(VALU_DEP_3) | instskip(NEXT) | instid1(VALU_DEP_2)
	v_add_nc_u32_e32 v9, 0x38000000, v9
	v_cndmask_b32_e64 v13, 0x7f800001, v20, s13
	v_cmp_eq_u32_e64 s13, 0x7c, v21
	s_delay_alu instid0(VALU_DEP_1)
	v_cndmask_b32_e64 v13, v9, v13, s13
.LBB2_4136:                             ;   in Loop: Header=BB2_3706 Depth=3
	s_or_b32 exec_lo, exec_lo, s14
	s_delay_alu instid0(VALU_DEP_1) | instskip(SKIP_2) | instid1(VALU_DEP_2)
	v_dual_mul_f32 v57, v12, v13 :: v_dual_mov_b32 v89, v3
	v_mov_b32_e32 v13, v3
                                        ; implicit-def: $vgpr56
	s_mov_b32 s14, exec_lo
	v_and_b32_e32 v88, 0x7f800000, v57
	v_and_b32_e32 v12, 0x7fffff, v57
	v_lshrrev_b32_e32 v9, 24, v57
	s_delay_alu instid0(VALU_DEP_3)
	v_cmpx_ne_u64_e32 0x7f800000, v[88:89]
	s_xor_b32 s43, exec_lo, s14
	s_cbranch_execz .LBB2_4150
; %bb.4137:                             ;   in Loop: Header=BB2_3706 Depth=3
	v_and_b32_e32 v88, 0x7fffffff, v57
	v_mov_b32_e32 v89, v3
	v_and_b32_e32 v9, 0x80, v9
                                        ; implicit-def: $vgpr56
	s_mov_b32 s14, exec_lo
	s_delay_alu instid0(VALU_DEP_2)
	v_cmpx_gt_u64_e32 0x47600001, v[88:89]
	s_xor_b32 s72, exec_lo, s14
	s_cbranch_execz .LBB2_4147
; %bb.4138:                             ;   in Loop: Header=BB2_3706 Depth=3
	v_mov_b32_e32 v56, 0
	s_mov_b32 s73, exec_lo
	v_cmpx_ne_u32_e32 0, v57
	s_cbranch_execz .LBB2_4146
; %bb.4139:                             ;   in Loop: Header=BB2_3706 Depth=3
	v_bfe_u32 v79, v57, 23, 8
	v_or_b32_e32 v21, 0x800000, v12
	s_delay_alu instid0(VALU_DEP_2) | instskip(SKIP_1) | instid1(VALU_DEP_1)
	v_sub_nc_u32_e32 v20, 0x71, v79
	v_cmp_gt_u32_e64 s13, 0x72, v79
	v_cndmask_b32_e64 v20, 0, v20, s13
	v_cmp_eq_u32_e64 s13, 0, v79
	s_delay_alu instid0(VALU_DEP_1) | instskip(SKIP_1) | instid1(VALU_DEP_2)
	v_cndmask_b32_e64 v88, v20, 0x70, s13
	v_cndmask_b32_e64 v12, v21, v12, s13
	v_add_nc_u32_e32 v20, 21, v88
	s_delay_alu instid0(VALU_DEP_1) | instskip(SKIP_1) | instid1(VALU_DEP_1)
	v_lshlrev_b64_e64 v[56:57], v20, -1
	v_add_nc_u32_e32 v20, 20, v88
	v_lshlrev_b64_e64 v[90:91], v20, 1
	s_delay_alu instid0(VALU_DEP_3) | instskip(SKIP_2) | instid1(VALU_DEP_1)
	v_bfi_b32 v56, v56, 0, v12
	v_lshrrev_b64 v[12:13], v88, v[12:13]
	v_bfi_b32 v57, v57, 0, 0
	v_cmp_eq_u64_e64 s14, v[56:57], v[90:91]
	s_delay_alu instid0(VALU_DEP_3)
	v_mov_b64_e32 v[56:57], v[12:13]
	s_and_saveexec_b32 s74, s14
; %bb.4140:                             ;   in Loop: Header=BB2_3706 Depth=3
	v_bfe_u32 v56, v12, 21, 1
	v_mov_b32_e32 v57, v3
	s_delay_alu instid0(VALU_DEP_1) | instskip(NEXT) | instid1(VALU_DEP_1)
	v_add_nc_u64_e32 v[56:57], v[12:13], v[56:57]
	v_add_nc_u64_e32 v[56:57], -1, v[56:57]
; %bb.4141:                             ;   in Loop: Header=BB2_3706 Depth=3
	s_or_b32 exec_lo, exec_lo, s74
	v_add_nc_u32_e32 v13, 0xffffff81, v79
	v_lshrrev_b32_e32 v20, 23, v12
	s_mov_b32 s14, exec_lo
	s_delay_alu instid0(VALU_DEP_2) | instskip(NEXT) | instid1(VALU_DEP_1)
	v_cndmask_b32_e64 v13, v13, 0xffffff82, s13
	v_add3_u32 v57, v88, v13, v20
	v_and_b32_e32 v13, 0x1fffff, v56
                                        ; implicit-def: $vgpr56
	s_delay_alu instid0(VALU_DEP_1) | instskip(SKIP_1) | instid1(VALU_DEP_2)
	v_dual_add_nc_u32 v79, 14, v57 :: v_dual_add_nc_u32 v12, v13, v12
	v_mov_b32_e32 v13, v3
	v_cmpx_ne_u32_e32 0, v79
	s_xor_b32 s14, exec_lo, s14
; %bb.4142:                             ;   in Loop: Header=BB2_3706 Depth=3
	s_delay_alu instid0(VALU_DEP_2) | instskip(SKIP_1) | instid1(VALU_DEP_1)
	v_cmp_lt_u64_e64 s13, 0xffffff, v[12:13]
	v_add_nc_u32_e32 v20, 15, v57
	v_cndmask_b32_e64 v56, v79, v20, s13
	v_cndmask_b32_e64 v20, 0, 1, s13
	s_delay_alu instid0(VALU_DEP_1)
	v_lshrrev_b64 v[12:13], v20, v[12:13]
; %bb.4143:                             ;   in Loop: Header=BB2_3706 Depth=3
	s_and_not1_saveexec_b32 s13, s14
; %bb.4144:                             ;   in Loop: Header=BB2_3706 Depth=3
	s_delay_alu instid0(VALU_DEP_1)
	v_bfe_u32 v56, v12, 23, 1
; %bb.4145:                             ;   in Loop: Header=BB2_3706 Depth=3
	s_or_b32 exec_lo, exec_lo, s13
	s_delay_alu instid0(VALU_DEP_2) | instskip(NEXT) | instid1(VALU_DEP_2)
	v_lshrrev_b64 v[12:13], 21, v[12:13]
	v_cmp_gt_i32_e64 s13, 32, v56
	v_min_i32_e32 v20, 31, v56
	v_cmp_eq_u32_e64 s14, 0, v56
	s_delay_alu instid0(VALU_DEP_2) | instskip(SKIP_1) | instid1(VALU_DEP_2)
	v_dual_cndmask_b32 v13, 0, v13, s13 :: v_dual_lshlrev_b32 v20, 2, v20
	v_cndmask_b32_e64 v12, 3, v12, s13
	v_and_b32_e32 v20, 0xfc, v20
	s_delay_alu instid0(VALU_DEP_2) | instskip(NEXT) | instid1(VALU_DEP_2)
	v_cmp_eq_u64_e64 s13, 0, v[12:13]
	v_and_or_b32 v12, v12, 3, v20
	s_and_b32 s13, s14, s13
	s_delay_alu instid0(VALU_DEP_1) | instid1(SALU_CYCLE_1)
	v_cndmask_b32_e64 v12, v12, 0, s13
	s_delay_alu instid0(VALU_DEP_1)
	v_or_b32_e32 v56, v12, v9
.LBB2_4146:                             ;   in Loop: Header=BB2_3706 Depth=3
	s_or_b32 exec_lo, exec_lo, s73
                                        ; implicit-def: $vgpr9
.LBB2_4147:                             ;   in Loop: Header=BB2_3706 Depth=3
	s_and_not1_saveexec_b32 s13, s72
; %bb.4148:                             ;   in Loop: Header=BB2_3706 Depth=3
	v_or_b32_e32 v56, 0x7b, v9
; %bb.4149:                             ;   in Loop: Header=BB2_3706 Depth=3
	s_or_b32 exec_lo, exec_lo, s13
                                        ; implicit-def: $vgpr57
                                        ; implicit-def: $vgpr12_vgpr13
                                        ; implicit-def: $vgpr9
.LBB2_4150:                             ;   in Loop: Header=BB2_3706 Depth=3
	s_and_not1_saveexec_b32 s14, s43
	s_cbranch_execz .LBB2_4156
; %bb.4151:                             ;   in Loop: Header=BB2_3706 Depth=3
	v_cmp_ne_u64_e64 s13, 0, v[12:13]
                                        ; implicit-def: $vgpr56
	s_and_saveexec_b32 s43, s13
	s_delay_alu instid0(SALU_CYCLE_1)
	s_xor_b32 s13, exec_lo, s43
; %bb.4152:                             ;   in Loop: Header=BB2_3706 Depth=3
	v_or_b32_e32 v56, 0x7f, v9
                                        ; implicit-def: $vgpr57
; %bb.4153:                             ;   in Loop: Header=BB2_3706 Depth=3
	s_and_not1_saveexec_b32 s43, s13
; %bb.4154:                             ;   in Loop: Header=BB2_3706 Depth=3
	v_cmp_lt_i32_e64 s13, -1, v57
	s_delay_alu instid0(VALU_DEP_1)
	v_cndmask_b32_e64 v56, 0xfc, v110, s13
; %bb.4155:                             ;   in Loop: Header=BB2_3706 Depth=3
	s_or_b32 exec_lo, exec_lo, s43
.LBB2_4156:                             ;   in Loop: Header=BB2_3706 Depth=3
	s_delay_alu instid0(SALU_CYCLE_1) | instskip(SKIP_3) | instid1(VALU_DEP_2)
	s_or_b32 exec_lo, exec_lo, s14
	v_lshrrev_b16 v12, 8, v2
	v_mov_b32_e32 v9, 0
	s_mov_b32 s14, exec_lo
	v_cmpx_ne_u16_e32 0, v12
	s_cbranch_execz .LBB2_4166
; %bb.4157:                             ;   in Loop: Header=BB2_3706 Depth=3
	v_bfrev_b32_e32 v9, 1
	s_mov_b32 s43, exec_lo
	v_cmpx_ne_u16_e32 0x80, v12
	s_cbranch_execz .LBB2_4165
; %bb.4158:                             ;   in Loop: Header=BB2_3706 Depth=3
	v_and_b32_e32 v57, 0xffff, v12
	s_delay_alu instid0(VALU_DEP_1) | instskip(SKIP_1) | instid1(VALU_DEP_2)
	v_and_b32_e32 v9, 0x7c, v57
	v_and_b32_e32 v13, 3, v57
	v_cmp_ne_u32_e64 s13, 0x7c, v9
                                        ; implicit-def: $vgpr9
	s_and_saveexec_b32 s72, s13
	s_delay_alu instid0(SALU_CYCLE_1)
	s_xor_b32 s72, exec_lo, s72
	s_cbranch_execz .LBB2_4162
; %bb.4159:                             ;   in Loop: Header=BB2_3706 Depth=3
	v_bfe_u32 v9, v57, 2, 5
	s_mov_b32 s73, exec_lo
	s_delay_alu instid0(VALU_DEP_1)
	v_cmpx_eq_u32_e32 0, v9
	s_cbranch_execz .LBB2_4161
; %bb.4160:                             ;   in Loop: Header=BB2_3706 Depth=3
	v_clz_i32_u32_e32 v9, v13
	s_delay_alu instid0(VALU_DEP_1) | instskip(SKIP_1) | instid1(VALU_DEP_2)
	v_min_u32_e32 v9, 32, v9
	v_mov_b32_e32 v13, v3
	v_subrev_nc_u32_e32 v20, 29, v9
	v_sub_nc_u32_e32 v9, 30, v9
	s_delay_alu instid0(VALU_DEP_2) | instskip(NEXT) | instid1(VALU_DEP_1)
	v_lshlrev_b64_e32 v[12:13], v20, v[12:13]
	v_and_b32_e32 v13, 3, v12
.LBB2_4161:                             ;   in Loop: Header=BB2_3706 Depth=3
	s_or_b32 exec_lo, exec_lo, s73
	v_lshlrev_b32_e32 v2, 16, v2
	s_delay_alu instid0(VALU_DEP_1) | instskip(NEXT) | instid1(VALU_DEP_1)
	v_and_b32_e32 v2, 0x80000000, v2
	v_lshl_add_u32 v2, v9, 23, v2
	s_delay_alu instid0(VALU_DEP_1) | instskip(NEXT) | instid1(VALU_DEP_1)
	v_lshl_or_b32 v2, v13, 21, v2
                                        ; implicit-def: $vgpr13
	v_add_nc_u32_e32 v9, 0x38000000, v2
.LBB2_4162:                             ;   in Loop: Header=BB2_3706 Depth=3
	s_and_not1_saveexec_b32 s72, s72
; %bb.4163:                             ;   in Loop: Header=BB2_3706 Depth=3
	v_cmp_lt_i16_e64 s13, -1, v2
	s_delay_alu instid0(VALU_DEP_1) | instskip(SKIP_1) | instid1(VALU_DEP_1)
	v_cndmask_b32_e64 v2, 0xff800000, v109, s13
	v_cmp_eq_u32_e64 s13, 0, v13
	v_cndmask_b32_e64 v9, 0x7f800001, v2, s13
; %bb.4164:                             ;   in Loop: Header=BB2_3706 Depth=3
	s_or_b32 exec_lo, exec_lo, s72
.LBB2_4165:                             ;   in Loop: Header=BB2_3706 Depth=3
	s_delay_alu instid0(SALU_CYCLE_1)
	s_or_b32 exec_lo, exec_lo, s43
.LBB2_4166:                             ;   in Loop: Header=BB2_3706 Depth=3
	s_delay_alu instid0(SALU_CYCLE_1) | instskip(SKIP_3) | instid1(VALU_DEP_1)
	s_or_b32 exec_lo, exec_lo, s14
	v_lshrrev_b16 v2, 8, v8
	s_mov_b32 s43, 0
	s_mov_b32 s14, exec_lo
	v_cmpx_lt_i16_e32 0x7f, v2
	s_xor_b32 s14, exec_lo, s14
	s_cbranch_execz .LBB2_4277
; %bb.4167:                             ;   in Loop: Header=BB2_3706 Depth=3
	s_mov_b32 s43, -1
	s_mov_b32 s72, exec_lo
	v_cmpx_eq_u16_e32 0x80, v2
; %bb.4168:                             ;   in Loop: Header=BB2_3706 Depth=3
	s_xor_b32 s43, exec_lo, -1
; %bb.4169:                             ;   in Loop: Header=BB2_3706 Depth=3
	s_or_b32 exec_lo, exec_lo, s72
	s_delay_alu instid0(SALU_CYCLE_1)
	s_and_b32 s43, s43, exec_lo
	s_or_saveexec_b32 s14, s14
	v_bfrev_b32_e32 v12, 1
	s_xor_b32 exec_lo, exec_lo, s14
	s_cbranch_execnz .LBB2_4278
.LBB2_4170:                             ;   in Loop: Header=BB2_3706 Depth=3
	s_or_b32 exec_lo, exec_lo, s14
	s_and_saveexec_b32 s14, s43
	s_cbranch_execz .LBB2_4172
.LBB2_4171:                             ;   in Loop: Header=BB2_3706 Depth=3
	v_and_b32_e32 v20, 0xffff, v2
	s_delay_alu instid0(VALU_DEP_1) | instskip(NEXT) | instid1(VALU_DEP_1)
	v_and_b32_e32 v21, 3, v20
	v_clz_i32_u32_e32 v12, v21
	s_delay_alu instid0(VALU_DEP_1) | instskip(NEXT) | instid1(VALU_DEP_1)
	v_min_u32_e32 v57, 32, v12
	v_subrev_nc_u32_e32 v12, 29, v57
	s_delay_alu instid0(VALU_DEP_1) | instskip(SKIP_2) | instid1(VALU_DEP_2)
	v_lshlrev_b64_e32 v[12:13], v12, v[2:3]
	v_bfe_u32 v13, v20, 2, 5
	v_dual_lshlrev_b32 v2, 24, v2 :: v_dual_sub_nc_u32 v57, 30, v57
	v_cmp_eq_u32_e64 s13, 0, v13
	s_delay_alu instid0(VALU_DEP_2) | instskip(NEXT) | instid1(VALU_DEP_2)
	v_and_b32_e32 v2, 0x80000000, v2
	v_dual_cndmask_b32 v13, v13, v57, s13 :: v_dual_bitop2_b32 v12, 3, v12 bitop3:0x40
	s_delay_alu instid0(VALU_DEP_1) | instskip(SKIP_1) | instid1(VALU_DEP_3)
	v_cndmask_b32_e64 v12, v21, v12, s13
	v_cmp_lt_i16_e64 s13, -1, v8
	v_lshl_add_u32 v2, v13, 23, v2
	s_delay_alu instid0(VALU_DEP_2) | instskip(SKIP_1) | instid1(VALU_DEP_3)
	v_cndmask_b32_e64 v8, 0xff800000, v109, s13
	v_cmp_eq_u32_e64 s13, 0, v21
	v_lshl_or_b32 v2, v12, 21, v2
	v_and_b32_e32 v12, 0x7c, v20
	s_delay_alu instid0(VALU_DEP_3) | instskip(NEXT) | instid1(VALU_DEP_3)
	v_cndmask_b32_e64 v8, 0x7f800001, v8, s13
	v_add_nc_u32_e32 v2, 0x38000000, v2
	s_delay_alu instid0(VALU_DEP_3) | instskip(NEXT) | instid1(VALU_DEP_1)
	v_cmp_eq_u32_e64 s13, 0x7c, v12
	v_cndmask_b32_e64 v12, v2, v8, s13
.LBB2_4172:                             ;   in Loop: Header=BB2_3706 Depth=3
	s_or_b32 exec_lo, exec_lo, s14
	s_delay_alu instid0(VALU_DEP_1) | instskip(SKIP_1) | instid1(VALU_DEP_1)
	v_dual_mul_f32 v8, v9, v12 :: v_dual_mov_b32 v13, v3
                                        ; implicit-def: $vgpr57
	s_mov_b32 s14, exec_lo
	v_and_b32_e32 v12, 0x7f800000, v8
	v_and_b32_e32 v2, 0x7fffff, v8
	v_lshrrev_b32_e32 v9, 24, v8
	s_delay_alu instid0(VALU_DEP_3)
	v_cmpx_ne_u64_e32 0x7f800000, v[12:13]
	s_xor_b32 s43, exec_lo, s14
	s_cbranch_execz .LBB2_4186
; %bb.4173:                             ;   in Loop: Header=BB2_3706 Depth=3
	v_and_b32_e32 v12, 0x7fffffff, v8
	v_mov_b32_e32 v13, v3
	v_and_b32_e32 v79, 0x80, v9
                                        ; implicit-def: $vgpr57
	s_mov_b32 s14, exec_lo
	s_delay_alu instid0(VALU_DEP_2)
	v_cmpx_gt_u64_e32 0x47600001, v[12:13]
	s_xor_b32 s72, exec_lo, s14
	s_cbranch_execz .LBB2_4183
; %bb.4174:                             ;   in Loop: Header=BB2_3706 Depth=3
	v_mov_b32_e32 v57, 0
	s_mov_b32 s73, exec_lo
	v_cmpx_ne_u32_e32 0, v8
	s_cbranch_execz .LBB2_4182
; %bb.4175:                             ;   in Loop: Header=BB2_3706 Depth=3
	v_bfe_u32 v57, v8, 23, 8
	v_or_b32_e32 v12, 0x800000, v2
	s_delay_alu instid0(VALU_DEP_2) | instskip(SKIP_1) | instid1(VALU_DEP_1)
	v_sub_nc_u32_e32 v8, 0x71, v57
	v_cmp_gt_u32_e64 s13, 0x72, v57
	v_cndmask_b32_e64 v8, 0, v8, s13
	v_cmp_eq_u32_e64 s13, 0, v57
	s_delay_alu instid0(VALU_DEP_1) | instskip(NEXT) | instid1(VALU_DEP_3)
	v_cndmask_b32_e64 v2, v12, v2, s13
	v_cndmask_b32_e64 v88, v8, 0x70, s13
	s_delay_alu instid0(VALU_DEP_1) | instskip(NEXT) | instid1(VALU_DEP_1)
	v_dual_add_nc_u32 v8, 21, v88 :: v_dual_add_nc_u32 v13, 20, v88
	v_lshlrev_b64_e64 v[8:9], v8, -1
	s_delay_alu instid0(VALU_DEP_2) | instskip(NEXT) | instid1(VALU_DEP_2)
	v_lshlrev_b64_e64 v[12:13], v13, 1
	v_bfi_b32 v91, v9, 0, 0
	s_delay_alu instid0(VALU_DEP_3) | instskip(SKIP_1) | instid1(VALU_DEP_2)
	v_bfi_b32 v90, v8, 0, v2
	v_lshrrev_b64 v[8:9], v88, v[2:3]
	v_cmp_eq_u64_e64 s14, v[90:91], v[12:13]
	s_delay_alu instid0(VALU_DEP_2)
	v_mov_b64_e32 v[12:13], v[8:9]
	s_and_saveexec_b32 s74, s14
; %bb.4176:                             ;   in Loop: Header=BB2_3706 Depth=3
	v_bfe_u32 v2, v8, 21, 1
	s_delay_alu instid0(VALU_DEP_1) | instskip(NEXT) | instid1(VALU_DEP_1)
	v_add_nc_u64_e32 v[12:13], v[8:9], v[2:3]
	v_add_nc_u64_e32 v[12:13], -1, v[12:13]
; %bb.4177:                             ;   in Loop: Header=BB2_3706 Depth=3
	s_or_b32 exec_lo, exec_lo, s74
	v_add_nc_u32_e32 v2, 0xffffff81, v57
	v_lshrrev_b32_e32 v9, 23, v8
	s_mov_b32 s14, exec_lo
	s_delay_alu instid0(VALU_DEP_2) | instskip(NEXT) | instid1(VALU_DEP_1)
	v_cndmask_b32_e64 v2, v2, 0xffffff82, s13
	v_add3_u32 v13, v88, v2, v9
	v_and_b32_e32 v2, 0x1fffff, v12
                                        ; implicit-def: $vgpr12
	s_delay_alu instid0(VALU_DEP_1) | instskip(NEXT) | instid1(VALU_DEP_1)
	v_dual_add_nc_u32 v57, 14, v13 :: v_dual_add_nc_u32 v2, v2, v8
                                        ; implicit-def: $vgpr8_vgpr9
	v_cmpx_ne_u32_e32 0, v57
	s_xor_b32 s14, exec_lo, s14
; %bb.4178:                             ;   in Loop: Header=BB2_3706 Depth=3
	s_delay_alu instid0(VALU_DEP_2) | instskip(SKIP_1) | instid1(VALU_DEP_1)
	v_cmp_lt_u64_e64 s13, 0xffffff, v[2:3]
	v_add_nc_u32_e32 v8, 15, v13
	v_cndmask_b32_e64 v12, v57, v8, s13
	v_cndmask_b32_e64 v8, 0, 1, s13
	s_delay_alu instid0(VALU_DEP_1)
	v_lshrrev_b64 v[8:9], v8, v[2:3]
; %bb.4179:                             ;   in Loop: Header=BB2_3706 Depth=3
	s_and_not1_saveexec_b32 s13, s14
; %bb.4180:                             ;   in Loop: Header=BB2_3706 Depth=3
	v_mov_b64_e32 v[8:9], v[2:3]
	v_bfe_u32 v12, v2, 23, 1
; %bb.4181:                             ;   in Loop: Header=BB2_3706 Depth=3
	s_or_b32 exec_lo, exec_lo, s13
	s_delay_alu instid0(VALU_DEP_2) | instskip(NEXT) | instid1(VALU_DEP_2)
	v_lshrrev_b64 v[8:9], 21, v[8:9]
	v_cmp_gt_i32_e64 s13, 32, v12
	v_min_i32_e32 v2, 31, v12
	v_cmp_eq_u32_e64 s14, 0, v12
	s_delay_alu instid0(VALU_DEP_2) | instskip(SKIP_1) | instid1(VALU_DEP_2)
	v_dual_cndmask_b32 v9, 0, v9, s13 :: v_dual_lshlrev_b32 v2, 2, v2
	v_cndmask_b32_e64 v8, 3, v8, s13
	v_and_b32_e32 v2, 0xfc, v2
	s_delay_alu instid0(VALU_DEP_2) | instskip(NEXT) | instid1(VALU_DEP_2)
	v_cmp_eq_u64_e64 s13, 0, v[8:9]
	v_and_or_b32 v2, v8, 3, v2
	s_and_b32 s13, s14, s13
	s_delay_alu instid0(VALU_DEP_1) | instid1(SALU_CYCLE_1)
	v_cndmask_b32_e64 v2, v2, 0, s13
	s_delay_alu instid0(VALU_DEP_1)
	v_or_b32_e32 v57, v2, v79
.LBB2_4182:                             ;   in Loop: Header=BB2_3706 Depth=3
	s_or_b32 exec_lo, exec_lo, s73
                                        ; implicit-def: $vgpr79
.LBB2_4183:                             ;   in Loop: Header=BB2_3706 Depth=3
	s_and_not1_saveexec_b32 s13, s72
; %bb.4184:                             ;   in Loop: Header=BB2_3706 Depth=3
	v_or_b32_e32 v57, 0x7b, v79
; %bb.4185:                             ;   in Loop: Header=BB2_3706 Depth=3
	s_or_b32 exec_lo, exec_lo, s13
                                        ; implicit-def: $vgpr8
                                        ; implicit-def: $vgpr9
.LBB2_4186:                             ;   in Loop: Header=BB2_3706 Depth=3
	s_and_not1_saveexec_b32 s14, s43
	s_cbranch_execz .LBB2_4192
; %bb.4187:                             ;   in Loop: Header=BB2_3706 Depth=3
	v_cmp_ne_u64_e64 s13, 0, v[2:3]
                                        ; implicit-def: $vgpr57
	s_and_saveexec_b32 s43, s13
	s_delay_alu instid0(SALU_CYCLE_1)
	s_xor_b32 s13, exec_lo, s43
; %bb.4188:                             ;   in Loop: Header=BB2_3706 Depth=3
	v_or_b32_e32 v57, 0x7f, v9
                                        ; implicit-def: $vgpr8
; %bb.4189:                             ;   in Loop: Header=BB2_3706 Depth=3
	s_and_not1_saveexec_b32 s43, s13
; %bb.4190:                             ;   in Loop: Header=BB2_3706 Depth=3
	v_cmp_lt_i32_e64 s13, -1, v8
	s_delay_alu instid0(VALU_DEP_1)
	v_cndmask_b32_e64 v57, 0xfc, v110, s13
; %bb.4191:                             ;   in Loop: Header=BB2_3706 Depth=3
	s_or_b32 exec_lo, exec_lo, s43
.LBB2_4192:                             ;   in Loop: Header=BB2_3706 Depth=3
	s_delay_alu instid0(SALU_CYCLE_1) | instskip(SKIP_2) | instid1(VALU_DEP_1)
	s_or_b32 exec_lo, exec_lo, s14
	v_dual_lshrrev_b32 v2, 16, v15 :: v_dual_mov_b32 v8, 0
	s_mov_b32 s14, exec_lo
	v_and_b32_e32 v9, 0xff, v2
	s_delay_alu instid0(VALU_DEP_1)
	v_cmpx_ne_u16_e32 0, v9
	s_cbranch_execz .LBB2_4202
; %bb.4193:                             ;   in Loop: Header=BB2_3706 Depth=3
	v_bfrev_b32_e32 v8, 1
	s_mov_b32 s43, exec_lo
	v_cmpx_ne_u16_e32 0x80, v9
	s_cbranch_execz .LBB2_4201
; %bb.4194:                             ;   in Loop: Header=BB2_3706 Depth=3
	v_and_b32_e32 v8, 0x7c0000, v15
	v_bfe_u32 v9, v15, 16, 2
	s_delay_alu instid0(VALU_DEP_2) | instskip(SKIP_1) | instid1(SALU_CYCLE_1)
	v_cmp_ne_u32_e64 s13, 0x7c0000, v8
                                        ; implicit-def: $vgpr8
	s_and_saveexec_b32 s72, s13
	s_xor_b32 s72, exec_lo, s72
	s_cbranch_execz .LBB2_4198
; %bb.4195:                             ;   in Loop: Header=BB2_3706 Depth=3
	v_bfe_u32 v8, v15, 18, 5
	s_mov_b32 s73, exec_lo
	s_delay_alu instid0(VALU_DEP_1)
	v_cmpx_eq_u32_e32 0, v8
; %bb.4196:                             ;   in Loop: Header=BB2_3706 Depth=3
	v_clz_i32_u32_e32 v8, v9
	s_delay_alu instid0(VALU_DEP_1) | instskip(NEXT) | instid1(VALU_DEP_1)
	v_min_u32_e32 v8, 32, v8
	v_subrev_nc_u32_e32 v9, 29, v8
	v_sub_nc_u32_e32 v8, 30, v8
	s_delay_alu instid0(VALU_DEP_2) | instskip(NEXT) | instid1(VALU_DEP_1)
	v_lshlrev_b64_e32 v[12:13], v9, v[2:3]
	v_and_b32_e32 v9, 3, v12
; %bb.4197:                             ;   in Loop: Header=BB2_3706 Depth=3
	s_or_b32 exec_lo, exec_lo, s73
	v_lshlrev_b32_e32 v2, 24, v2
	s_delay_alu instid0(VALU_DEP_1) | instskip(NEXT) | instid1(VALU_DEP_1)
	v_and_b32_e32 v2, 0x80000000, v2
	v_lshl_add_u32 v2, v8, 23, v2
	s_delay_alu instid0(VALU_DEP_1) | instskip(NEXT) | instid1(VALU_DEP_1)
	v_lshl_or_b32 v2, v9, 21, v2
                                        ; implicit-def: $vgpr9
	v_add_nc_u32_e32 v8, 0x38000000, v2
                                        ; implicit-def: $vgpr2
.LBB2_4198:                             ;   in Loop: Header=BB2_3706 Depth=3
	s_and_not1_saveexec_b32 s72, s72
; %bb.4199:                             ;   in Loop: Header=BB2_3706 Depth=3
	v_bfe_i32 v2, v2, 0, 8
	s_delay_alu instid0(VALU_DEP_1) | instskip(NEXT) | instid1(VALU_DEP_1)
	v_cmp_lt_i16_e64 s13, -1, v2
	v_cndmask_b32_e64 v2, 0xff800000, v109, s13
	v_cmp_eq_u32_e64 s13, 0, v9
	s_delay_alu instid0(VALU_DEP_1)
	v_cndmask_b32_e64 v8, 0x7f800001, v2, s13
; %bb.4200:                             ;   in Loop: Header=BB2_3706 Depth=3
	s_or_b32 exec_lo, exec_lo, s72
.LBB2_4201:                             ;   in Loop: Header=BB2_3706 Depth=3
	s_delay_alu instid0(SALU_CYCLE_1)
	s_or_b32 exec_lo, exec_lo, s43
.LBB2_4202:                             ;   in Loop: Header=BB2_3706 Depth=3
	s_delay_alu instid0(SALU_CYCLE_1) | instskip(SKIP_3) | instid1(VALU_DEP_1)
	s_or_b32 exec_lo, exec_lo, s14
	v_lshrrev_b32_e32 v2, 16, v11
	s_mov_b32 s43, 0
	s_mov_b32 s14, exec_lo
	v_and_b32_e32 v12, 0xff, v2
	s_delay_alu instid0(VALU_DEP_1)
	v_cmpx_lt_i16_e32 0x7f, v12
	s_xor_b32 s14, exec_lo, s14
	s_cbranch_execz .LBB2_4279
; %bb.4203:                             ;   in Loop: Header=BB2_3706 Depth=3
	s_mov_b32 s43, -1
	s_mov_b32 s72, exec_lo
	v_cmpx_eq_u16_e32 0x80, v12
; %bb.4204:                             ;   in Loop: Header=BB2_3706 Depth=3
	s_xor_b32 s43, exec_lo, -1
; %bb.4205:                             ;   in Loop: Header=BB2_3706 Depth=3
	s_or_b32 exec_lo, exec_lo, s72
	s_delay_alu instid0(SALU_CYCLE_1)
	s_and_b32 s43, s43, exec_lo
                                        ; implicit-def: $vgpr12
	s_or_saveexec_b32 s14, s14
	v_bfrev_b32_e32 v9, 1
	s_xor_b32 exec_lo, exec_lo, s14
	s_cbranch_execnz .LBB2_4280
.LBB2_4206:                             ;   in Loop: Header=BB2_3706 Depth=3
	s_or_b32 exec_lo, exec_lo, s14
	s_and_saveexec_b32 s14, s43
	s_cbranch_execz .LBB2_4208
.LBB2_4207:                             ;   in Loop: Header=BB2_3706 Depth=3
	v_and_b32_e32 v9, 3, v2
	v_bfe_u32 v21, v11, 18, 5
	s_delay_alu instid0(VALU_DEP_2) | instskip(NEXT) | instid1(VALU_DEP_2)
	v_clz_i32_u32_e32 v12, v9
	v_cmp_eq_u32_e64 s13, 0, v21
	s_delay_alu instid0(VALU_DEP_2) | instskip(NEXT) | instid1(VALU_DEP_1)
	v_min_u32_e32 v20, 32, v12
	v_subrev_nc_u32_e32 v12, 29, v20
	v_sub_nc_u32_e32 v20, 30, v20
	s_delay_alu instid0(VALU_DEP_2) | instskip(NEXT) | instid1(VALU_DEP_2)
	v_lshlrev_b64_e32 v[12:13], v12, v[2:3]
	v_dual_lshlrev_b32 v13, 24, v2 :: v_dual_cndmask_b32 v20, v21, v20, s13
	v_bfe_i32 v2, v2, 0, 8
	s_delay_alu instid0(VALU_DEP_2) | instskip(NEXT) | instid1(VALU_DEP_4)
	v_and_b32_e32 v13, 0x80000000, v13
	v_and_b32_e32 v12, 3, v12
	s_delay_alu instid0(VALU_DEP_2) | instskip(NEXT) | instid1(VALU_DEP_2)
	v_lshl_add_u32 v13, v20, 23, v13
	v_cndmask_b32_e64 v12, v9, v12, s13
	v_cmp_lt_i16_e64 s13, -1, v2
	s_delay_alu instid0(VALU_DEP_2) | instskip(NEXT) | instid1(VALU_DEP_2)
	v_lshl_or_b32 v12, v12, 21, v13
	v_cndmask_b32_e64 v2, 0xff800000, v109, s13
	v_and_b32_e32 v13, 0x7c0000, v11
	v_cmp_eq_u32_e64 s13, 0, v9
	s_delay_alu instid0(VALU_DEP_4) | instskip(NEXT) | instid1(VALU_DEP_2)
	v_add_nc_u32_e32 v9, 0x38000000, v12
	v_cndmask_b32_e64 v2, 0x7f800001, v2, s13
	s_delay_alu instid0(VALU_DEP_4) | instskip(NEXT) | instid1(VALU_DEP_1)
	v_cmp_eq_u32_e64 s13, 0x7c0000, v13
	v_cndmask_b32_e64 v9, v9, v2, s13
.LBB2_4208:                             ;   in Loop: Header=BB2_3706 Depth=3
	s_or_b32 exec_lo, exec_lo, s14
	s_delay_alu instid0(VALU_DEP_1) | instskip(NEXT) | instid1(VALU_DEP_1)
	v_dual_mul_f32 v8, v8, v9 :: v_dual_mov_b32 v13, v3
	v_and_b32_e32 v12, 0x7f800000, v8
	v_and_b32_e32 v2, 0x7fffff, v8
	v_lshrrev_b32_e32 v9, 24, v8
	s_delay_alu instid0(VALU_DEP_3) | instskip(SKIP_1) | instid1(SALU_CYCLE_1)
	v_cmp_ne_u64_e64 s13, 0x7f800000, v[12:13]
                                        ; implicit-def: $vgpr12
	s_and_saveexec_b32 s14, s13
	s_xor_b32 s43, exec_lo, s14
	s_cbranch_execz .LBB2_4222
; %bb.4209:                             ;   in Loop: Header=BB2_3706 Depth=3
	v_and_b32_e32 v12, 0x7fffffff, v8
	v_mov_b32_e32 v13, v3
	v_and_b32_e32 v79, 0x80, v9
	s_delay_alu instid0(VALU_DEP_2) | instskip(SKIP_1) | instid1(SALU_CYCLE_1)
	v_cmp_gt_u64_e64 s13, 0x47600001, v[12:13]
                                        ; implicit-def: $vgpr12
	s_and_saveexec_b32 s14, s13
	s_xor_b32 s72, exec_lo, s14
	s_cbranch_execz .LBB2_4219
; %bb.4210:                             ;   in Loop: Header=BB2_3706 Depth=3
	v_mov_b32_e32 v12, 0
	s_mov_b32 s73, exec_lo
	v_cmpx_ne_u32_e32 0, v8
	s_cbranch_execz .LBB2_4218
; %bb.4211:                             ;   in Loop: Header=BB2_3706 Depth=3
	v_bfe_u32 v88, v8, 23, 8
	v_or_b32_e32 v12, 0x800000, v2
	s_delay_alu instid0(VALU_DEP_2) | instskip(SKIP_1) | instid1(VALU_DEP_1)
	v_sub_nc_u32_e32 v8, 0x71, v88
	v_cmp_gt_u32_e64 s13, 0x72, v88
	v_cndmask_b32_e64 v8, 0, v8, s13
	v_cmp_eq_u32_e64 s13, 0, v88
	s_delay_alu instid0(VALU_DEP_1) | instskip(NEXT) | instid1(VALU_DEP_1)
	v_cndmask_b32_e64 v89, v8, 0x70, s13
	v_dual_cndmask_b32 v2, v12, v2, s13 :: v_dual_add_nc_u32 v8, 21, v89
	v_add_nc_u32_e32 v13, 20, v89
	s_delay_alu instid0(VALU_DEP_2) | instskip(NEXT) | instid1(VALU_DEP_2)
	v_lshlrev_b64_e64 v[8:9], v8, -1
	v_lshlrev_b64_e64 v[12:13], v13, 1
	s_delay_alu instid0(VALU_DEP_2) | instskip(NEXT) | instid1(VALU_DEP_3)
	v_bfi_b32 v91, v9, 0, 0
	v_bfi_b32 v90, v8, 0, v2
	v_lshrrev_b64 v[8:9], v89, v[2:3]
	s_delay_alu instid0(VALU_DEP_2) | instskip(NEXT) | instid1(VALU_DEP_2)
	v_cmp_eq_u64_e64 s14, v[90:91], v[12:13]
	v_mov_b64_e32 v[12:13], v[8:9]
	s_and_saveexec_b32 s74, s14
; %bb.4212:                             ;   in Loop: Header=BB2_3706 Depth=3
	v_bfe_u32 v2, v8, 21, 1
	s_delay_alu instid0(VALU_DEP_1) | instskip(NEXT) | instid1(VALU_DEP_1)
	v_add_nc_u64_e32 v[12:13], v[8:9], v[2:3]
	v_add_nc_u64_e32 v[12:13], -1, v[12:13]
; %bb.4213:                             ;   in Loop: Header=BB2_3706 Depth=3
	s_or_b32 exec_lo, exec_lo, s74
	v_add_nc_u32_e32 v2, 0xffffff81, v88
	v_lshrrev_b32_e32 v9, 23, v8
	s_mov_b32 s14, exec_lo
	s_delay_alu instid0(VALU_DEP_2) | instskip(NEXT) | instid1(VALU_DEP_1)
	v_cndmask_b32_e64 v2, v2, 0xffffff82, s13
	v_add3_u32 v13, v89, v2, v9
	v_and_b32_e32 v2, 0x1fffff, v12
                                        ; implicit-def: $vgpr12
	s_delay_alu instid0(VALU_DEP_1) | instskip(NEXT) | instid1(VALU_DEP_1)
	v_dual_add_nc_u32 v88, 14, v13 :: v_dual_add_nc_u32 v2, v2, v8
                                        ; implicit-def: $vgpr8_vgpr9
	v_cmpx_ne_u32_e32 0, v88
	s_xor_b32 s14, exec_lo, s14
; %bb.4214:                             ;   in Loop: Header=BB2_3706 Depth=3
	s_delay_alu instid0(VALU_DEP_2) | instskip(SKIP_1) | instid1(VALU_DEP_1)
	v_cmp_lt_u64_e64 s13, 0xffffff, v[2:3]
	v_add_nc_u32_e32 v8, 15, v13
	v_cndmask_b32_e64 v12, v88, v8, s13
	v_cndmask_b32_e64 v8, 0, 1, s13
	s_delay_alu instid0(VALU_DEP_1)
	v_lshrrev_b64 v[8:9], v8, v[2:3]
; %bb.4215:                             ;   in Loop: Header=BB2_3706 Depth=3
	s_and_not1_saveexec_b32 s13, s14
; %bb.4216:                             ;   in Loop: Header=BB2_3706 Depth=3
	v_mov_b64_e32 v[8:9], v[2:3]
	v_bfe_u32 v12, v2, 23, 1
; %bb.4217:                             ;   in Loop: Header=BB2_3706 Depth=3
	s_or_b32 exec_lo, exec_lo, s13
	s_delay_alu instid0(VALU_DEP_2) | instskip(NEXT) | instid1(VALU_DEP_2)
	v_lshrrev_b64 v[8:9], 21, v[8:9]
	v_cmp_gt_i32_e64 s13, 32, v12
	v_min_i32_e32 v2, 31, v12
	v_cmp_eq_u32_e64 s14, 0, v12
	s_delay_alu instid0(VALU_DEP_2) | instskip(SKIP_1) | instid1(VALU_DEP_2)
	v_dual_cndmask_b32 v9, 0, v9, s13 :: v_dual_lshlrev_b32 v2, 2, v2
	v_cndmask_b32_e64 v8, 3, v8, s13
	v_and_b32_e32 v2, 0xfc, v2
	s_delay_alu instid0(VALU_DEP_2) | instskip(NEXT) | instid1(VALU_DEP_2)
	v_cmp_eq_u64_e64 s13, 0, v[8:9]
	v_and_or_b32 v2, v8, 3, v2
	s_and_b32 s13, s14, s13
	s_delay_alu instid0(VALU_DEP_1) | instid1(SALU_CYCLE_1)
	v_cndmask_b32_e64 v2, v2, 0, s13
	s_delay_alu instid0(VALU_DEP_1)
	v_or_b32_e32 v12, v2, v79
.LBB2_4218:                             ;   in Loop: Header=BB2_3706 Depth=3
	s_or_b32 exec_lo, exec_lo, s73
                                        ; implicit-def: $vgpr79
.LBB2_4219:                             ;   in Loop: Header=BB2_3706 Depth=3
	s_and_not1_saveexec_b32 s13, s72
; %bb.4220:                             ;   in Loop: Header=BB2_3706 Depth=3
	v_or_b32_e32 v12, 0x7b, v79
; %bb.4221:                             ;   in Loop: Header=BB2_3706 Depth=3
	s_or_b32 exec_lo, exec_lo, s13
                                        ; implicit-def: $vgpr8
                                        ; implicit-def: $vgpr9
.LBB2_4222:                             ;   in Loop: Header=BB2_3706 Depth=3
	s_and_not1_saveexec_b32 s14, s43
	s_cbranch_execz .LBB2_4228
; %bb.4223:                             ;   in Loop: Header=BB2_3706 Depth=3
	v_cmp_ne_u64_e64 s13, 0, v[2:3]
                                        ; implicit-def: $vgpr12
	s_and_saveexec_b32 s43, s13
	s_delay_alu instid0(SALU_CYCLE_1)
	s_xor_b32 s13, exec_lo, s43
; %bb.4224:                             ;   in Loop: Header=BB2_3706 Depth=3
	v_or_b32_e32 v12, 0x7f, v9
                                        ; implicit-def: $vgpr8
; %bb.4225:                             ;   in Loop: Header=BB2_3706 Depth=3
	s_and_not1_saveexec_b32 s43, s13
; %bb.4226:                             ;   in Loop: Header=BB2_3706 Depth=3
	v_cmp_lt_i32_e64 s13, -1, v8
	s_delay_alu instid0(VALU_DEP_1)
	v_cndmask_b32_e64 v12, 0xfc, v110, s13
; %bb.4227:                             ;   in Loop: Header=BB2_3706 Depth=3
	s_or_b32 exec_lo, exec_lo, s43
.LBB2_4228:                             ;   in Loop: Header=BB2_3706 Depth=3
	s_delay_alu instid0(SALU_CYCLE_1)
	s_or_b32 exec_lo, exec_lo, s14
	v_mov_b32_e32 v8, 0
	s_mov_b32 s14, exec_lo
	v_cmpx_lt_u64_e64 s[22:23], v[14:15]
	s_cbranch_execz .LBB2_4238
; %bb.4229:                             ;   in Loop: Header=BB2_3706 Depth=3
	v_lshrrev_b32_e32 v2, 24, v15
	v_bfrev_b32_e32 v8, 1
	s_mov_b32 s43, exec_lo
	s_delay_alu instid0(VALU_DEP_2)
	v_cmpx_ne_u32_e32 0x80, v2
	s_cbranch_execz .LBB2_4237
; %bb.4230:                             ;   in Loop: Header=BB2_3706 Depth=3
	v_and_b32_e32 v8, 0x7c000000, v15
	v_bfe_u32 v9, v15, 24, 2
	s_delay_alu instid0(VALU_DEP_2) | instskip(SKIP_1) | instid1(SALU_CYCLE_1)
	v_cmp_ne_u32_e64 s13, 0x7c000000, v8
                                        ; implicit-def: $vgpr8
	s_and_saveexec_b32 s72, s13
	s_xor_b32 s72, exec_lo, s72
	s_cbranch_execz .LBB2_4234
; %bb.4231:                             ;   in Loop: Header=BB2_3706 Depth=3
	v_bfe_u32 v8, v15, 26, 5
	s_mov_b32 s73, exec_lo
	s_delay_alu instid0(VALU_DEP_1)
	v_cmpx_eq_u32_e32 0, v8
; %bb.4232:                             ;   in Loop: Header=BB2_3706 Depth=3
	v_clz_i32_u32_e32 v8, v9
	s_delay_alu instid0(VALU_DEP_1) | instskip(NEXT) | instid1(VALU_DEP_1)
	v_min_u32_e32 v8, 32, v8
	v_subrev_nc_u32_e32 v9, 29, v8
	v_sub_nc_u32_e32 v8, 30, v8
	s_delay_alu instid0(VALU_DEP_2) | instskip(NEXT) | instid1(VALU_DEP_1)
	v_lshlrev_b64_e32 v[88:89], v9, v[2:3]
	v_and_b32_e32 v9, 3, v88
; %bb.4233:                             ;   in Loop: Header=BB2_3706 Depth=3
	s_or_b32 exec_lo, exec_lo, s73
	v_and_b32_e32 v2, 0x80000000, v15
                                        ; implicit-def: $vgpr14_vgpr15
	s_delay_alu instid0(VALU_DEP_1) | instskip(NEXT) | instid1(VALU_DEP_1)
	v_lshl_add_u32 v2, v8, 23, v2
	v_lshl_or_b32 v2, v9, 21, v2
                                        ; implicit-def: $vgpr9
	s_delay_alu instid0(VALU_DEP_1)
	v_add_nc_u32_e32 v8, 0x38000000, v2
.LBB2_4234:                             ;   in Loop: Header=BB2_3706 Depth=3
	s_and_not1_saveexec_b32 s72, s72
; %bb.4235:                             ;   in Loop: Header=BB2_3706 Depth=3
	v_cmp_lt_i64_e64 s13, -1, v[14:15]
	s_delay_alu instid0(VALU_DEP_1) | instskip(SKIP_1) | instid1(VALU_DEP_1)
	v_cndmask_b32_e64 v2, 0xff800000, v109, s13
	v_cmp_eq_u32_e64 s13, 0, v9
	v_cndmask_b32_e64 v8, 0x7f800001, v2, s13
; %bb.4236:                             ;   in Loop: Header=BB2_3706 Depth=3
	s_or_b32 exec_lo, exec_lo, s72
.LBB2_4237:                             ;   in Loop: Header=BB2_3706 Depth=3
	s_delay_alu instid0(SALU_CYCLE_1)
	s_or_b32 exec_lo, exec_lo, s43
.LBB2_4238:                             ;   in Loop: Header=BB2_3706 Depth=3
	s_delay_alu instid0(SALU_CYCLE_1) | instskip(SKIP_2) | instid1(VALU_DEP_2)
	s_or_b32 exec_lo, exec_lo, s14
	v_bfe_u32 v9, v11, 24, 2
	v_bfe_u32 v20, v11, 26, 5
	v_clz_i32_u32_e32 v2, v9
	s_delay_alu instid0(VALU_DEP_2) | instskip(NEXT) | instid1(VALU_DEP_2)
	v_cmp_eq_u32_e64 s13, 0, v20
	v_min_u32_e32 v13, 32, v2
	v_lshrrev_b32_e32 v2, 24, v11
	s_delay_alu instid0(VALU_DEP_2) | instskip(SKIP_1) | instid1(VALU_DEP_2)
	v_subrev_nc_u32_e32 v14, 29, v13
	v_sub_nc_u32_e32 v13, 30, v13
	v_lshlrev_b64_e32 v[14:15], v14, v[2:3]
	s_delay_alu instid0(VALU_DEP_2) | instskip(SKIP_1) | instid1(VALU_DEP_3)
	v_cndmask_b32_e64 v13, v20, v13, s13
	v_and_b32_e32 v15, 0x80000000, v11
	v_and_b32_e32 v14, 3, v14
	s_delay_alu instid0(VALU_DEP_2) | instskip(NEXT) | instid1(VALU_DEP_2)
	v_lshl_add_u32 v13, v13, 23, v15
	v_cndmask_b32_e64 v14, v9, v14, s13
	v_cmp_lt_i64_e64 s13, -1, v[10:11]
	s_delay_alu instid0(VALU_DEP_2) | instskip(SKIP_1) | instid1(VALU_DEP_3)
	v_lshl_or_b32 v13, v14, 21, v13
	v_and_b32_e32 v14, 0x7c000000, v11
	v_cndmask_b32_e64 v15, 0xff800000, v109, s13
	v_cmp_eq_u32_e64 s13, 0, v9
	s_delay_alu instid0(VALU_DEP_4) | instskip(NEXT) | instid1(VALU_DEP_2)
	v_add_nc_u32_e32 v13, 0x38000000, v13
	v_cndmask_b32_e64 v9, 0x7f800001, v15, s13
	v_cmp_eq_u32_e64 s13, 0x7c000000, v14
	s_delay_alu instid0(VALU_DEP_1) | instskip(SKIP_1) | instid1(VALU_DEP_1)
	v_cndmask_b32_e64 v9, v13, v9, s13
	v_cmp_ne_u32_e64 s13, 0x80, v2
	v_cndmask_b32_e64 v2, 0x80000000, v9, s13
	v_cmp_lt_u64_e64 s13, s[22:23], v[10:11]
	s_delay_alu instid0(VALU_DEP_1) | instskip(NEXT) | instid1(VALU_DEP_1)
	v_cndmask_b32_e64 v2, 0, v2, s13
	v_dual_mul_f32 v9, v2, v8 :: v_dual_mov_b32 v11, v3
                                        ; implicit-def: $vgpr8
	s_delay_alu instid0(VALU_DEP_1) | instskip(SKIP_1) | instid1(VALU_DEP_2)
	v_and_b32_e32 v10, 0x7f800000, v9
	v_and_b32_e32 v2, 0x7fffff, v9
	v_cmp_ne_u64_e64 s13, 0x7f800000, v[10:11]
	v_lshrrev_b32_e32 v10, 24, v9
	s_and_saveexec_b32 s14, s13
	s_delay_alu instid0(SALU_CYCLE_1)
	s_xor_b32 s43, exec_lo, s14
	s_cbranch_execz .LBB2_4252
; %bb.4239:                             ;   in Loop: Header=BB2_3706 Depth=3
	v_and_b32_e32 v14, 0x7fffffff, v9
	v_mov_b32_e32 v15, v3
	v_and_b32_e32 v13, 0x80, v10
                                        ; implicit-def: $vgpr8
	s_mov_b32 s14, exec_lo
	s_delay_alu instid0(VALU_DEP_2)
	v_cmpx_gt_u64_e32 0x47600001, v[14:15]
	s_xor_b32 s72, exec_lo, s14
	s_cbranch_execz .LBB2_4249
; %bb.4240:                             ;   in Loop: Header=BB2_3706 Depth=3
	v_mov_b32_e32 v8, 0
	s_mov_b32 s73, exec_lo
	v_cmpx_ne_u32_e32 0, v9
	s_cbranch_execz .LBB2_4248
; %bb.4241:                             ;   in Loop: Header=BB2_3706 Depth=3
	v_bfe_u32 v14, v9, 23, 8
	v_or_b32_e32 v10, 0x800000, v2
	s_delay_alu instid0(VALU_DEP_2) | instskip(SKIP_1) | instid1(VALU_DEP_1)
	v_sub_nc_u32_e32 v8, 0x71, v14
	v_cmp_gt_u32_e64 s13, 0x72, v14
	v_cndmask_b32_e64 v8, 0, v8, s13
	v_cmp_eq_u32_e64 s13, 0, v14
	s_delay_alu instid0(VALU_DEP_1) | instskip(NEXT) | instid1(VALU_DEP_1)
	v_cndmask_b32_e64 v15, v8, 0x70, s13
	v_dual_cndmask_b32 v2, v10, v2, s13 :: v_dual_add_nc_u32 v8, 21, v15
	v_add_nc_u32_e32 v11, 20, v15
	s_delay_alu instid0(VALU_DEP_2) | instskip(NEXT) | instid1(VALU_DEP_2)
	v_lshlrev_b64_e64 v[8:9], v8, -1
	v_lshlrev_b64_e64 v[10:11], v11, 1
	s_delay_alu instid0(VALU_DEP_2) | instskip(NEXT) | instid1(VALU_DEP_3)
	v_bfi_b32 v89, v9, 0, 0
	v_bfi_b32 v88, v8, 0, v2
	v_lshrrev_b64 v[8:9], v15, v[2:3]
	s_delay_alu instid0(VALU_DEP_2) | instskip(NEXT) | instid1(VALU_DEP_2)
	v_cmp_eq_u64_e64 s14, v[88:89], v[10:11]
	v_mov_b64_e32 v[10:11], v[8:9]
	s_and_saveexec_b32 s74, s14
; %bb.4242:                             ;   in Loop: Header=BB2_3706 Depth=3
	v_bfe_u32 v2, v8, 21, 1
	s_delay_alu instid0(VALU_DEP_1) | instskip(NEXT) | instid1(VALU_DEP_1)
	v_add_nc_u64_e32 v[10:11], v[8:9], v[2:3]
	v_add_nc_u64_e32 v[10:11], -1, v[10:11]
; %bb.4243:                             ;   in Loop: Header=BB2_3706 Depth=3
	s_or_b32 exec_lo, exec_lo, s74
	v_add_nc_u32_e32 v2, 0xffffff81, v14
	v_lshrrev_b32_e32 v9, 23, v8
	s_mov_b32 s14, exec_lo
	s_delay_alu instid0(VALU_DEP_2) | instskip(NEXT) | instid1(VALU_DEP_1)
	v_cndmask_b32_e64 v2, v2, 0xffffff82, s13
	v_add3_u32 v11, v15, v2, v9
	v_and_b32_e32 v2, 0x1fffff, v10
                                        ; implicit-def: $vgpr10
	s_delay_alu instid0(VALU_DEP_1) | instskip(NEXT) | instid1(VALU_DEP_1)
	v_dual_add_nc_u32 v14, 14, v11 :: v_dual_add_nc_u32 v2, v2, v8
                                        ; implicit-def: $vgpr8_vgpr9
	v_cmpx_ne_u32_e32 0, v14
	s_xor_b32 s14, exec_lo, s14
; %bb.4244:                             ;   in Loop: Header=BB2_3706 Depth=3
	s_delay_alu instid0(VALU_DEP_2) | instskip(SKIP_1) | instid1(VALU_DEP_1)
	v_cmp_lt_u64_e64 s13, 0xffffff, v[2:3]
	v_add_nc_u32_e32 v8, 15, v11
	v_cndmask_b32_e64 v10, v14, v8, s13
	v_cndmask_b32_e64 v8, 0, 1, s13
	s_delay_alu instid0(VALU_DEP_1)
	v_lshrrev_b64 v[8:9], v8, v[2:3]
; %bb.4245:                             ;   in Loop: Header=BB2_3706 Depth=3
	s_and_not1_saveexec_b32 s13, s14
; %bb.4246:                             ;   in Loop: Header=BB2_3706 Depth=3
	v_mov_b64_e32 v[8:9], v[2:3]
	v_bfe_u32 v10, v2, 23, 1
; %bb.4247:                             ;   in Loop: Header=BB2_3706 Depth=3
	s_or_b32 exec_lo, exec_lo, s13
	s_delay_alu instid0(VALU_DEP_2) | instskip(NEXT) | instid1(VALU_DEP_2)
	v_lshrrev_b64 v[8:9], 21, v[8:9]
	v_cmp_gt_i32_e64 s13, 32, v10
	v_min_i32_e32 v2, 31, v10
	v_cmp_eq_u32_e64 s14, 0, v10
	s_delay_alu instid0(VALU_DEP_2) | instskip(SKIP_1) | instid1(VALU_DEP_2)
	v_dual_cndmask_b32 v9, 0, v9, s13 :: v_dual_lshlrev_b32 v2, 2, v2
	v_cndmask_b32_e64 v8, 3, v8, s13
	v_and_b32_e32 v2, 0xfc, v2
	s_delay_alu instid0(VALU_DEP_2) | instskip(NEXT) | instid1(VALU_DEP_2)
	v_cmp_eq_u64_e64 s13, 0, v[8:9]
	v_and_or_b32 v2, v8, 3, v2
	s_and_b32 s13, s14, s13
	s_delay_alu instid0(VALU_DEP_1) | instid1(SALU_CYCLE_1)
	v_cndmask_b32_e64 v2, v2, 0, s13
	s_delay_alu instid0(VALU_DEP_1)
	v_or_b32_e32 v8, v2, v13
.LBB2_4248:                             ;   in Loop: Header=BB2_3706 Depth=3
	s_or_b32 exec_lo, exec_lo, s73
                                        ; implicit-def: $vgpr13
.LBB2_4249:                             ;   in Loop: Header=BB2_3706 Depth=3
	s_and_not1_saveexec_b32 s13, s72
; %bb.4250:                             ;   in Loop: Header=BB2_3706 Depth=3
	v_or_b32_e32 v8, 0x7b, v13
; %bb.4251:                             ;   in Loop: Header=BB2_3706 Depth=3
	s_or_b32 exec_lo, exec_lo, s13
                                        ; implicit-def: $vgpr9
                                        ; implicit-def: $vgpr10
.LBB2_4252:                             ;   in Loop: Header=BB2_3706 Depth=3
	s_and_not1_saveexec_b32 s14, s43
	s_cbranch_execz .LBB2_3705
; %bb.4253:                             ;   in Loop: Header=BB2_3706 Depth=3
	v_cmp_ne_u64_e64 s13, 0, v[2:3]
                                        ; implicit-def: $vgpr8
	s_and_saveexec_b32 s43, s13
	s_delay_alu instid0(SALU_CYCLE_1)
	s_xor_b32 s13, exec_lo, s43
; %bb.4254:                             ;   in Loop: Header=BB2_3706 Depth=3
	v_or_b32_e32 v8, 0x7f, v10
                                        ; implicit-def: $vgpr9
; %bb.4255:                             ;   in Loop: Header=BB2_3706 Depth=3
	s_and_not1_saveexec_b32 s43, s13
	s_cbranch_execz .LBB2_3704
; %bb.4256:                             ;   in Loop: Header=BB2_3706 Depth=3
	v_cmp_lt_i32_e64 s13, -1, v9
	s_delay_alu instid0(VALU_DEP_1)
	v_cndmask_b32_e64 v8, 0xfc, v110, s13
	s_branch .LBB2_3704
.LBB2_4257:                             ;   in Loop: Header=BB2_3706 Depth=3
	s_or_saveexec_b32 s14, s14
	v_bfrev_b32_e32 v18, 1
	s_xor_b32 exec_lo, exec_lo, s14
	s_cbranch_execz .LBB2_3720
.LBB2_4258:                             ;   in Loop: Header=BB2_3706 Depth=3
	v_cmp_ne_u16_e64 s13, 0, v19
	v_mov_b32_e32 v18, 0
	s_and_not1_b32 s43, s43, exec_lo
	s_and_b32 s13, s13, exec_lo
	s_delay_alu instid0(SALU_CYCLE_1)
	s_or_b32 s43, s43, s13
	s_or_b32 exec_lo, exec_lo, s14
	s_and_saveexec_b32 s14, s43
	s_cbranch_execnz .LBB2_3721
	s_branch .LBB2_3722
.LBB2_4259:                             ;   in Loop: Header=BB2_3706 Depth=3
	s_or_saveexec_b32 s14, s14
	v_bfrev_b32_e32 v19, 1
	s_xor_b32 exec_lo, exec_lo, s14
	s_cbranch_execz .LBB2_3756
.LBB2_4260:                             ;   in Loop: Header=BB2_3706 Depth=3
	v_cmp_ne_u16_e64 s13, 0, v2
	v_mov_b32_e32 v19, 0
	s_and_not1_b32 s43, s43, exec_lo
	s_and_b32 s13, s13, exec_lo
	s_delay_alu instid0(SALU_CYCLE_1)
	s_or_b32 s43, s43, s13
	s_or_b32 exec_lo, exec_lo, s14
	s_and_saveexec_b32 s14, s43
	s_cbranch_execnz .LBB2_3757
	s_branch .LBB2_3758
.LBB2_4261:                             ;   in Loop: Header=BB2_3706 Depth=3
	s_or_saveexec_b32 s14, s14
	v_bfrev_b32_e32 v19, 1
	s_xor_b32 exec_lo, exec_lo, s14
	s_cbranch_execz .LBB2_3792
.LBB2_4262:                             ;   in Loop: Header=BB2_3706 Depth=3
	v_cmp_ne_u16_e64 s13, 0, v56
	v_mov_b32_e32 v19, 0
	s_and_not1_b32 s43, s43, exec_lo
	s_and_b32 s13, s13, exec_lo
	s_delay_alu instid0(SALU_CYCLE_1)
	s_or_b32 s43, s43, s13
	s_or_b32 exec_lo, exec_lo, s14
	s_and_saveexec_b32 s14, s43
	s_cbranch_execnz .LBB2_3793
	s_branch .LBB2_3794
.LBB2_4263:                             ;   in Loop: Header=BB2_3706 Depth=3
	s_or_saveexec_b32 s14, s14
	v_bfrev_b32_e32 v19, 1
	s_xor_b32 exec_lo, exec_lo, s14
	s_cbranch_execz .LBB2_3858
.LBB2_4264:                             ;   in Loop: Header=BB2_3706 Depth=3
	v_cmp_ne_u16_e64 s13, 0, v57
	v_mov_b32_e32 v19, 0
	s_and_not1_b32 s43, s43, exec_lo
	s_and_b32 s13, s13, exec_lo
	s_delay_alu instid0(SALU_CYCLE_1)
	s_or_b32 s43, s43, s13
	s_or_b32 exec_lo, exec_lo, s14
	v_mov_b32_e32 v57, v3
	s_and_saveexec_b32 s14, s43
	s_cbranch_execnz .LBB2_3859
	s_branch .LBB2_3860
.LBB2_4265:                             ;   in Loop: Header=BB2_3706 Depth=3
	s_or_saveexec_b32 s14, s14
	v_bfrev_b32_e32 v19, 1
	s_xor_b32 exec_lo, exec_lo, s14
	s_cbranch_execz .LBB2_3894
.LBB2_4266:                             ;   in Loop: Header=BB2_3706 Depth=3
	v_cmp_ne_u16_e64 s13, 0, v2
	v_mov_b32_e32 v19, 0
	s_and_not1_b32 s43, s43, exec_lo
	s_and_b32 s13, s13, exec_lo
	s_delay_alu instid0(SALU_CYCLE_1)
	s_or_b32 s43, s43, s13
	s_or_b32 exec_lo, exec_lo, s14
	s_and_saveexec_b32 s14, s43
	s_cbranch_execnz .LBB2_3895
	s_branch .LBB2_3896
.LBB2_4267:                             ;   in Loop: Header=BB2_3706 Depth=3
	s_or_saveexec_b32 s14, s14
	v_bfrev_b32_e32 v19, 1
	s_xor_b32 exec_lo, exec_lo, s14
	s_cbranch_execz .LBB2_3930
.LBB2_4268:                             ;   in Loop: Header=BB2_3706 Depth=3
	v_cmp_ne_u16_e64 s13, 0, v56
	v_mov_b32_e32 v19, 0
	s_and_not1_b32 s43, s43, exec_lo
	s_and_b32 s13, s13, exec_lo
	s_delay_alu instid0(SALU_CYCLE_1)
	s_or_b32 s43, s43, s13
	s_or_b32 exec_lo, exec_lo, s14
	s_and_saveexec_b32 s14, s43
	s_cbranch_execnz .LBB2_3931
	s_branch .LBB2_3932
.LBB2_4269:                             ;   in Loop: Header=BB2_3706 Depth=3
	s_or_saveexec_b32 s14, s14
	v_bfrev_b32_e32 v8, 1
	s_xor_b32 exec_lo, exec_lo, s14
	s_cbranch_execz .LBB2_3996
.LBB2_4270:                             ;   in Loop: Header=BB2_3706 Depth=3
	v_cmp_ne_u16_e64 s13, 0, v9
	v_mov_b32_e32 v8, 0
	s_and_not1_b32 s43, s43, exec_lo
	s_and_b32 s13, s13, exec_lo
	s_delay_alu instid0(SALU_CYCLE_1)
	s_or_b32 s43, s43, s13
	s_or_b32 exec_lo, exec_lo, s14
	s_and_saveexec_b32 s14, s43
	s_cbranch_execnz .LBB2_3997
	s_branch .LBB2_3998
.LBB2_4271:                             ;   in Loop: Header=BB2_3706 Depth=3
	s_or_saveexec_b32 s14, s14
	v_bfrev_b32_e32 v9, 1
	s_xor_b32 exec_lo, exec_lo, s14
	s_cbranch_execz .LBB2_4032
.LBB2_4272:                             ;   in Loop: Header=BB2_3706 Depth=3
	v_cmp_ne_u16_e64 s13, 0, v2
	v_mov_b32_e32 v9, 0
	s_and_not1_b32 s43, s43, exec_lo
	s_and_b32 s13, s13, exec_lo
	s_delay_alu instid0(SALU_CYCLE_1)
	s_or_b32 s43, s43, s13
	s_or_b32 exec_lo, exec_lo, s14
	s_and_saveexec_b32 s14, s43
	s_cbranch_execnz .LBB2_4033
	s_branch .LBB2_4034
.LBB2_4273:                             ;   in Loop: Header=BB2_3706 Depth=3
	s_or_saveexec_b32 s14, s14
	v_bfrev_b32_e32 v9, 1
	s_xor_b32 exec_lo, exec_lo, s14
	s_cbranch_execz .LBB2_4068
.LBB2_4274:                             ;   in Loop: Header=BB2_3706 Depth=3
	v_cmp_ne_u16_e64 s13, 0, v12
	v_mov_b32_e32 v9, 0
	s_and_not1_b32 s43, s43, exec_lo
	s_and_b32 s13, s13, exec_lo
	s_delay_alu instid0(SALU_CYCLE_1)
	s_or_b32 s43, s43, s13
	s_or_b32 exec_lo, exec_lo, s14
	s_and_saveexec_b32 s14, s43
	s_cbranch_execnz .LBB2_4069
	s_branch .LBB2_4070
.LBB2_4275:                             ;   in Loop: Header=BB2_3706 Depth=3
	s_or_saveexec_b32 s14, s14
	v_bfrev_b32_e32 v13, 1
	s_xor_b32 exec_lo, exec_lo, s14
	s_cbranch_execz .LBB2_4134
.LBB2_4276:                             ;   in Loop: Header=BB2_3706 Depth=3
	v_cmp_ne_u16_e64 s13, 0, v9
	v_mov_b32_e32 v13, 0
	s_and_not1_b32 s43, s43, exec_lo
	s_and_b32 s13, s13, exec_lo
	s_delay_alu instid0(SALU_CYCLE_1)
	s_or_b32 s43, s43, s13
	s_or_b32 exec_lo, exec_lo, s14
	v_mov_b32_e32 v9, v3
	s_and_saveexec_b32 s14, s43
	s_cbranch_execnz .LBB2_4135
	s_branch .LBB2_4136
.LBB2_4277:                             ;   in Loop: Header=BB2_3706 Depth=3
	s_or_saveexec_b32 s14, s14
	v_bfrev_b32_e32 v12, 1
	s_xor_b32 exec_lo, exec_lo, s14
	s_cbranch_execz .LBB2_4170
.LBB2_4278:                             ;   in Loop: Header=BB2_3706 Depth=3
	v_cmp_ne_u16_e64 s13, 0, v2
	v_mov_b32_e32 v12, 0
	s_and_not1_b32 s43, s43, exec_lo
	s_and_b32 s13, s13, exec_lo
	s_delay_alu instid0(SALU_CYCLE_1)
	s_or_b32 s43, s43, s13
	s_or_b32 exec_lo, exec_lo, s14
	s_and_saveexec_b32 s14, s43
	s_cbranch_execnz .LBB2_4171
	s_branch .LBB2_4172
.LBB2_4279:                             ;   in Loop: Header=BB2_3706 Depth=3
	s_or_saveexec_b32 s14, s14
	v_bfrev_b32_e32 v9, 1
	s_xor_b32 exec_lo, exec_lo, s14
	s_cbranch_execz .LBB2_4206
.LBB2_4280:                             ;   in Loop: Header=BB2_3706 Depth=3
	v_cmp_ne_u16_e64 s13, 0, v12
	v_mov_b32_e32 v9, 0
	s_and_not1_b32 s43, s43, exec_lo
	s_and_b32 s13, s13, exec_lo
	s_delay_alu instid0(SALU_CYCLE_1)
	s_or_b32 s43, s43, s13
	s_or_b32 exec_lo, exec_lo, s14
	s_and_saveexec_b32 s14, s43
	s_cbranch_execnz .LBB2_4207
	s_branch .LBB2_4208
.LBB2_4281:                             ;   in Loop: Header=BB2_2043 Depth=2
	s_or_b32 exec_lo, exec_lo, s42
.LBB2_4282:                             ;   in Loop: Header=BB2_2043 Depth=2
	s_delay_alu instid0(SALU_CYCLE_1) | instskip(SKIP_3) | instid1(VALU_DEP_1)
	s_or_b32 exec_lo, exec_lo, s15
	v_dual_mov_b32 v92, 0 :: v_dual_bitop2_b32 v8, 15, v113 bitop3:0x40
	s_mov_b32 s42, 0
	s_mov_b32 s15, exec_lo
                                        ; implicit-def: $vgpr93
                                        ; implicit-def: $vgpr94
                                        ; implicit-def: $vgpr2
	v_cndmask_b32_e32 v115, v63, v8, vcc_lo
	s_delay_alu instid0(VALU_DEP_1)
	v_cmpx_ne_u32_e32 0, v115
	s_cbranch_execz .LBB2_4866
; %bb.4283:                             ;   in Loop: Header=BB2_2043 Depth=2
	v_cmp_lt_i32_e64 s13, 0, v72
	s_mov_b32 s42, exec_lo
	v_dual_ashrrev_i32 v10, 31, v115 :: v_dual_sub_nc_u32 v8, v63, v8
	s_delay_alu instid0(VALU_DEP_1) | instskip(NEXT) | instid1(VALU_DEP_1)
	v_dual_cndmask_b32 v2, 0, v36, s13 :: v_dual_lshrrev_b32 v10, 23, v10
	v_sub_nc_u32_e32 v2, v2, v72
	s_delay_alu instid0(VALU_DEP_1) | instskip(NEXT) | instid1(VALU_DEP_1)
	v_lshl_add_u32 v2, v2, 5, v121
	v_ashrrev_i32_e32 v9, 31, v2
	s_delay_alu instid0(VALU_DEP_1) | instskip(NEXT) | instid1(VALU_DEP_1)
	v_lshrrev_b32_e32 v9, 27, v9
	v_dual_add_nc_u32 v9, v2, v9 :: v_dual_add_nc_u32 v10, v115, v10
	s_delay_alu instid0(VALU_DEP_1) | instskip(SKIP_1) | instid1(VALU_DEP_3)
	v_and_b32_e32 v11, 0xffffffe0, v9
	v_ashrrev_i32_e32 v9, 5, v9
	v_and_b32_e32 v72, 0xfffffe00, v10
	s_delay_alu instid0(VALU_DEP_3) | instskip(NEXT) | instid1(VALU_DEP_1)
	v_dual_ashrrev_i32 v10, 9, v10 :: v_dual_sub_nc_u32 v73, v2, v11
	v_dual_sub_nc_u32 v63, v115, v72 :: v_dual_lshlrev_b32 v2, 4, v73
	s_delay_alu instid0(VALU_DEP_1) | instskip(SKIP_1) | instid1(VALU_DEP_3)
	v_lshl_add_u32 v2, v9, 9, v2
	v_cndmask_b32_e32 v8, 0, v8, vcc_lo
	v_cmp_lt_i32_e32 vcc_lo, 15, v63
	s_delay_alu instid0(VALU_DEP_3) | instskip(SKIP_1) | instid1(VALU_DEP_1)
	v_sub_nc_u32_e32 v75, v115, v2
	v_add_co_ci_u32_e64 v10, null, 0, v10, vcc_lo
	v_dual_add_nc_u32 v62, v8, v62 :: v_dual_sub_nc_u32 v74, v10, v9
	s_delay_alu instid0(VALU_DEP_3)
	v_cmpx_lt_i32_e32 15, v75
	s_cbranch_execz .LBB2_4863
; %bb.4284:                             ;   in Loop: Header=BB2_2043 Depth=2
	s_trap 2
	ds_load_b64 v[8:9], v0
	v_add_nc_u32_e32 v10, v2, v62
	s_mov_b32 s43, 0
	s_delay_alu instid0(VALU_DEP_1) | instskip(NEXT) | instid1(VALU_DEP_1)
	v_ashrrev_i32_e32 v11, 31, v10
	v_add_nc_u64_e32 v[42:43], v[10:11], v[118:119]
	v_add_nc_u64_e32 v[46:47], v[10:11], v[40:41]
	s_wait_dscnt 0x0
	v_add_nc_u64_e32 v[44:45], v[8:9], v[10:11]
	s_branch .LBB2_4287
.LBB2_4285:                             ;   in Loop: Header=BB2_4287 Depth=3
	s_or_b32 exec_lo, exec_lo, s72
.LBB2_4286:                             ;   in Loop: Header=BB2_4287 Depth=3
	s_delay_alu instid0(SALU_CYCLE_1)
	s_or_b32 exec_lo, exec_lo, s14
	v_lshl_or_b32 v2, v61, 8, v60
	v_dual_lshlrev_b32 v9, 16, v58 :: v_dual_lshlrev_b32 v14, 24, v79
	v_dual_lshlrev_b32 v10, 24, v18 :: v_dual_lshlrev_b32 v18, 16, v88
	v_lshl_or_b32 v11, v77, 8, v76
	v_lshlrev_b32_e32 v13, 16, v78
	v_lshl_or_b32 v15, v59, 8, v19
	v_dual_lshlrev_b32 v19, 24, v89 :: v_dual_lshlrev_b32 v20, 24, v8
	v_dual_sub_nc_u32 v75, v75, v66 :: v_dual_lshlrev_b32 v12, 16, v12
	v_lshl_or_b32 v21, v57, 8, v56
	v_or3_b32 v9, v2, v9, v10
	v_or3_b32 v8, v11, v13, v14
	;; [unrolled: 1-line block ×3, first 2 shown]
	v_add_nc_u64_e32 v[42:43], v[42:43], v[66:67]
	v_or3_b32 v11, v21, v12, v20
	v_add_nc_u64_e32 v[44:45], v[44:45], v[66:67]
	v_cmp_gt_i32_e64 s13, 16, v75
	v_sub_nc_u32_e32 v74, v74, v36
	global_store_b128 v[46:47], v[8:11], off th:TH_STORE_NT
	s_wait_xcnt 0x0
	v_add_nc_u64_e32 v[46:47], v[46:47], v[66:67]
	s_or_b32 s43, s13, s43
	s_delay_alu instid0(SALU_CYCLE_1)
	s_and_not1_b32 exec_lo, exec_lo, s43
	s_cbranch_execz .LBB2_4862
.LBB2_4287:                             ;   Parent Loop BB2_47 Depth=1
                                        ;     Parent Loop BB2_2043 Depth=2
                                        ; =>    This Inner Loop Header: Depth=3
	global_load_b128 v[12:15], v[42:43], off th:TH_LOAD_NT
	global_load_b128 v[8:11], v[44:45], off th:TH_LOAD_NT
	s_wait_loadcnt 0x1
	v_and_b32_e32 v2, 0xff, v12
	s_delay_alu instid0(VALU_DEP_1)
	v_cmp_ne_u16_e64 s13, 0, v2
	v_mov_b32_e32 v2, 0
	s_wait_xcnt 0x0
	s_and_saveexec_b32 s14, s13
	s_cbranch_execz .LBB2_4297
; %bb.4288:                             ;   in Loop: Header=BB2_4287 Depth=3
	v_bfe_i32 v19, v12, 0, 8
	v_bfrev_b32_e32 v2, 1
	s_mov_b32 s72, exec_lo
	s_delay_alu instid0(VALU_DEP_2)
	v_cmpx_ne_u16_e32 0xff80, v19
	s_cbranch_execz .LBB2_4296
; %bb.4289:                             ;   in Loop: Header=BB2_4287 Depth=3
	v_and_b32_e32 v2, 0x7c, v12
	v_and_b32_e32 v18, 3, v12
	s_delay_alu instid0(VALU_DEP_2) | instskip(SKIP_1) | instid1(SALU_CYCLE_1)
	v_cmp_ne_u32_e64 s13, 0x7c, v2
                                        ; implicit-def: $vgpr2
	s_and_saveexec_b32 s73, s13
	s_xor_b32 s73, exec_lo, s73
	s_cbranch_execz .LBB2_4293
; %bb.4290:                             ;   in Loop: Header=BB2_4287 Depth=3
	v_bfe_u32 v2, v12, 2, 5
	s_mov_b32 s74, exec_lo
	s_delay_alu instid0(VALU_DEP_1)
	v_cmpx_eq_u32_e32 0, v2
; %bb.4291:                             ;   in Loop: Header=BB2_4287 Depth=3
	v_clz_i32_u32_e32 v2, v18
	s_delay_alu instid0(VALU_DEP_1) | instskip(NEXT) | instid1(VALU_DEP_1)
	v_min_u32_e32 v2, 32, v2
	v_subrev_nc_u32_e32 v18, 29, v2
	v_sub_nc_u32_e32 v2, 30, v2
	s_delay_alu instid0(VALU_DEP_2) | instskip(NEXT) | instid1(VALU_DEP_1)
	v_lshlrev_b64_e32 v[18:19], v18, v[12:13]
	v_and_b32_e32 v18, 3, v18
; %bb.4292:                             ;   in Loop: Header=BB2_4287 Depth=3
	s_or_b32 exec_lo, exec_lo, s74
	v_lshlrev_b32_e32 v19, 24, v12
	s_delay_alu instid0(VALU_DEP_1) | instskip(NEXT) | instid1(VALU_DEP_1)
	v_and_b32_e32 v19, 0x80000000, v19
	v_lshl_add_u32 v2, v2, 23, v19
                                        ; implicit-def: $vgpr19
	s_delay_alu instid0(VALU_DEP_1) | instskip(NEXT) | instid1(VALU_DEP_1)
	v_lshl_or_b32 v2, v18, 21, v2
                                        ; implicit-def: $vgpr18
	v_add_nc_u32_e32 v2, 0x38000000, v2
.LBB2_4293:                             ;   in Loop: Header=BB2_4287 Depth=3
	s_and_not1_saveexec_b32 s73, s73
; %bb.4294:                             ;   in Loop: Header=BB2_4287 Depth=3
	v_cmp_lt_i16_e64 s13, -1, v19
	s_delay_alu instid0(VALU_DEP_1) | instskip(SKIP_1) | instid1(VALU_DEP_1)
	v_cndmask_b32_e64 v2, 0xff800000, v109, s13
	v_cmp_eq_u32_e64 s13, 0, v18
	v_cndmask_b32_e64 v2, 0x7f800001, v2, s13
; %bb.4295:                             ;   in Loop: Header=BB2_4287 Depth=3
	s_or_b32 exec_lo, exec_lo, s73
.LBB2_4296:                             ;   in Loop: Header=BB2_4287 Depth=3
	s_delay_alu instid0(SALU_CYCLE_1)
	s_or_b32 exec_lo, exec_lo, s72
.LBB2_4297:                             ;   in Loop: Header=BB2_4287 Depth=3
	s_delay_alu instid0(SALU_CYCLE_1) | instskip(SKIP_4) | instid1(VALU_DEP_1)
	s_or_b32 exec_lo, exec_lo, s14
	s_wait_loadcnt 0x0
	v_and_b32_e32 v19, 0xff, v8
	s_mov_b32 s72, 0
	s_mov_b32 s14, exec_lo
	v_cmpx_lt_i16_e32 0x7f, v19
	s_xor_b32 s14, exec_lo, s14
	s_cbranch_execz .LBB2_4838
; %bb.4298:                             ;   in Loop: Header=BB2_4287 Depth=3
	s_mov_b32 s72, -1
	s_mov_b32 s73, exec_lo
	v_cmpx_eq_u16_e32 0x80, v19
; %bb.4299:                             ;   in Loop: Header=BB2_4287 Depth=3
	s_xor_b32 s72, exec_lo, -1
; %bb.4300:                             ;   in Loop: Header=BB2_4287 Depth=3
	s_or_b32 exec_lo, exec_lo, s73
	s_delay_alu instid0(SALU_CYCLE_1)
	s_and_b32 s72, s72, exec_lo
                                        ; implicit-def: $vgpr19
	s_or_saveexec_b32 s14, s14
	v_bfrev_b32_e32 v18, 1
	s_xor_b32 exec_lo, exec_lo, s14
	s_cbranch_execnz .LBB2_4839
.LBB2_4301:                             ;   in Loop: Header=BB2_4287 Depth=3
	s_or_b32 exec_lo, exec_lo, s14
	s_and_saveexec_b32 s14, s72
	s_cbranch_execz .LBB2_4303
.LBB2_4302:                             ;   in Loop: Header=BB2_4287 Depth=3
	v_and_b32_e32 v20, 3, v8
	v_bfe_u32 v56, v8, 2, 5
	s_delay_alu instid0(VALU_DEP_2) | instskip(NEXT) | instid1(VALU_DEP_2)
	v_clz_i32_u32_e32 v18, v20
	v_cmp_eq_u32_e64 s13, 0, v56
	s_delay_alu instid0(VALU_DEP_2) | instskip(NEXT) | instid1(VALU_DEP_1)
	v_min_u32_e32 v21, 32, v18
	v_subrev_nc_u32_e32 v18, 29, v21
	s_delay_alu instid0(VALU_DEP_1) | instskip(SKIP_1) | instid1(VALU_DEP_1)
	v_lshlrev_b64_e32 v[18:19], v18, v[8:9]
	v_dual_lshlrev_b32 v19, 24, v8 :: v_dual_sub_nc_u32 v21, 30, v21
	v_and_b32_e32 v19, 0x80000000, v19
	s_delay_alu instid0(VALU_DEP_2) | instskip(SKIP_1) | instid1(VALU_DEP_2)
	v_dual_cndmask_b32 v21, v56, v21, s13 :: v_dual_bitop2_b32 v18, 3, v18 bitop3:0x40
	v_bfe_i32 v56, v8, 0, 8
	v_cndmask_b32_e64 v18, v20, v18, s13
	s_delay_alu instid0(VALU_DEP_3) | instskip(NEXT) | instid1(VALU_DEP_3)
	v_lshl_add_u32 v19, v21, 23, v19
	v_cmp_lt_i16_e64 s13, -1, v56
	s_delay_alu instid0(VALU_DEP_2) | instskip(NEXT) | instid1(VALU_DEP_2)
	v_lshl_or_b32 v18, v18, 21, v19
	v_cndmask_b32_e64 v21, 0xff800000, v109, s13
	v_and_b32_e32 v19, 0x7c, v8
	v_cmp_eq_u32_e64 s13, 0, v20
	s_delay_alu instid0(VALU_DEP_4) | instskip(NEXT) | instid1(VALU_DEP_2)
	v_add_nc_u32_e32 v18, 0x38000000, v18
	v_cndmask_b32_e64 v20, 0x7f800001, v21, s13
	s_delay_alu instid0(VALU_DEP_4) | instskip(NEXT) | instid1(VALU_DEP_1)
	v_cmp_eq_u32_e64 s13, 0x7c, v19
	v_cndmask_b32_e64 v18, v18, v20, s13
.LBB2_4303:                             ;   in Loop: Header=BB2_4287 Depth=3
	s_or_b32 exec_lo, exec_lo, s14
	s_delay_alu instid0(VALU_DEP_1) | instskip(SKIP_1) | instid1(VALU_DEP_1)
	v_dual_mul_f32 v19, v2, v18 :: v_dual_mov_b32 v57, v3
                                        ; implicit-def: $vgpr76
	s_mov_b32 s14, exec_lo
	v_and_b32_e32 v56, 0x7f800000, v19
	v_and_b32_e32 v2, 0x7fffff, v19
	v_lshrrev_b32_e32 v18, 24, v19
	s_delay_alu instid0(VALU_DEP_3)
	v_cmpx_ne_u64_e32 0x7f800000, v[56:57]
	s_xor_b32 s72, exec_lo, s14
	s_cbranch_execz .LBB2_4317
; %bb.4304:                             ;   in Loop: Header=BB2_4287 Depth=3
	v_and_b32_e32 v56, 0x7fffffff, v19
	v_mov_b32_e32 v57, v3
	v_and_b32_e32 v18, 0x80, v18
                                        ; implicit-def: $vgpr76
	s_mov_b32 s14, exec_lo
	s_delay_alu instid0(VALU_DEP_2)
	v_cmpx_gt_u64_e32 0x47600001, v[56:57]
	s_xor_b32 s73, exec_lo, s14
	s_cbranch_execz .LBB2_4314
; %bb.4305:                             ;   in Loop: Header=BB2_4287 Depth=3
	v_mov_b32_e32 v76, 0
	s_mov_b32 s74, exec_lo
	v_cmpx_ne_u32_e32 0, v19
	s_cbranch_execz .LBB2_4313
; %bb.4306:                             ;   in Loop: Header=BB2_4287 Depth=3
	v_bfe_u32 v19, v19, 23, 8
	v_or_b32_e32 v21, 0x800000, v2
	s_delay_alu instid0(VALU_DEP_2) | instskip(SKIP_1) | instid1(VALU_DEP_1)
	v_sub_nc_u32_e32 v20, 0x71, v19
	v_cmp_gt_u32_e64 s13, 0x72, v19
	v_cndmask_b32_e64 v20, 0, v20, s13
	v_cmp_eq_u32_e64 s13, 0, v19
	s_delay_alu instid0(VALU_DEP_1) | instskip(NEXT) | instid1(VALU_DEP_3)
	v_cndmask_b32_e64 v2, v21, v2, s13
	v_cndmask_b32_e64 v60, v20, 0x70, s13
	s_delay_alu instid0(VALU_DEP_1) | instskip(NEXT) | instid1(VALU_DEP_1)
	v_add_nc_u32_e32 v20, 21, v60
	v_lshlrev_b64_e64 v[56:57], v20, -1
	v_add_nc_u32_e32 v20, 20, v60
	s_delay_alu instid0(VALU_DEP_1) | instskip(NEXT) | instid1(VALU_DEP_3)
	v_lshlrev_b64_e64 v[58:59], v20, 1
	v_bfi_b32 v77, v57, 0, 0
	s_delay_alu instid0(VALU_DEP_4) | instskip(SKIP_1) | instid1(VALU_DEP_2)
	v_bfi_b32 v76, v56, 0, v2
	v_lshrrev_b64 v[56:57], v60, v[2:3]
	v_cmp_eq_u64_e64 s14, v[76:77], v[58:59]
	s_delay_alu instid0(VALU_DEP_2)
	v_mov_b64_e32 v[58:59], v[56:57]
	s_and_saveexec_b32 s75, s14
; %bb.4307:                             ;   in Loop: Header=BB2_4287 Depth=3
	v_bfe_u32 v2, v56, 21, 1
	s_delay_alu instid0(VALU_DEP_1) | instskip(NEXT) | instid1(VALU_DEP_1)
	v_add_nc_u64_e32 v[58:59], v[56:57], v[2:3]
	v_add_nc_u64_e32 v[58:59], -1, v[58:59]
; %bb.4308:                             ;   in Loop: Header=BB2_4287 Depth=3
	s_or_b32 exec_lo, exec_lo, s75
	v_add_nc_u32_e32 v2, 0xffffff81, v19
	v_lshrrev_b32_e32 v19, 23, v56
	s_mov_b32 s14, exec_lo
	s_delay_alu instid0(VALU_DEP_2) | instskip(NEXT) | instid1(VALU_DEP_1)
	v_cndmask_b32_e64 v2, v2, 0xffffff82, s13
	v_add3_u32 v59, v60, v2, v19
	v_and_b32_e32 v2, 0x1fffff, v58
                                        ; implicit-def: $vgpr19
	s_delay_alu instid0(VALU_DEP_1) | instskip(NEXT) | instid1(VALU_DEP_1)
	v_dual_add_nc_u32 v58, 14, v59 :: v_dual_add_nc_u32 v2, v2, v56
                                        ; implicit-def: $vgpr56_vgpr57
	v_cmpx_ne_u32_e32 0, v58
	s_xor_b32 s14, exec_lo, s14
; %bb.4309:                             ;   in Loop: Header=BB2_4287 Depth=3
	s_delay_alu instid0(VALU_DEP_2) | instskip(SKIP_1) | instid1(VALU_DEP_2)
	v_cmp_lt_u64_e64 s13, 0xffffff, v[2:3]
	v_add_nc_u32_e32 v19, 15, v59
	v_cndmask_b32_e64 v20, 0, 1, s13
	s_delay_alu instid0(VALU_DEP_2) | instskip(NEXT) | instid1(VALU_DEP_2)
	v_cndmask_b32_e64 v19, v58, v19, s13
	v_lshrrev_b64 v[56:57], v20, v[2:3]
; %bb.4310:                             ;   in Loop: Header=BB2_4287 Depth=3
	s_and_not1_saveexec_b32 s13, s14
; %bb.4311:                             ;   in Loop: Header=BB2_4287 Depth=3
	v_mov_b64_e32 v[56:57], v[2:3]
	v_bfe_u32 v19, v2, 23, 1
; %bb.4312:                             ;   in Loop: Header=BB2_4287 Depth=3
	s_or_b32 exec_lo, exec_lo, s13
	s_delay_alu instid0(VALU_DEP_2) | instskip(NEXT) | instid1(VALU_DEP_2)
	v_lshrrev_b64 v[56:57], 21, v[56:57]
	v_cmp_gt_i32_e64 s13, 32, v19
	v_min_i32_e32 v2, 31, v19
	v_cmp_eq_u32_e64 s14, 0, v19
	s_delay_alu instid0(VALU_DEP_2) | instskip(SKIP_1) | instid1(VALU_DEP_2)
	v_dual_cndmask_b32 v57, 0, v57, s13 :: v_dual_lshlrev_b32 v2, 2, v2
	v_cndmask_b32_e64 v56, 3, v56, s13
	v_and_b32_e32 v2, 0xfc, v2
	s_delay_alu instid0(VALU_DEP_2) | instskip(NEXT) | instid1(VALU_DEP_2)
	v_cmp_eq_u64_e64 s13, 0, v[56:57]
	v_and_or_b32 v2, v56, 3, v2
	s_and_b32 s13, s14, s13
	s_delay_alu instid0(VALU_DEP_1) | instid1(SALU_CYCLE_1)
	v_cndmask_b32_e64 v2, v2, 0, s13
	s_delay_alu instid0(VALU_DEP_1)
	v_or_b32_e32 v76, v2, v18
.LBB2_4313:                             ;   in Loop: Header=BB2_4287 Depth=3
	s_or_b32 exec_lo, exec_lo, s74
                                        ; implicit-def: $vgpr18
.LBB2_4314:                             ;   in Loop: Header=BB2_4287 Depth=3
	s_and_not1_saveexec_b32 s13, s73
; %bb.4315:                             ;   in Loop: Header=BB2_4287 Depth=3
	v_or_b32_e32 v76, 0x7b, v18
; %bb.4316:                             ;   in Loop: Header=BB2_4287 Depth=3
	s_or_b32 exec_lo, exec_lo, s13
                                        ; implicit-def: $vgpr19
                                        ; implicit-def: $vgpr18
.LBB2_4317:                             ;   in Loop: Header=BB2_4287 Depth=3
	s_and_not1_saveexec_b32 s14, s72
	s_cbranch_execz .LBB2_4323
; %bb.4318:                             ;   in Loop: Header=BB2_4287 Depth=3
	v_cmp_ne_u64_e64 s13, 0, v[2:3]
                                        ; implicit-def: $vgpr76
	s_and_saveexec_b32 s72, s13
	s_delay_alu instid0(SALU_CYCLE_1)
	s_xor_b32 s13, exec_lo, s72
; %bb.4319:                             ;   in Loop: Header=BB2_4287 Depth=3
	v_or_b32_e32 v76, 0x7f, v18
                                        ; implicit-def: $vgpr19
; %bb.4320:                             ;   in Loop: Header=BB2_4287 Depth=3
	s_and_not1_saveexec_b32 s72, s13
; %bb.4321:                             ;   in Loop: Header=BB2_4287 Depth=3
	v_cmp_lt_i32_e64 s13, -1, v19
	s_delay_alu instid0(VALU_DEP_1)
	v_cndmask_b32_e64 v76, 0xfc, v110, s13
; %bb.4322:                             ;   in Loop: Header=BB2_4287 Depth=3
	s_or_b32 exec_lo, exec_lo, s72
.LBB2_4323:                             ;   in Loop: Header=BB2_4287 Depth=3
	s_delay_alu instid0(SALU_CYCLE_1) | instskip(SKIP_3) | instid1(VALU_DEP_2)
	s_or_b32 exec_lo, exec_lo, s14
	v_lshrrev_b16 v2, 8, v12
	v_mov_b32_e32 v18, 0
	s_mov_b32 s14, exec_lo
	v_cmpx_ne_u16_e32 0, v2
	s_cbranch_execz .LBB2_4333
; %bb.4324:                             ;   in Loop: Header=BB2_4287 Depth=3
	v_bfrev_b32_e32 v18, 1
	s_mov_b32 s72, exec_lo
	v_cmpx_ne_u16_e32 0x80, v2
	s_cbranch_execz .LBB2_4332
; %bb.4325:                             ;   in Loop: Header=BB2_4287 Depth=3
	v_and_b32_e32 v56, 0xffff, v2
	s_delay_alu instid0(VALU_DEP_1) | instskip(SKIP_1) | instid1(VALU_DEP_2)
	v_and_b32_e32 v18, 0x7c, v56
	v_and_b32_e32 v19, 3, v56
	v_cmp_ne_u32_e64 s13, 0x7c, v18
                                        ; implicit-def: $vgpr18
	s_and_saveexec_b32 s73, s13
	s_delay_alu instid0(SALU_CYCLE_1)
	s_xor_b32 s73, exec_lo, s73
	s_cbranch_execz .LBB2_4329
; %bb.4326:                             ;   in Loop: Header=BB2_4287 Depth=3
	v_bfe_u32 v18, v56, 2, 5
	s_mov_b32 s74, exec_lo
	s_delay_alu instid0(VALU_DEP_1)
	v_cmpx_eq_u32_e32 0, v18
; %bb.4327:                             ;   in Loop: Header=BB2_4287 Depth=3
	v_clz_i32_u32_e32 v18, v19
	s_delay_alu instid0(VALU_DEP_1) | instskip(NEXT) | instid1(VALU_DEP_1)
	v_min_u32_e32 v18, 32, v18
	v_subrev_nc_u32_e32 v19, 29, v18
	s_delay_alu instid0(VALU_DEP_1) | instskip(NEXT) | instid1(VALU_DEP_1)
	v_lshlrev_b64_e32 v[56:57], v19, v[2:3]
	v_dual_sub_nc_u32 v18, 30, v18 :: v_dual_bitop2_b32 v19, 3, v56 bitop3:0x40
; %bb.4328:                             ;   in Loop: Header=BB2_4287 Depth=3
	s_or_b32 exec_lo, exec_lo, s74
	v_lshlrev_b32_e32 v2, 16, v12
	s_delay_alu instid0(VALU_DEP_1) | instskip(NEXT) | instid1(VALU_DEP_1)
	v_and_b32_e32 v2, 0x80000000, v2
	v_lshl_add_u32 v2, v18, 23, v2
	s_delay_alu instid0(VALU_DEP_1) | instskip(NEXT) | instid1(VALU_DEP_1)
	v_lshl_or_b32 v2, v19, 21, v2
                                        ; implicit-def: $vgpr19
	v_add_nc_u32_e32 v18, 0x38000000, v2
.LBB2_4329:                             ;   in Loop: Header=BB2_4287 Depth=3
	s_and_not1_saveexec_b32 s73, s73
; %bb.4330:                             ;   in Loop: Header=BB2_4287 Depth=3
	v_cmp_lt_i16_e64 s13, -1, v12
	s_delay_alu instid0(VALU_DEP_1) | instskip(SKIP_1) | instid1(VALU_DEP_1)
	v_cndmask_b32_e64 v2, 0xff800000, v109, s13
	v_cmp_eq_u32_e64 s13, 0, v19
	v_cndmask_b32_e64 v18, 0x7f800001, v2, s13
; %bb.4331:                             ;   in Loop: Header=BB2_4287 Depth=3
	s_or_b32 exec_lo, exec_lo, s73
.LBB2_4332:                             ;   in Loop: Header=BB2_4287 Depth=3
	s_delay_alu instid0(SALU_CYCLE_1)
	s_or_b32 exec_lo, exec_lo, s72
.LBB2_4333:                             ;   in Loop: Header=BB2_4287 Depth=3
	s_delay_alu instid0(SALU_CYCLE_1) | instskip(SKIP_3) | instid1(VALU_DEP_1)
	s_or_b32 exec_lo, exec_lo, s14
	v_lshrrev_b16 v2, 8, v8
	s_mov_b32 s72, 0
	s_mov_b32 s14, exec_lo
	v_cmpx_lt_i16_e32 0x7f, v2
	s_xor_b32 s14, exec_lo, s14
	s_cbranch_execz .LBB2_4840
; %bb.4334:                             ;   in Loop: Header=BB2_4287 Depth=3
	s_mov_b32 s72, -1
	s_mov_b32 s73, exec_lo
	v_cmpx_eq_u16_e32 0x80, v2
; %bb.4335:                             ;   in Loop: Header=BB2_4287 Depth=3
	s_xor_b32 s72, exec_lo, -1
; %bb.4336:                             ;   in Loop: Header=BB2_4287 Depth=3
	s_or_b32 exec_lo, exec_lo, s73
	s_delay_alu instid0(SALU_CYCLE_1)
	s_and_b32 s72, s72, exec_lo
	s_or_saveexec_b32 s14, s14
	v_bfrev_b32_e32 v19, 1
	s_xor_b32 exec_lo, exec_lo, s14
	s_cbranch_execnz .LBB2_4841
.LBB2_4337:                             ;   in Loop: Header=BB2_4287 Depth=3
	s_or_b32 exec_lo, exec_lo, s14
	s_and_saveexec_b32 s14, s72
	s_cbranch_execz .LBB2_4339
.LBB2_4338:                             ;   in Loop: Header=BB2_4287 Depth=3
	v_and_b32_e32 v19, 0xffff, v2
	s_delay_alu instid0(VALU_DEP_1) | instskip(NEXT) | instid1(VALU_DEP_1)
	v_and_b32_e32 v20, 3, v19
	v_clz_i32_u32_e32 v21, v20
	s_delay_alu instid0(VALU_DEP_1) | instskip(NEXT) | instid1(VALU_DEP_1)
	v_min_u32_e32 v21, 32, v21
	v_subrev_nc_u32_e32 v56, 29, v21
	s_delay_alu instid0(VALU_DEP_1) | instskip(SKIP_3) | instid1(VALU_DEP_3)
	v_lshlrev_b64_e32 v[56:57], v56, v[2:3]
	v_bfe_u32 v57, v19, 2, 5
	v_dual_lshlrev_b32 v2, 24, v2 :: v_dual_sub_nc_u32 v21, 30, v21
	v_and_b32_e32 v19, 0x7c, v19
	v_cmp_eq_u32_e64 s13, 0, v57
	s_delay_alu instid0(VALU_DEP_3) | instskip(NEXT) | instid1(VALU_DEP_2)
	v_and_b32_e32 v2, 0x80000000, v2
	v_dual_cndmask_b32 v21, v57, v21, s13 :: v_dual_bitop2_b32 v56, 3, v56 bitop3:0x40
	s_delay_alu instid0(VALU_DEP_1) | instskip(SKIP_1) | instid1(VALU_DEP_3)
	v_cndmask_b32_e64 v56, v20, v56, s13
	v_cmp_lt_i16_e64 s13, -1, v8
	v_lshl_add_u32 v2, v21, 23, v2
	s_delay_alu instid0(VALU_DEP_2) | instskip(SKIP_1) | instid1(VALU_DEP_3)
	v_cndmask_b32_e64 v21, 0xff800000, v109, s13
	v_cmp_eq_u32_e64 s13, 0, v20
	v_lshl_or_b32 v2, v56, 21, v2
	s_delay_alu instid0(VALU_DEP_2) | instskip(NEXT) | instid1(VALU_DEP_2)
	v_cndmask_b32_e64 v20, 0x7f800001, v21, s13
	v_add_nc_u32_e32 v2, 0x38000000, v2
	v_cmp_eq_u32_e64 s13, 0x7c, v19
	s_delay_alu instid0(VALU_DEP_1)
	v_cndmask_b32_e64 v19, v2, v20, s13
.LBB2_4339:                             ;   in Loop: Header=BB2_4287 Depth=3
	s_or_b32 exec_lo, exec_lo, s14
	s_delay_alu instid0(VALU_DEP_1) | instskip(SKIP_1) | instid1(VALU_DEP_1)
	v_dual_mul_f32 v19, v18, v19 :: v_dual_mov_b32 v57, v3
                                        ; implicit-def: $vgpr77
	s_mov_b32 s14, exec_lo
	v_and_b32_e32 v56, 0x7f800000, v19
	v_and_b32_e32 v2, 0x7fffff, v19
	v_lshrrev_b32_e32 v18, 24, v19
	s_delay_alu instid0(VALU_DEP_3)
	v_cmpx_ne_u64_e32 0x7f800000, v[56:57]
	s_xor_b32 s72, exec_lo, s14
	s_cbranch_execz .LBB2_4353
; %bb.4340:                             ;   in Loop: Header=BB2_4287 Depth=3
	v_and_b32_e32 v56, 0x7fffffff, v19
	v_mov_b32_e32 v57, v3
	v_and_b32_e32 v18, 0x80, v18
                                        ; implicit-def: $vgpr77
	s_mov_b32 s14, exec_lo
	s_delay_alu instid0(VALU_DEP_2)
	v_cmpx_gt_u64_e32 0x47600001, v[56:57]
	s_xor_b32 s73, exec_lo, s14
	s_cbranch_execz .LBB2_4350
; %bb.4341:                             ;   in Loop: Header=BB2_4287 Depth=3
	v_mov_b32_e32 v77, 0
	s_mov_b32 s74, exec_lo
	v_cmpx_ne_u32_e32 0, v19
	s_cbranch_execz .LBB2_4349
; %bb.4342:                             ;   in Loop: Header=BB2_4287 Depth=3
	v_bfe_u32 v19, v19, 23, 8
	v_or_b32_e32 v21, 0x800000, v2
	s_delay_alu instid0(VALU_DEP_2) | instskip(SKIP_1) | instid1(VALU_DEP_1)
	v_sub_nc_u32_e32 v20, 0x71, v19
	v_cmp_gt_u32_e64 s13, 0x72, v19
	v_cndmask_b32_e64 v20, 0, v20, s13
	v_cmp_eq_u32_e64 s13, 0, v19
	s_delay_alu instid0(VALU_DEP_1) | instskip(NEXT) | instid1(VALU_DEP_3)
	v_cndmask_b32_e64 v2, v21, v2, s13
	v_cndmask_b32_e64 v60, v20, 0x70, s13
	s_delay_alu instid0(VALU_DEP_1) | instskip(NEXT) | instid1(VALU_DEP_1)
	v_add_nc_u32_e32 v20, 21, v60
	v_lshlrev_b64_e64 v[56:57], v20, -1
	v_add_nc_u32_e32 v20, 20, v60
	s_delay_alu instid0(VALU_DEP_1) | instskip(NEXT) | instid1(VALU_DEP_3)
	v_lshlrev_b64_e64 v[58:59], v20, 1
	v_bfi_b32 v79, v57, 0, 0
	s_delay_alu instid0(VALU_DEP_4) | instskip(SKIP_1) | instid1(VALU_DEP_2)
	v_bfi_b32 v78, v56, 0, v2
	v_lshrrev_b64 v[56:57], v60, v[2:3]
	v_cmp_eq_u64_e64 s14, v[78:79], v[58:59]
	s_delay_alu instid0(VALU_DEP_2)
	v_mov_b64_e32 v[58:59], v[56:57]
	s_and_saveexec_b32 s75, s14
; %bb.4343:                             ;   in Loop: Header=BB2_4287 Depth=3
	v_bfe_u32 v2, v56, 21, 1
	s_delay_alu instid0(VALU_DEP_1) | instskip(NEXT) | instid1(VALU_DEP_1)
	v_add_nc_u64_e32 v[58:59], v[56:57], v[2:3]
	v_add_nc_u64_e32 v[58:59], -1, v[58:59]
; %bb.4344:                             ;   in Loop: Header=BB2_4287 Depth=3
	s_or_b32 exec_lo, exec_lo, s75
	v_add_nc_u32_e32 v2, 0xffffff81, v19
	v_lshrrev_b32_e32 v19, 23, v56
	s_mov_b32 s14, exec_lo
	s_delay_alu instid0(VALU_DEP_2) | instskip(NEXT) | instid1(VALU_DEP_1)
	v_cndmask_b32_e64 v2, v2, 0xffffff82, s13
	v_add3_u32 v59, v60, v2, v19
	v_and_b32_e32 v2, 0x1fffff, v58
                                        ; implicit-def: $vgpr19
	s_delay_alu instid0(VALU_DEP_1) | instskip(NEXT) | instid1(VALU_DEP_1)
	v_dual_add_nc_u32 v58, 14, v59 :: v_dual_add_nc_u32 v2, v2, v56
                                        ; implicit-def: $vgpr56_vgpr57
	v_cmpx_ne_u32_e32 0, v58
	s_xor_b32 s14, exec_lo, s14
; %bb.4345:                             ;   in Loop: Header=BB2_4287 Depth=3
	s_delay_alu instid0(VALU_DEP_2) | instskip(SKIP_1) | instid1(VALU_DEP_2)
	v_cmp_lt_u64_e64 s13, 0xffffff, v[2:3]
	v_add_nc_u32_e32 v19, 15, v59
	v_cndmask_b32_e64 v20, 0, 1, s13
	s_delay_alu instid0(VALU_DEP_2) | instskip(NEXT) | instid1(VALU_DEP_2)
	v_cndmask_b32_e64 v19, v58, v19, s13
	v_lshrrev_b64 v[56:57], v20, v[2:3]
; %bb.4346:                             ;   in Loop: Header=BB2_4287 Depth=3
	s_and_not1_saveexec_b32 s13, s14
; %bb.4347:                             ;   in Loop: Header=BB2_4287 Depth=3
	v_mov_b64_e32 v[56:57], v[2:3]
	v_bfe_u32 v19, v2, 23, 1
; %bb.4348:                             ;   in Loop: Header=BB2_4287 Depth=3
	s_or_b32 exec_lo, exec_lo, s13
	s_delay_alu instid0(VALU_DEP_2) | instskip(NEXT) | instid1(VALU_DEP_2)
	v_lshrrev_b64 v[56:57], 21, v[56:57]
	v_cmp_gt_i32_e64 s13, 32, v19
	v_min_i32_e32 v2, 31, v19
	v_cmp_eq_u32_e64 s14, 0, v19
	s_delay_alu instid0(VALU_DEP_2) | instskip(SKIP_1) | instid1(VALU_DEP_2)
	v_dual_cndmask_b32 v57, 0, v57, s13 :: v_dual_lshlrev_b32 v2, 2, v2
	v_cndmask_b32_e64 v56, 3, v56, s13
	v_and_b32_e32 v2, 0xfc, v2
	s_delay_alu instid0(VALU_DEP_2) | instskip(NEXT) | instid1(VALU_DEP_2)
	v_cmp_eq_u64_e64 s13, 0, v[56:57]
	v_and_or_b32 v2, v56, 3, v2
	s_and_b32 s13, s14, s13
	s_delay_alu instid0(VALU_DEP_1) | instid1(SALU_CYCLE_1)
	v_cndmask_b32_e64 v2, v2, 0, s13
	s_delay_alu instid0(VALU_DEP_1)
	v_or_b32_e32 v77, v2, v18
.LBB2_4349:                             ;   in Loop: Header=BB2_4287 Depth=3
	s_or_b32 exec_lo, exec_lo, s74
                                        ; implicit-def: $vgpr18
.LBB2_4350:                             ;   in Loop: Header=BB2_4287 Depth=3
	s_and_not1_saveexec_b32 s13, s73
; %bb.4351:                             ;   in Loop: Header=BB2_4287 Depth=3
	v_or_b32_e32 v77, 0x7b, v18
; %bb.4352:                             ;   in Loop: Header=BB2_4287 Depth=3
	s_or_b32 exec_lo, exec_lo, s13
                                        ; implicit-def: $vgpr19
                                        ; implicit-def: $vgpr18
.LBB2_4353:                             ;   in Loop: Header=BB2_4287 Depth=3
	s_and_not1_saveexec_b32 s14, s72
	s_cbranch_execz .LBB2_4359
; %bb.4354:                             ;   in Loop: Header=BB2_4287 Depth=3
	v_cmp_ne_u64_e64 s13, 0, v[2:3]
                                        ; implicit-def: $vgpr77
	s_and_saveexec_b32 s72, s13
	s_delay_alu instid0(SALU_CYCLE_1)
	s_xor_b32 s13, exec_lo, s72
; %bb.4355:                             ;   in Loop: Header=BB2_4287 Depth=3
	v_or_b32_e32 v77, 0x7f, v18
                                        ; implicit-def: $vgpr19
; %bb.4356:                             ;   in Loop: Header=BB2_4287 Depth=3
	s_and_not1_saveexec_b32 s72, s13
; %bb.4357:                             ;   in Loop: Header=BB2_4287 Depth=3
	v_cmp_lt_i32_e64 s13, -1, v19
	s_delay_alu instid0(VALU_DEP_1)
	v_cndmask_b32_e64 v77, 0xfc, v110, s13
; %bb.4358:                             ;   in Loop: Header=BB2_4287 Depth=3
	s_or_b32 exec_lo, exec_lo, s72
.LBB2_4359:                             ;   in Loop: Header=BB2_4287 Depth=3
	s_delay_alu instid0(SALU_CYCLE_1) | instskip(SKIP_2) | instid1(VALU_DEP_1)
	s_or_b32 exec_lo, exec_lo, s14
	v_dual_lshrrev_b32 v2, 16, v12 :: v_dual_mov_b32 v18, 0
	s_mov_b32 s14, exec_lo
	v_and_b32_e32 v19, 0xff, v2
	s_delay_alu instid0(VALU_DEP_1)
	v_cmpx_ne_u16_e32 0, v19
	s_cbranch_execz .LBB2_4369
; %bb.4360:                             ;   in Loop: Header=BB2_4287 Depth=3
	v_bfrev_b32_e32 v18, 1
	s_mov_b32 s72, exec_lo
	v_cmpx_ne_u16_e32 0x80, v19
	s_cbranch_execz .LBB2_4368
; %bb.4361:                             ;   in Loop: Header=BB2_4287 Depth=3
	v_and_b32_e32 v18, 0x7c0000, v12
	v_bfe_u32 v19, v12, 16, 2
	s_delay_alu instid0(VALU_DEP_2) | instskip(SKIP_1) | instid1(SALU_CYCLE_1)
	v_cmp_ne_u32_e64 s13, 0x7c0000, v18
                                        ; implicit-def: $vgpr18
	s_and_saveexec_b32 s73, s13
	s_xor_b32 s73, exec_lo, s73
	s_cbranch_execz .LBB2_4365
; %bb.4362:                             ;   in Loop: Header=BB2_4287 Depth=3
	v_bfe_u32 v18, v12, 18, 5
	s_mov_b32 s74, exec_lo
	s_delay_alu instid0(VALU_DEP_1)
	v_cmpx_eq_u32_e32 0, v18
; %bb.4363:                             ;   in Loop: Header=BB2_4287 Depth=3
	v_clz_i32_u32_e32 v18, v19
	s_delay_alu instid0(VALU_DEP_1) | instskip(NEXT) | instid1(VALU_DEP_1)
	v_min_u32_e32 v18, 32, v18
	v_subrev_nc_u32_e32 v19, 29, v18
	s_delay_alu instid0(VALU_DEP_1) | instskip(NEXT) | instid1(VALU_DEP_1)
	v_lshlrev_b64_e32 v[56:57], v19, v[2:3]
	v_dual_sub_nc_u32 v18, 30, v18 :: v_dual_bitop2_b32 v19, 3, v56 bitop3:0x40
; %bb.4364:                             ;   in Loop: Header=BB2_4287 Depth=3
	s_or_b32 exec_lo, exec_lo, s74
	v_lshlrev_b32_e32 v2, 24, v2
	s_delay_alu instid0(VALU_DEP_1) | instskip(NEXT) | instid1(VALU_DEP_1)
	v_and_b32_e32 v2, 0x80000000, v2
	v_lshl_add_u32 v2, v18, 23, v2
	s_delay_alu instid0(VALU_DEP_1) | instskip(NEXT) | instid1(VALU_DEP_1)
	v_lshl_or_b32 v2, v19, 21, v2
                                        ; implicit-def: $vgpr19
	v_add_nc_u32_e32 v18, 0x38000000, v2
                                        ; implicit-def: $vgpr2
.LBB2_4365:                             ;   in Loop: Header=BB2_4287 Depth=3
	s_and_not1_saveexec_b32 s73, s73
; %bb.4366:                             ;   in Loop: Header=BB2_4287 Depth=3
	v_bfe_i32 v2, v2, 0, 8
	s_delay_alu instid0(VALU_DEP_1) | instskip(NEXT) | instid1(VALU_DEP_1)
	v_cmp_lt_i16_e64 s13, -1, v2
	v_cndmask_b32_e64 v2, 0xff800000, v109, s13
	v_cmp_eq_u32_e64 s13, 0, v19
	s_delay_alu instid0(VALU_DEP_1)
	v_cndmask_b32_e64 v18, 0x7f800001, v2, s13
; %bb.4367:                             ;   in Loop: Header=BB2_4287 Depth=3
	s_or_b32 exec_lo, exec_lo, s73
.LBB2_4368:                             ;   in Loop: Header=BB2_4287 Depth=3
	s_delay_alu instid0(SALU_CYCLE_1)
	s_or_b32 exec_lo, exec_lo, s72
.LBB2_4369:                             ;   in Loop: Header=BB2_4287 Depth=3
	s_delay_alu instid0(SALU_CYCLE_1) | instskip(SKIP_3) | instid1(VALU_DEP_1)
	s_or_b32 exec_lo, exec_lo, s14
	v_lshrrev_b32_e32 v2, 16, v8
	s_mov_b32 s72, 0
	s_mov_b32 s14, exec_lo
	v_and_b32_e32 v56, 0xff, v2
	s_delay_alu instid0(VALU_DEP_1)
	v_cmpx_lt_i16_e32 0x7f, v56
	s_xor_b32 s14, exec_lo, s14
	s_cbranch_execz .LBB2_4842
; %bb.4370:                             ;   in Loop: Header=BB2_4287 Depth=3
	s_mov_b32 s72, -1
	s_mov_b32 s73, exec_lo
	v_cmpx_eq_u16_e32 0x80, v56
; %bb.4371:                             ;   in Loop: Header=BB2_4287 Depth=3
	s_xor_b32 s72, exec_lo, -1
; %bb.4372:                             ;   in Loop: Header=BB2_4287 Depth=3
	s_or_b32 exec_lo, exec_lo, s73
	s_delay_alu instid0(SALU_CYCLE_1)
	s_and_b32 s72, s72, exec_lo
                                        ; implicit-def: $vgpr56
	s_or_saveexec_b32 s14, s14
	v_bfrev_b32_e32 v19, 1
	s_xor_b32 exec_lo, exec_lo, s14
	s_cbranch_execnz .LBB2_4843
.LBB2_4373:                             ;   in Loop: Header=BB2_4287 Depth=3
	s_or_b32 exec_lo, exec_lo, s14
	s_and_saveexec_b32 s14, s72
	s_cbranch_execz .LBB2_4375
.LBB2_4374:                             ;   in Loop: Header=BB2_4287 Depth=3
	v_and_b32_e32 v19, 3, v2
	s_delay_alu instid0(VALU_DEP_1) | instskip(NEXT) | instid1(VALU_DEP_1)
	v_clz_i32_u32_e32 v20, v19
	v_min_u32_e32 v20, 32, v20
	s_delay_alu instid0(VALU_DEP_1) | instskip(SKIP_1) | instid1(VALU_DEP_2)
	v_subrev_nc_u32_e32 v21, 29, v20
	v_sub_nc_u32_e32 v20, 30, v20
	v_lshlrev_b64_e32 v[56:57], v21, v[2:3]
	v_bfe_u32 v57, v8, 18, 5
	v_lshlrev_b32_e32 v21, 24, v2
	v_bfe_i32 v2, v2, 0, 8
	s_delay_alu instid0(VALU_DEP_3) | instskip(NEXT) | instid1(VALU_DEP_3)
	v_cmp_eq_u32_e64 s13, 0, v57
	v_and_b32_e32 v21, 0x80000000, v21
	v_and_b32_e32 v56, 3, v56
	s_delay_alu instid0(VALU_DEP_3) | instskip(NEXT) | instid1(VALU_DEP_2)
	v_cndmask_b32_e64 v20, v57, v20, s13
	v_cndmask_b32_e64 v56, v19, v56, s13
	v_cmp_lt_i16_e64 s13, -1, v2
	s_delay_alu instid0(VALU_DEP_3) | instskip(SKIP_1) | instid1(VALU_DEP_3)
	v_lshl_add_u32 v20, v20, 23, v21
	v_and_b32_e32 v21, 0x7c0000, v8
	v_cndmask_b32_e64 v2, 0xff800000, v109, s13
	v_cmp_eq_u32_e64 s13, 0, v19
	s_delay_alu instid0(VALU_DEP_4) | instskip(NEXT) | instid1(VALU_DEP_2)
	v_lshl_or_b32 v20, v56, 21, v20
	v_cndmask_b32_e64 v2, 0x7f800001, v2, s13
	s_delay_alu instid0(VALU_DEP_2) | instskip(SKIP_1) | instid1(VALU_DEP_1)
	v_add_nc_u32_e32 v19, 0x38000000, v20
	v_cmp_eq_u32_e64 s13, 0x7c0000, v21
	v_cndmask_b32_e64 v19, v19, v2, s13
.LBB2_4375:                             ;   in Loop: Header=BB2_4287 Depth=3
	s_or_b32 exec_lo, exec_lo, s14
	s_delay_alu instid0(VALU_DEP_1) | instskip(SKIP_1) | instid1(VALU_DEP_1)
	v_dual_mul_f32 v19, v18, v19 :: v_dual_mov_b32 v57, v3
                                        ; implicit-def: $vgpr78
	s_mov_b32 s14, exec_lo
	v_and_b32_e32 v56, 0x7f800000, v19
	v_and_b32_e32 v2, 0x7fffff, v19
	v_lshrrev_b32_e32 v18, 24, v19
	s_delay_alu instid0(VALU_DEP_3)
	v_cmpx_ne_u64_e32 0x7f800000, v[56:57]
	s_xor_b32 s72, exec_lo, s14
	s_cbranch_execz .LBB2_4389
; %bb.4376:                             ;   in Loop: Header=BB2_4287 Depth=3
	v_and_b32_e32 v56, 0x7fffffff, v19
	v_mov_b32_e32 v57, v3
	v_and_b32_e32 v18, 0x80, v18
                                        ; implicit-def: $vgpr78
	s_mov_b32 s14, exec_lo
	s_delay_alu instid0(VALU_DEP_2)
	v_cmpx_gt_u64_e32 0x47600001, v[56:57]
	s_xor_b32 s73, exec_lo, s14
	s_cbranch_execz .LBB2_4386
; %bb.4377:                             ;   in Loop: Header=BB2_4287 Depth=3
	v_mov_b32_e32 v78, 0
	s_mov_b32 s74, exec_lo
	v_cmpx_ne_u32_e32 0, v19
	s_cbranch_execz .LBB2_4385
; %bb.4378:                             ;   in Loop: Header=BB2_4287 Depth=3
	v_bfe_u32 v19, v19, 23, 8
	v_or_b32_e32 v21, 0x800000, v2
	s_delay_alu instid0(VALU_DEP_2) | instskip(SKIP_1) | instid1(VALU_DEP_1)
	v_sub_nc_u32_e32 v20, 0x71, v19
	v_cmp_gt_u32_e64 s13, 0x72, v19
	v_cndmask_b32_e64 v20, 0, v20, s13
	v_cmp_eq_u32_e64 s13, 0, v19
	s_delay_alu instid0(VALU_DEP_1) | instskip(NEXT) | instid1(VALU_DEP_3)
	v_cndmask_b32_e64 v2, v21, v2, s13
	v_cndmask_b32_e64 v60, v20, 0x70, s13
	s_delay_alu instid0(VALU_DEP_1) | instskip(NEXT) | instid1(VALU_DEP_1)
	v_add_nc_u32_e32 v20, 21, v60
	v_lshlrev_b64_e64 v[56:57], v20, -1
	v_add_nc_u32_e32 v20, 20, v60
	s_delay_alu instid0(VALU_DEP_1) | instskip(NEXT) | instid1(VALU_DEP_3)
	v_lshlrev_b64_e64 v[58:59], v20, 1
	v_bfi_b32 v79, v57, 0, 0
	s_delay_alu instid0(VALU_DEP_4) | instskip(SKIP_1) | instid1(VALU_DEP_2)
	v_bfi_b32 v78, v56, 0, v2
	v_lshrrev_b64 v[56:57], v60, v[2:3]
	v_cmp_eq_u64_e64 s14, v[78:79], v[58:59]
	s_delay_alu instid0(VALU_DEP_2)
	v_mov_b64_e32 v[58:59], v[56:57]
	s_and_saveexec_b32 s75, s14
; %bb.4379:                             ;   in Loop: Header=BB2_4287 Depth=3
	v_bfe_u32 v2, v56, 21, 1
	s_delay_alu instid0(VALU_DEP_1) | instskip(NEXT) | instid1(VALU_DEP_1)
	v_add_nc_u64_e32 v[58:59], v[56:57], v[2:3]
	v_add_nc_u64_e32 v[58:59], -1, v[58:59]
; %bb.4380:                             ;   in Loop: Header=BB2_4287 Depth=3
	s_or_b32 exec_lo, exec_lo, s75
	v_add_nc_u32_e32 v2, 0xffffff81, v19
	v_lshrrev_b32_e32 v19, 23, v56
	s_mov_b32 s14, exec_lo
	s_delay_alu instid0(VALU_DEP_2) | instskip(NEXT) | instid1(VALU_DEP_1)
	v_cndmask_b32_e64 v2, v2, 0xffffff82, s13
	v_add3_u32 v59, v60, v2, v19
	v_and_b32_e32 v2, 0x1fffff, v58
                                        ; implicit-def: $vgpr19
	s_delay_alu instid0(VALU_DEP_1) | instskip(NEXT) | instid1(VALU_DEP_1)
	v_dual_add_nc_u32 v58, 14, v59 :: v_dual_add_nc_u32 v2, v2, v56
                                        ; implicit-def: $vgpr56_vgpr57
	v_cmpx_ne_u32_e32 0, v58
	s_xor_b32 s14, exec_lo, s14
; %bb.4381:                             ;   in Loop: Header=BB2_4287 Depth=3
	s_delay_alu instid0(VALU_DEP_2) | instskip(SKIP_1) | instid1(VALU_DEP_2)
	v_cmp_lt_u64_e64 s13, 0xffffff, v[2:3]
	v_add_nc_u32_e32 v19, 15, v59
	v_cndmask_b32_e64 v20, 0, 1, s13
	s_delay_alu instid0(VALU_DEP_2) | instskip(NEXT) | instid1(VALU_DEP_2)
	v_cndmask_b32_e64 v19, v58, v19, s13
	v_lshrrev_b64 v[56:57], v20, v[2:3]
; %bb.4382:                             ;   in Loop: Header=BB2_4287 Depth=3
	s_and_not1_saveexec_b32 s13, s14
; %bb.4383:                             ;   in Loop: Header=BB2_4287 Depth=3
	v_mov_b64_e32 v[56:57], v[2:3]
	v_bfe_u32 v19, v2, 23, 1
; %bb.4384:                             ;   in Loop: Header=BB2_4287 Depth=3
	s_or_b32 exec_lo, exec_lo, s13
	s_delay_alu instid0(VALU_DEP_2) | instskip(NEXT) | instid1(VALU_DEP_2)
	v_lshrrev_b64 v[56:57], 21, v[56:57]
	v_cmp_gt_i32_e64 s13, 32, v19
	v_min_i32_e32 v2, 31, v19
	v_cmp_eq_u32_e64 s14, 0, v19
	s_delay_alu instid0(VALU_DEP_2) | instskip(SKIP_1) | instid1(VALU_DEP_2)
	v_dual_cndmask_b32 v57, 0, v57, s13 :: v_dual_lshlrev_b32 v2, 2, v2
	v_cndmask_b32_e64 v56, 3, v56, s13
	v_and_b32_e32 v2, 0xfc, v2
	s_delay_alu instid0(VALU_DEP_2) | instskip(NEXT) | instid1(VALU_DEP_2)
	v_cmp_eq_u64_e64 s13, 0, v[56:57]
	v_and_or_b32 v2, v56, 3, v2
	s_and_b32 s13, s14, s13
	s_delay_alu instid0(VALU_DEP_1) | instid1(SALU_CYCLE_1)
	v_cndmask_b32_e64 v2, v2, 0, s13
	s_delay_alu instid0(VALU_DEP_1)
	v_or_b32_e32 v78, v2, v18
.LBB2_4385:                             ;   in Loop: Header=BB2_4287 Depth=3
	s_or_b32 exec_lo, exec_lo, s74
                                        ; implicit-def: $vgpr18
.LBB2_4386:                             ;   in Loop: Header=BB2_4287 Depth=3
	s_and_not1_saveexec_b32 s13, s73
; %bb.4387:                             ;   in Loop: Header=BB2_4287 Depth=3
	v_or_b32_e32 v78, 0x7b, v18
; %bb.4388:                             ;   in Loop: Header=BB2_4287 Depth=3
	s_or_b32 exec_lo, exec_lo, s13
                                        ; implicit-def: $vgpr19
                                        ; implicit-def: $vgpr18
.LBB2_4389:                             ;   in Loop: Header=BB2_4287 Depth=3
	s_and_not1_saveexec_b32 s14, s72
	s_cbranch_execz .LBB2_4395
; %bb.4390:                             ;   in Loop: Header=BB2_4287 Depth=3
	v_cmp_ne_u64_e64 s13, 0, v[2:3]
                                        ; implicit-def: $vgpr78
	s_and_saveexec_b32 s72, s13
	s_delay_alu instid0(SALU_CYCLE_1)
	s_xor_b32 s13, exec_lo, s72
; %bb.4391:                             ;   in Loop: Header=BB2_4287 Depth=3
	v_or_b32_e32 v78, 0x7f, v18
                                        ; implicit-def: $vgpr19
; %bb.4392:                             ;   in Loop: Header=BB2_4287 Depth=3
	s_and_not1_saveexec_b32 s72, s13
; %bb.4393:                             ;   in Loop: Header=BB2_4287 Depth=3
	v_cmp_lt_i32_e64 s13, -1, v19
	s_delay_alu instid0(VALU_DEP_1)
	v_cndmask_b32_e64 v78, 0xfc, v110, s13
; %bb.4394:                             ;   in Loop: Header=BB2_4287 Depth=3
	s_or_b32 exec_lo, exec_lo, s72
.LBB2_4395:                             ;   in Loop: Header=BB2_4287 Depth=3
	s_delay_alu instid0(SALU_CYCLE_1)
	s_or_b32 exec_lo, exec_lo, s14
	v_mov_b32_e32 v18, 0
	s_mov_b32 s14, exec_lo
	v_cmpx_lt_u32_e32 0xffffff, v12
	s_cbranch_execz .LBB2_4405
; %bb.4396:                             ;   in Loop: Header=BB2_4287 Depth=3
	v_lshrrev_b32_e32 v2, 24, v12
	v_bfrev_b32_e32 v18, 1
	s_mov_b32 s72, exec_lo
	s_delay_alu instid0(VALU_DEP_2)
	v_cmpx_ne_u32_e32 0x80, v2
	s_cbranch_execz .LBB2_4404
; %bb.4397:                             ;   in Loop: Header=BB2_4287 Depth=3
	v_and_b32_e32 v18, 0x7c000000, v12
	v_bfe_u32 v19, v12, 24, 2
	s_delay_alu instid0(VALU_DEP_2) | instskip(SKIP_1) | instid1(SALU_CYCLE_1)
	v_cmp_ne_u32_e64 s13, 0x7c000000, v18
                                        ; implicit-def: $vgpr18
	s_and_saveexec_b32 s73, s13
	s_xor_b32 s73, exec_lo, s73
	s_cbranch_execz .LBB2_4401
; %bb.4398:                             ;   in Loop: Header=BB2_4287 Depth=3
	v_bfe_u32 v18, v12, 26, 5
	s_mov_b32 s74, exec_lo
	s_delay_alu instid0(VALU_DEP_1)
	v_cmpx_eq_u32_e32 0, v18
; %bb.4399:                             ;   in Loop: Header=BB2_4287 Depth=3
	v_clz_i32_u32_e32 v18, v19
	s_delay_alu instid0(VALU_DEP_1) | instskip(NEXT) | instid1(VALU_DEP_1)
	v_min_u32_e32 v18, 32, v18
	v_subrev_nc_u32_e32 v19, 29, v18
	s_delay_alu instid0(VALU_DEP_1) | instskip(NEXT) | instid1(VALU_DEP_1)
	v_lshlrev_b64_e32 v[56:57], v19, v[2:3]
	v_dual_sub_nc_u32 v18, 30, v18 :: v_dual_bitop2_b32 v19, 3, v56 bitop3:0x40
; %bb.4400:                             ;   in Loop: Header=BB2_4287 Depth=3
	s_or_b32 exec_lo, exec_lo, s74
	v_and_b32_e32 v2, 0x80000000, v12
	s_delay_alu instid0(VALU_DEP_1) | instskip(NEXT) | instid1(VALU_DEP_1)
	v_lshl_add_u32 v2, v18, 23, v2
	v_lshl_or_b32 v2, v19, 21, v2
                                        ; implicit-def: $vgpr19
	s_delay_alu instid0(VALU_DEP_1)
	v_add_nc_u32_e32 v18, 0x38000000, v2
.LBB2_4401:                             ;   in Loop: Header=BB2_4287 Depth=3
	s_and_not1_saveexec_b32 s73, s73
; %bb.4402:                             ;   in Loop: Header=BB2_4287 Depth=3
	v_cmp_lt_i32_e64 s13, -1, v12
	s_delay_alu instid0(VALU_DEP_1) | instskip(SKIP_1) | instid1(VALU_DEP_1)
	v_cndmask_b32_e64 v2, 0xff800000, v109, s13
	v_cmp_eq_u32_e64 s13, 0, v19
	v_cndmask_b32_e64 v18, 0x7f800001, v2, s13
; %bb.4403:                             ;   in Loop: Header=BB2_4287 Depth=3
	s_or_b32 exec_lo, exec_lo, s73
.LBB2_4404:                             ;   in Loop: Header=BB2_4287 Depth=3
	s_delay_alu instid0(SALU_CYCLE_1)
	s_or_b32 exec_lo, exec_lo, s72
.LBB2_4405:                             ;   in Loop: Header=BB2_4287 Depth=3
	s_delay_alu instid0(SALU_CYCLE_1) | instskip(SKIP_3) | instid1(VALU_DEP_2)
	s_or_b32 exec_lo, exec_lo, s14
	v_bfe_u32 v19, v8, 24, 2
	v_bfe_u32 v58, v8, 26, 5
                                        ; implicit-def: $vgpr79
	s_mov_b32 s14, exec_lo
	v_clz_i32_u32_e32 v2, v19
	s_delay_alu instid0(VALU_DEP_2) | instskip(NEXT) | instid1(VALU_DEP_2)
	v_cmp_eq_u32_e64 s13, 0, v58
	v_min_u32_e32 v20, 32, v2
	v_lshrrev_b32_e32 v2, 24, v8
	s_delay_alu instid0(VALU_DEP_2) | instskip(SKIP_1) | instid1(VALU_DEP_2)
	v_subrev_nc_u32_e32 v21, 29, v20
	v_sub_nc_u32_e32 v20, 30, v20
	v_lshlrev_b64_e32 v[56:57], v21, v[2:3]
	v_and_b32_e32 v21, 0x80000000, v8
	s_delay_alu instid0(VALU_DEP_3) | instskip(NEXT) | instid1(VALU_DEP_1)
	v_dual_cndmask_b32 v20, v58, v20, s13 :: v_dual_mov_b32 v57, v3
	v_lshl_add_u32 v20, v20, 23, v21
	s_delay_alu instid0(VALU_DEP_4) | instskip(NEXT) | instid1(VALU_DEP_1)
	v_and_b32_e32 v56, 3, v56
	v_cndmask_b32_e64 v21, v19, v56, s13
	v_cmp_lt_i32_e64 s13, -1, v8
	s_delay_alu instid0(VALU_DEP_2) | instskip(NEXT) | instid1(VALU_DEP_2)
	v_lshl_or_b32 v20, v21, 21, v20
	v_cndmask_b32_e64 v56, 0xff800000, v109, s13
	v_and_b32_e32 v21, 0x7c000000, v8
	v_cmp_eq_u32_e64 s13, 0, v19
	s_delay_alu instid0(VALU_DEP_4) | instskip(NEXT) | instid1(VALU_DEP_2)
	v_add_nc_u32_e32 v20, 0x38000000, v20
	v_cndmask_b32_e64 v19, 0x7f800001, v56, s13
	s_delay_alu instid0(VALU_DEP_4) | instskip(NEXT) | instid1(VALU_DEP_1)
	v_cmp_eq_u32_e64 s13, 0x7c000000, v21
	v_cndmask_b32_e64 v19, v20, v19, s13
	v_cmp_ne_u32_e64 s13, 0x80, v2
	s_delay_alu instid0(VALU_DEP_1) | instskip(SKIP_1) | instid1(VALU_DEP_1)
	v_cndmask_b32_e64 v2, 0x80000000, v19, s13
	v_cmp_lt_u32_e64 s13, 0xffffff, v8
	v_cndmask_b32_e64 v2, 0, v2, s13
	s_delay_alu instid0(VALU_DEP_1) | instskip(NEXT) | instid1(VALU_DEP_1)
	v_mul_f32_e32 v19, v2, v18
	v_and_b32_e32 v56, 0x7f800000, v19
	v_and_b32_e32 v2, 0x7fffff, v19
	v_lshrrev_b32_e32 v18, 24, v19
	s_delay_alu instid0(VALU_DEP_3)
	v_cmpx_ne_u64_e32 0x7f800000, v[56:57]
	s_xor_b32 s72, exec_lo, s14
	s_cbranch_execz .LBB2_4419
; %bb.4406:                             ;   in Loop: Header=BB2_4287 Depth=3
	v_and_b32_e32 v56, 0x7fffffff, v19
	v_mov_b32_e32 v57, v3
	v_and_b32_e32 v18, 0x80, v18
                                        ; implicit-def: $vgpr79
	s_mov_b32 s14, exec_lo
	s_delay_alu instid0(VALU_DEP_2)
	v_cmpx_gt_u64_e32 0x47600001, v[56:57]
	s_xor_b32 s73, exec_lo, s14
	s_cbranch_execz .LBB2_4416
; %bb.4407:                             ;   in Loop: Header=BB2_4287 Depth=3
	v_mov_b32_e32 v79, 0
	s_mov_b32 s74, exec_lo
	v_cmpx_ne_u32_e32 0, v19
	s_cbranch_execz .LBB2_4415
; %bb.4408:                             ;   in Loop: Header=BB2_4287 Depth=3
	v_bfe_u32 v19, v19, 23, 8
	v_or_b32_e32 v21, 0x800000, v2
	s_delay_alu instid0(VALU_DEP_2) | instskip(SKIP_1) | instid1(VALU_DEP_1)
	v_sub_nc_u32_e32 v20, 0x71, v19
	v_cmp_gt_u32_e64 s13, 0x72, v19
	v_cndmask_b32_e64 v20, 0, v20, s13
	v_cmp_eq_u32_e64 s13, 0, v19
	s_delay_alu instid0(VALU_DEP_1) | instskip(NEXT) | instid1(VALU_DEP_3)
	v_cndmask_b32_e64 v2, v21, v2, s13
	v_cndmask_b32_e64 v60, v20, 0x70, s13
	s_delay_alu instid0(VALU_DEP_1) | instskip(NEXT) | instid1(VALU_DEP_1)
	v_add_nc_u32_e32 v20, 21, v60
	v_lshlrev_b64_e64 v[56:57], v20, -1
	v_add_nc_u32_e32 v20, 20, v60
	s_delay_alu instid0(VALU_DEP_1) | instskip(NEXT) | instid1(VALU_DEP_3)
	v_lshlrev_b64_e64 v[58:59], v20, 1
	v_bfi_b32 v89, v57, 0, 0
	s_delay_alu instid0(VALU_DEP_4) | instskip(SKIP_1) | instid1(VALU_DEP_2)
	v_bfi_b32 v88, v56, 0, v2
	v_lshrrev_b64 v[56:57], v60, v[2:3]
	v_cmp_eq_u64_e64 s14, v[88:89], v[58:59]
	s_delay_alu instid0(VALU_DEP_2)
	v_mov_b64_e32 v[58:59], v[56:57]
	s_and_saveexec_b32 s75, s14
; %bb.4409:                             ;   in Loop: Header=BB2_4287 Depth=3
	v_bfe_u32 v2, v56, 21, 1
	s_delay_alu instid0(VALU_DEP_1) | instskip(NEXT) | instid1(VALU_DEP_1)
	v_add_nc_u64_e32 v[58:59], v[56:57], v[2:3]
	v_add_nc_u64_e32 v[58:59], -1, v[58:59]
; %bb.4410:                             ;   in Loop: Header=BB2_4287 Depth=3
	s_or_b32 exec_lo, exec_lo, s75
	v_add_nc_u32_e32 v2, 0xffffff81, v19
	v_lshrrev_b32_e32 v19, 23, v56
	s_mov_b32 s14, exec_lo
	s_delay_alu instid0(VALU_DEP_2) | instskip(NEXT) | instid1(VALU_DEP_1)
	v_cndmask_b32_e64 v2, v2, 0xffffff82, s13
	v_add3_u32 v59, v60, v2, v19
	v_and_b32_e32 v2, 0x1fffff, v58
                                        ; implicit-def: $vgpr19
	s_delay_alu instid0(VALU_DEP_1) | instskip(NEXT) | instid1(VALU_DEP_1)
	v_dual_add_nc_u32 v58, 14, v59 :: v_dual_add_nc_u32 v2, v2, v56
                                        ; implicit-def: $vgpr56_vgpr57
	v_cmpx_ne_u32_e32 0, v58
	s_xor_b32 s14, exec_lo, s14
; %bb.4411:                             ;   in Loop: Header=BB2_4287 Depth=3
	s_delay_alu instid0(VALU_DEP_2) | instskip(SKIP_1) | instid1(VALU_DEP_2)
	v_cmp_lt_u64_e64 s13, 0xffffff, v[2:3]
	v_add_nc_u32_e32 v19, 15, v59
	v_cndmask_b32_e64 v20, 0, 1, s13
	s_delay_alu instid0(VALU_DEP_2) | instskip(NEXT) | instid1(VALU_DEP_2)
	v_cndmask_b32_e64 v19, v58, v19, s13
	v_lshrrev_b64 v[56:57], v20, v[2:3]
; %bb.4412:                             ;   in Loop: Header=BB2_4287 Depth=3
	s_and_not1_saveexec_b32 s13, s14
; %bb.4413:                             ;   in Loop: Header=BB2_4287 Depth=3
	v_mov_b64_e32 v[56:57], v[2:3]
	v_bfe_u32 v19, v2, 23, 1
; %bb.4414:                             ;   in Loop: Header=BB2_4287 Depth=3
	s_or_b32 exec_lo, exec_lo, s13
	s_delay_alu instid0(VALU_DEP_2) | instskip(NEXT) | instid1(VALU_DEP_2)
	v_lshrrev_b64 v[56:57], 21, v[56:57]
	v_cmp_gt_i32_e64 s13, 32, v19
	v_min_i32_e32 v2, 31, v19
	v_cmp_eq_u32_e64 s14, 0, v19
	s_delay_alu instid0(VALU_DEP_2) | instskip(SKIP_1) | instid1(VALU_DEP_2)
	v_dual_cndmask_b32 v57, 0, v57, s13 :: v_dual_lshlrev_b32 v2, 2, v2
	v_cndmask_b32_e64 v56, 3, v56, s13
	v_and_b32_e32 v2, 0xfc, v2
	s_delay_alu instid0(VALU_DEP_2) | instskip(NEXT) | instid1(VALU_DEP_2)
	v_cmp_eq_u64_e64 s13, 0, v[56:57]
	v_and_or_b32 v2, v56, 3, v2
	s_and_b32 s13, s14, s13
	s_delay_alu instid0(VALU_DEP_1) | instid1(SALU_CYCLE_1)
	v_cndmask_b32_e64 v2, v2, 0, s13
	s_delay_alu instid0(VALU_DEP_1)
	v_or_b32_e32 v79, v2, v18
.LBB2_4415:                             ;   in Loop: Header=BB2_4287 Depth=3
	s_or_b32 exec_lo, exec_lo, s74
                                        ; implicit-def: $vgpr18
.LBB2_4416:                             ;   in Loop: Header=BB2_4287 Depth=3
	s_and_not1_saveexec_b32 s13, s73
; %bb.4417:                             ;   in Loop: Header=BB2_4287 Depth=3
	v_or_b32_e32 v79, 0x7b, v18
; %bb.4418:                             ;   in Loop: Header=BB2_4287 Depth=3
	s_or_b32 exec_lo, exec_lo, s13
                                        ; implicit-def: $vgpr19
                                        ; implicit-def: $vgpr18
.LBB2_4419:                             ;   in Loop: Header=BB2_4287 Depth=3
	s_and_not1_saveexec_b32 s14, s72
	s_cbranch_execz .LBB2_4425
; %bb.4420:                             ;   in Loop: Header=BB2_4287 Depth=3
	v_cmp_ne_u64_e64 s13, 0, v[2:3]
                                        ; implicit-def: $vgpr79
	s_and_saveexec_b32 s72, s13
	s_delay_alu instid0(SALU_CYCLE_1)
	s_xor_b32 s13, exec_lo, s72
; %bb.4421:                             ;   in Loop: Header=BB2_4287 Depth=3
	v_or_b32_e32 v79, 0x7f, v18
                                        ; implicit-def: $vgpr19
; %bb.4422:                             ;   in Loop: Header=BB2_4287 Depth=3
	s_and_not1_saveexec_b32 s72, s13
; %bb.4423:                             ;   in Loop: Header=BB2_4287 Depth=3
	v_cmp_lt_i32_e64 s13, -1, v19
	s_delay_alu instid0(VALU_DEP_1)
	v_cndmask_b32_e64 v79, 0xfc, v110, s13
; %bb.4424:                             ;   in Loop: Header=BB2_4287 Depth=3
	s_or_b32 exec_lo, exec_lo, s72
.LBB2_4425:                             ;   in Loop: Header=BB2_4287 Depth=3
	s_delay_alu instid0(SALU_CYCLE_1) | instskip(SKIP_3) | instid1(VALU_DEP_2)
	s_or_b32 exec_lo, exec_lo, s14
	v_and_b32_e32 v19, 0xff, v13
	v_dual_mov_b32 v2, v13 :: v_dual_mov_b32 v18, 0
	s_mov_b32 s14, exec_lo
	v_cmpx_ne_u16_e32 0, v19
	s_cbranch_execz .LBB2_4435
; %bb.4426:                             ;   in Loop: Header=BB2_4287 Depth=3
	v_bfrev_b32_e32 v18, 1
	s_mov_b32 s72, exec_lo
	v_cmpx_ne_u16_e32 0x80, v19
	s_cbranch_execz .LBB2_4434
; %bb.4427:                             ;   in Loop: Header=BB2_4287 Depth=3
	v_and_b32_e32 v18, 0x7c, v13
	v_and_b32_e32 v19, 3, v13
	s_delay_alu instid0(VALU_DEP_2) | instskip(SKIP_1) | instid1(SALU_CYCLE_1)
	v_cmp_ne_u32_e64 s13, 0x7c, v18
                                        ; implicit-def: $vgpr18
	s_and_saveexec_b32 s73, s13
	s_xor_b32 s73, exec_lo, s73
	s_cbranch_execz .LBB2_4431
; %bb.4428:                             ;   in Loop: Header=BB2_4287 Depth=3
	v_bfe_u32 v18, v13, 2, 5
	s_mov_b32 s74, exec_lo
	s_delay_alu instid0(VALU_DEP_1)
	v_cmpx_eq_u32_e32 0, v18
; %bb.4429:                             ;   in Loop: Header=BB2_4287 Depth=3
	v_clz_i32_u32_e32 v18, v19
	s_delay_alu instid0(VALU_DEP_1) | instskip(NEXT) | instid1(VALU_DEP_1)
	v_min_u32_e32 v18, 32, v18
	v_subrev_nc_u32_e32 v19, 29, v18
	s_delay_alu instid0(VALU_DEP_1) | instskip(NEXT) | instid1(VALU_DEP_1)
	v_lshlrev_b64_e32 v[56:57], v19, v[2:3]
	v_dual_sub_nc_u32 v18, 30, v18 :: v_dual_bitop2_b32 v19, 3, v56 bitop3:0x40
; %bb.4430:                             ;   in Loop: Header=BB2_4287 Depth=3
	s_or_b32 exec_lo, exec_lo, s74
	v_lshlrev_b32_e32 v20, 24, v13
	s_delay_alu instid0(VALU_DEP_1) | instskip(NEXT) | instid1(VALU_DEP_1)
	v_and_b32_e32 v20, 0x80000000, v20
	v_lshl_add_u32 v18, v18, 23, v20
	s_delay_alu instid0(VALU_DEP_1) | instskip(NEXT) | instid1(VALU_DEP_1)
	v_lshl_or_b32 v18, v19, 21, v18
                                        ; implicit-def: $vgpr19
	v_add_nc_u32_e32 v18, 0x38000000, v18
.LBB2_4431:                             ;   in Loop: Header=BB2_4287 Depth=3
	s_and_not1_saveexec_b32 s73, s73
; %bb.4432:                             ;   in Loop: Header=BB2_4287 Depth=3
	v_bfe_i32 v18, v13, 0, 8
	s_delay_alu instid0(VALU_DEP_1) | instskip(NEXT) | instid1(VALU_DEP_1)
	v_cmp_lt_i16_e64 s13, -1, v18
	v_cndmask_b32_e64 v18, 0xff800000, v109, s13
	v_cmp_eq_u32_e64 s13, 0, v19
	s_delay_alu instid0(VALU_DEP_1)
	v_cndmask_b32_e64 v18, 0x7f800001, v18, s13
; %bb.4433:                             ;   in Loop: Header=BB2_4287 Depth=3
	s_or_b32 exec_lo, exec_lo, s73
.LBB2_4434:                             ;   in Loop: Header=BB2_4287 Depth=3
	s_delay_alu instid0(SALU_CYCLE_1)
	s_or_b32 exec_lo, exec_lo, s72
.LBB2_4435:                             ;   in Loop: Header=BB2_4287 Depth=3
	s_delay_alu instid0(SALU_CYCLE_1) | instskip(SKIP_4) | instid1(VALU_DEP_2)
	s_or_b32 exec_lo, exec_lo, s14
	v_and_b32_e32 v57, 0xff, v9
	v_mov_b32_e32 v56, v9
	s_mov_b32 s72, 0
	s_mov_b32 s14, exec_lo
	v_cmpx_lt_i16_e32 0x7f, v57
	s_xor_b32 s14, exec_lo, s14
	s_cbranch_execz .LBB2_4844
; %bb.4436:                             ;   in Loop: Header=BB2_4287 Depth=3
	s_mov_b32 s72, -1
	s_mov_b32 s73, exec_lo
	v_cmpx_eq_u16_e32 0x80, v57
; %bb.4437:                             ;   in Loop: Header=BB2_4287 Depth=3
	s_xor_b32 s72, exec_lo, -1
; %bb.4438:                             ;   in Loop: Header=BB2_4287 Depth=3
	s_or_b32 exec_lo, exec_lo, s73
	s_delay_alu instid0(SALU_CYCLE_1)
	s_and_b32 s72, s72, exec_lo
                                        ; implicit-def: $vgpr57
	s_or_saveexec_b32 s14, s14
	v_bfrev_b32_e32 v19, 1
	s_xor_b32 exec_lo, exec_lo, s14
	s_cbranch_execnz .LBB2_4845
.LBB2_4439:                             ;   in Loop: Header=BB2_4287 Depth=3
	s_or_b32 exec_lo, exec_lo, s14
	v_mov_b32_e32 v57, v3
	s_and_saveexec_b32 s14, s72
	s_cbranch_execz .LBB2_4441
.LBB2_4440:                             ;   in Loop: Header=BB2_4287 Depth=3
	v_and_b32_e32 v19, 3, v9
	s_delay_alu instid0(VALU_DEP_1) | instskip(NEXT) | instid1(VALU_DEP_1)
	v_clz_i32_u32_e32 v20, v19
	v_min_u32_e32 v20, 32, v20
	s_delay_alu instid0(VALU_DEP_1) | instskip(NEXT) | instid1(VALU_DEP_1)
	v_subrev_nc_u32_e32 v21, 29, v20
	v_lshlrev_b64_e32 v[58:59], v21, v[56:57]
	v_bfe_u32 v57, v9, 2, 5
	v_dual_lshlrev_b32 v21, 24, v9 :: v_dual_sub_nc_u32 v20, 30, v20
	s_delay_alu instid0(VALU_DEP_2) | instskip(NEXT) | instid1(VALU_DEP_2)
	v_cmp_eq_u32_e64 s13, 0, v57
	v_and_b32_e32 v21, 0x80000000, v21
	s_delay_alu instid0(VALU_DEP_2) | instskip(SKIP_1) | instid1(VALU_DEP_2)
	v_dual_cndmask_b32 v20, v57, v20, s13 :: v_dual_bitop2_b32 v58, 3, v58 bitop3:0x40
	v_bfe_i32 v57, v9, 0, 8
	v_cndmask_b32_e64 v58, v19, v58, s13
	s_delay_alu instid0(VALU_DEP_3) | instskip(NEXT) | instid1(VALU_DEP_3)
	v_lshl_add_u32 v20, v20, 23, v21
	v_cmp_lt_i16_e64 s13, -1, v57
	v_and_b32_e32 v57, 0x7c, v9
	s_delay_alu instid0(VALU_DEP_3) | instskip(NEXT) | instid1(VALU_DEP_3)
	v_lshl_or_b32 v20, v58, 21, v20
	v_cndmask_b32_e64 v21, 0xff800000, v109, s13
	v_cmp_eq_u32_e64 s13, 0, v19
	s_delay_alu instid0(VALU_DEP_3) | instskip(NEXT) | instid1(VALU_DEP_2)
	v_add_nc_u32_e32 v20, 0x38000000, v20
	v_cndmask_b32_e64 v19, 0x7f800001, v21, s13
	v_cmp_eq_u32_e64 s13, 0x7c, v57
	s_delay_alu instid0(VALU_DEP_1)
	v_cndmask_b32_e64 v19, v20, v19, s13
.LBB2_4441:                             ;   in Loop: Header=BB2_4287 Depth=3
	s_or_b32 exec_lo, exec_lo, s14
	s_delay_alu instid0(VALU_DEP_1) | instskip(NEXT) | instid1(VALU_DEP_1)
	v_dual_mul_f32 v19, v18, v19 :: v_dual_mov_b32 v61, v3
	v_dual_mov_b32 v59, v3 :: v_dual_lshrrev_b32 v18, 24, v19
	v_and_b32_e32 v60, 0x7f800000, v19
	v_and_b32_e32 v58, 0x7fffff, v19
	s_delay_alu instid0(VALU_DEP_2) | instskip(SKIP_1) | instid1(SALU_CYCLE_1)
	v_cmp_ne_u64_e64 s13, 0x7f800000, v[60:61]
                                        ; implicit-def: $vgpr60
	s_and_saveexec_b32 s14, s13
	s_xor_b32 s72, exec_lo, s14
	s_cbranch_execz .LBB2_4455
; %bb.4442:                             ;   in Loop: Header=BB2_4287 Depth=3
	v_and_b32_e32 v60, 0x7fffffff, v19
	v_mov_b32_e32 v61, v3
	v_and_b32_e32 v18, 0x80, v18
	s_delay_alu instid0(VALU_DEP_2) | instskip(SKIP_1) | instid1(SALU_CYCLE_1)
	v_cmp_gt_u64_e64 s13, 0x47600001, v[60:61]
                                        ; implicit-def: $vgpr60
	s_and_saveexec_b32 s14, s13
	s_xor_b32 s73, exec_lo, s14
	s_cbranch_execz .LBB2_4452
; %bb.4443:                             ;   in Loop: Header=BB2_4287 Depth=3
	v_mov_b32_e32 v60, 0
	s_mov_b32 s74, exec_lo
	v_cmpx_ne_u32_e32 0, v19
	s_cbranch_execz .LBB2_4451
; %bb.4444:                             ;   in Loop: Header=BB2_4287 Depth=3
	v_bfe_u32 v19, v19, 23, 8
	v_or_b32_e32 v21, 0x800000, v58
	s_delay_alu instid0(VALU_DEP_2) | instskip(SKIP_1) | instid1(VALU_DEP_1)
	v_sub_nc_u32_e32 v20, 0x71, v19
	v_cmp_gt_u32_e64 s13, 0x72, v19
	v_cndmask_b32_e64 v20, 0, v20, s13
	v_cmp_eq_u32_e64 s13, 0, v19
	s_delay_alu instid0(VALU_DEP_1) | instskip(NEXT) | instid1(VALU_DEP_3)
	v_cndmask_b32_e64 v58, v21, v58, s13
	v_cndmask_b32_e64 v57, v20, 0x70, s13
	s_delay_alu instid0(VALU_DEP_1) | instskip(NEXT) | instid1(VALU_DEP_1)
	v_add_nc_u32_e32 v20, 21, v57
	v_lshlrev_b64_e64 v[60:61], v20, -1
	v_add_nc_u32_e32 v20, 20, v57
	s_delay_alu instid0(VALU_DEP_1) | instskip(NEXT) | instid1(VALU_DEP_3)
	v_lshlrev_b64_e64 v[88:89], v20, 1
	v_bfi_b32 v60, v60, 0, v58
	v_lshrrev_b64 v[58:59], v57, v[58:59]
	v_bfi_b32 v61, v61, 0, 0
	s_delay_alu instid0(VALU_DEP_1) | instskip(NEXT) | instid1(VALU_DEP_3)
	v_cmp_eq_u64_e64 s14, v[60:61], v[88:89]
	v_mov_b64_e32 v[60:61], v[58:59]
	s_and_saveexec_b32 s75, s14
; %bb.4445:                             ;   in Loop: Header=BB2_4287 Depth=3
	v_bfe_u32 v60, v58, 21, 1
	v_mov_b32_e32 v61, v3
	s_delay_alu instid0(VALU_DEP_1) | instskip(NEXT) | instid1(VALU_DEP_1)
	v_add_nc_u64_e32 v[60:61], v[58:59], v[60:61]
	v_add_nc_u64_e32 v[60:61], -1, v[60:61]
; %bb.4446:                             ;   in Loop: Header=BB2_4287 Depth=3
	s_or_b32 exec_lo, exec_lo, s75
	v_add_nc_u32_e32 v19, 0xffffff81, v19
	v_dual_mov_b32 v59, v3 :: v_dual_lshrrev_b32 v20, 23, v58
	s_mov_b32 s14, exec_lo
	s_delay_alu instid0(VALU_DEP_2) | instskip(NEXT) | instid1(VALU_DEP_1)
	v_cndmask_b32_e64 v19, v19, 0xffffff82, s13
	v_add3_u32 v57, v57, v19, v20
	v_and_b32_e32 v19, 0x1fffff, v60
	s_delay_alu instid0(VALU_DEP_1) | instskip(NEXT) | instid1(VALU_DEP_1)
	v_dual_add_nc_u32 v60, 14, v57 :: v_dual_add_nc_u32 v58, v19, v58
                                        ; implicit-def: $vgpr19
	v_cmpx_ne_u32_e32 0, v60
	s_xor_b32 s14, exec_lo, s14
; %bb.4447:                             ;   in Loop: Header=BB2_4287 Depth=3
	s_delay_alu instid0(VALU_DEP_2) | instskip(SKIP_1) | instid1(VALU_DEP_2)
	v_cmp_lt_u64_e64 s13, 0xffffff, v[58:59]
	v_add_nc_u32_e32 v19, 15, v57
	v_cndmask_b32_e64 v20, 0, 1, s13
	s_delay_alu instid0(VALU_DEP_2) | instskip(NEXT) | instid1(VALU_DEP_2)
	v_cndmask_b32_e64 v19, v60, v19, s13
	v_lshrrev_b64 v[58:59], v20, v[58:59]
; %bb.4448:                             ;   in Loop: Header=BB2_4287 Depth=3
	s_and_not1_saveexec_b32 s13, s14
; %bb.4449:                             ;   in Loop: Header=BB2_4287 Depth=3
	s_delay_alu instid0(VALU_DEP_1)
	v_bfe_u32 v19, v58, 23, 1
; %bb.4450:                             ;   in Loop: Header=BB2_4287 Depth=3
	s_or_b32 exec_lo, exec_lo, s13
	s_delay_alu instid0(VALU_DEP_2) | instskip(NEXT) | instid1(VALU_DEP_2)
	v_lshrrev_b64 v[58:59], 21, v[58:59]
	v_cmp_gt_i32_e64 s13, 32, v19
	v_min_i32_e32 v20, 31, v19
	v_cmp_eq_u32_e64 s14, 0, v19
	s_delay_alu instid0(VALU_DEP_2) | instskip(SKIP_1) | instid1(VALU_DEP_2)
	v_dual_cndmask_b32 v58, 3, v58, s13 :: v_dual_lshlrev_b32 v20, 2, v20
	v_cndmask_b32_e64 v59, 0, v59, s13
	v_and_b32_e32 v20, 0xfc, v20
	s_delay_alu instid0(VALU_DEP_2) | instskip(NEXT) | instid1(VALU_DEP_2)
	v_cmp_eq_u64_e64 s13, 0, v[58:59]
	v_and_or_b32 v19, v58, 3, v20
	s_and_b32 s13, s14, s13
	s_delay_alu instid0(VALU_DEP_1) | instid1(SALU_CYCLE_1)
	v_cndmask_b32_e64 v19, v19, 0, s13
	s_delay_alu instid0(VALU_DEP_1)
	v_or_b32_e32 v60, v19, v18
.LBB2_4451:                             ;   in Loop: Header=BB2_4287 Depth=3
	s_or_b32 exec_lo, exec_lo, s74
                                        ; implicit-def: $vgpr18
.LBB2_4452:                             ;   in Loop: Header=BB2_4287 Depth=3
	s_and_not1_saveexec_b32 s13, s73
; %bb.4453:                             ;   in Loop: Header=BB2_4287 Depth=3
	v_or_b32_e32 v60, 0x7b, v18
; %bb.4454:                             ;   in Loop: Header=BB2_4287 Depth=3
	s_or_b32 exec_lo, exec_lo, s13
                                        ; implicit-def: $vgpr19
                                        ; implicit-def: $vgpr58_vgpr59
                                        ; implicit-def: $vgpr18
.LBB2_4455:                             ;   in Loop: Header=BB2_4287 Depth=3
	s_and_not1_saveexec_b32 s14, s72
	s_cbranch_execz .LBB2_4461
; %bb.4456:                             ;   in Loop: Header=BB2_4287 Depth=3
	v_cmp_ne_u64_e64 s13, 0, v[58:59]
                                        ; implicit-def: $vgpr60
	s_and_saveexec_b32 s72, s13
	s_delay_alu instid0(SALU_CYCLE_1)
	s_xor_b32 s13, exec_lo, s72
; %bb.4457:                             ;   in Loop: Header=BB2_4287 Depth=3
	v_or_b32_e32 v60, 0x7f, v18
                                        ; implicit-def: $vgpr19
; %bb.4458:                             ;   in Loop: Header=BB2_4287 Depth=3
	s_and_not1_saveexec_b32 s72, s13
; %bb.4459:                             ;   in Loop: Header=BB2_4287 Depth=3
	v_cmp_lt_i32_e64 s13, -1, v19
	s_delay_alu instid0(VALU_DEP_1)
	v_cndmask_b32_e64 v60, 0xfc, v110, s13
; %bb.4460:                             ;   in Loop: Header=BB2_4287 Depth=3
	s_or_b32 exec_lo, exec_lo, s72
.LBB2_4461:                             ;   in Loop: Header=BB2_4287 Depth=3
	s_delay_alu instid0(SALU_CYCLE_1) | instskip(SKIP_3) | instid1(VALU_DEP_2)
	s_or_b32 exec_lo, exec_lo, s14
	v_lshrrev_b16 v58, 8, v2
	v_mov_b32_e32 v18, 0
	s_mov_b32 s14, exec_lo
	v_cmpx_ne_u16_e32 0, v58
	s_cbranch_execz .LBB2_4471
; %bb.4462:                             ;   in Loop: Header=BB2_4287 Depth=3
	v_bfrev_b32_e32 v18, 1
	s_mov_b32 s72, exec_lo
	v_cmpx_ne_u16_e32 0x80, v58
	s_cbranch_execz .LBB2_4470
; %bb.4463:                             ;   in Loop: Header=BB2_4287 Depth=3
	v_and_b32_e32 v57, 0xffff, v58
	s_delay_alu instid0(VALU_DEP_1) | instskip(SKIP_1) | instid1(VALU_DEP_2)
	v_and_b32_e32 v18, 0x7c, v57
	v_and_b32_e32 v19, 3, v57
	v_cmp_ne_u32_e64 s13, 0x7c, v18
                                        ; implicit-def: $vgpr18
	s_and_saveexec_b32 s73, s13
	s_delay_alu instid0(SALU_CYCLE_1)
	s_xor_b32 s73, exec_lo, s73
	s_cbranch_execz .LBB2_4467
; %bb.4464:                             ;   in Loop: Header=BB2_4287 Depth=3
	v_bfe_u32 v18, v57, 2, 5
	s_mov_b32 s74, exec_lo
	s_delay_alu instid0(VALU_DEP_1)
	v_cmpx_eq_u32_e32 0, v18
	s_cbranch_execz .LBB2_4466
; %bb.4465:                             ;   in Loop: Header=BB2_4287 Depth=3
	v_clz_i32_u32_e32 v18, v19
	s_delay_alu instid0(VALU_DEP_1) | instskip(SKIP_1) | instid1(VALU_DEP_2)
	v_min_u32_e32 v18, 32, v18
	v_mov_b32_e32 v59, v3
	v_subrev_nc_u32_e32 v19, 29, v18
	v_sub_nc_u32_e32 v18, 30, v18
	s_delay_alu instid0(VALU_DEP_2) | instskip(NEXT) | instid1(VALU_DEP_1)
	v_lshlrev_b64_e32 v[58:59], v19, v[58:59]
	v_and_b32_e32 v19, 3, v58
.LBB2_4466:                             ;   in Loop: Header=BB2_4287 Depth=3
	s_or_b32 exec_lo, exec_lo, s74
	v_lshlrev_b32_e32 v2, 16, v2
	s_delay_alu instid0(VALU_DEP_1) | instskip(NEXT) | instid1(VALU_DEP_1)
	v_and_b32_e32 v2, 0x80000000, v2
	v_lshl_add_u32 v2, v18, 23, v2
	s_delay_alu instid0(VALU_DEP_1) | instskip(NEXT) | instid1(VALU_DEP_1)
	v_lshl_or_b32 v2, v19, 21, v2
                                        ; implicit-def: $vgpr19
	v_add_nc_u32_e32 v18, 0x38000000, v2
.LBB2_4467:                             ;   in Loop: Header=BB2_4287 Depth=3
	s_and_not1_saveexec_b32 s73, s73
; %bb.4468:                             ;   in Loop: Header=BB2_4287 Depth=3
	v_cmp_lt_i16_e64 s13, -1, v2
	s_delay_alu instid0(VALU_DEP_1) | instskip(SKIP_1) | instid1(VALU_DEP_1)
	v_cndmask_b32_e64 v2, 0xff800000, v109, s13
	v_cmp_eq_u32_e64 s13, 0, v19
	v_cndmask_b32_e64 v18, 0x7f800001, v2, s13
; %bb.4469:                             ;   in Loop: Header=BB2_4287 Depth=3
	s_or_b32 exec_lo, exec_lo, s73
.LBB2_4470:                             ;   in Loop: Header=BB2_4287 Depth=3
	s_delay_alu instid0(SALU_CYCLE_1)
	s_or_b32 exec_lo, exec_lo, s72
.LBB2_4471:                             ;   in Loop: Header=BB2_4287 Depth=3
	s_delay_alu instid0(SALU_CYCLE_1) | instskip(SKIP_3) | instid1(VALU_DEP_1)
	s_or_b32 exec_lo, exec_lo, s14
	v_lshrrev_b16 v2, 8, v56
	s_mov_b32 s72, 0
	s_mov_b32 s14, exec_lo
	v_cmpx_lt_i16_e32 0x7f, v2
	s_xor_b32 s14, exec_lo, s14
	s_cbranch_execz .LBB2_4846
; %bb.4472:                             ;   in Loop: Header=BB2_4287 Depth=3
	s_mov_b32 s72, -1
	s_mov_b32 s73, exec_lo
	v_cmpx_eq_u16_e32 0x80, v2
; %bb.4473:                             ;   in Loop: Header=BB2_4287 Depth=3
	s_xor_b32 s72, exec_lo, -1
; %bb.4474:                             ;   in Loop: Header=BB2_4287 Depth=3
	s_or_b32 exec_lo, exec_lo, s73
	s_delay_alu instid0(SALU_CYCLE_1)
	s_and_b32 s72, s72, exec_lo
	s_or_saveexec_b32 s14, s14
	v_bfrev_b32_e32 v19, 1
	s_xor_b32 exec_lo, exec_lo, s14
	s_cbranch_execnz .LBB2_4847
.LBB2_4475:                             ;   in Loop: Header=BB2_4287 Depth=3
	s_or_b32 exec_lo, exec_lo, s14
	s_and_saveexec_b32 s14, s72
	s_cbranch_execz .LBB2_4477
.LBB2_4476:                             ;   in Loop: Header=BB2_4287 Depth=3
	v_and_b32_e32 v19, 0xffff, v2
	s_delay_alu instid0(VALU_DEP_1) | instskip(NEXT) | instid1(VALU_DEP_1)
	v_and_b32_e32 v20, 3, v19
	v_clz_i32_u32_e32 v21, v20
	s_delay_alu instid0(VALU_DEP_1) | instskip(NEXT) | instid1(VALU_DEP_1)
	v_min_u32_e32 v21, 32, v21
	v_subrev_nc_u32_e32 v57, 29, v21
	s_delay_alu instid0(VALU_DEP_1) | instskip(SKIP_3) | instid1(VALU_DEP_3)
	v_lshlrev_b64_e32 v[58:59], v57, v[2:3]
	v_bfe_u32 v57, v19, 2, 5
	v_dual_lshlrev_b32 v2, 24, v2 :: v_dual_sub_nc_u32 v21, 30, v21
	v_and_b32_e32 v19, 0x7c, v19
	v_cmp_eq_u32_e64 s13, 0, v57
	s_delay_alu instid0(VALU_DEP_3) | instskip(NEXT) | instid1(VALU_DEP_2)
	v_and_b32_e32 v2, 0x80000000, v2
	v_dual_cndmask_b32 v21, v57, v21, s13 :: v_dual_bitop2_b32 v58, 3, v58 bitop3:0x40
	s_delay_alu instid0(VALU_DEP_1) | instskip(SKIP_1) | instid1(VALU_DEP_3)
	v_cndmask_b32_e64 v57, v20, v58, s13
	v_cmp_lt_i16_e64 s13, -1, v56
	v_lshl_add_u32 v2, v21, 23, v2
	s_delay_alu instid0(VALU_DEP_2) | instskip(SKIP_1) | instid1(VALU_DEP_3)
	v_cndmask_b32_e64 v21, 0xff800000, v109, s13
	v_cmp_eq_u32_e64 s13, 0, v20
	v_lshl_or_b32 v2, v57, 21, v2
	s_delay_alu instid0(VALU_DEP_2) | instskip(NEXT) | instid1(VALU_DEP_2)
	v_cndmask_b32_e64 v20, 0x7f800001, v21, s13
	v_add_nc_u32_e32 v2, 0x38000000, v2
	v_cmp_eq_u32_e64 s13, 0x7c, v19
	s_delay_alu instid0(VALU_DEP_1)
	v_cndmask_b32_e64 v19, v2, v20, s13
.LBB2_4477:                             ;   in Loop: Header=BB2_4287 Depth=3
	s_or_b32 exec_lo, exec_lo, s14
	s_delay_alu instid0(VALU_DEP_1) | instskip(SKIP_1) | instid1(VALU_DEP_1)
	v_dual_mul_f32 v19, v18, v19 :: v_dual_mov_b32 v57, v3
                                        ; implicit-def: $vgpr61
	s_mov_b32 s14, exec_lo
	v_and_b32_e32 v56, 0x7f800000, v19
	v_and_b32_e32 v2, 0x7fffff, v19
	v_lshrrev_b32_e32 v18, 24, v19
	s_delay_alu instid0(VALU_DEP_3)
	v_cmpx_ne_u64_e32 0x7f800000, v[56:57]
	s_xor_b32 s72, exec_lo, s14
	s_cbranch_execz .LBB2_4491
; %bb.4478:                             ;   in Loop: Header=BB2_4287 Depth=3
	v_and_b32_e32 v56, 0x7fffffff, v19
	v_mov_b32_e32 v57, v3
	v_and_b32_e32 v18, 0x80, v18
                                        ; implicit-def: $vgpr61
	s_mov_b32 s14, exec_lo
	s_delay_alu instid0(VALU_DEP_2)
	v_cmpx_gt_u64_e32 0x47600001, v[56:57]
	s_xor_b32 s73, exec_lo, s14
	s_cbranch_execz .LBB2_4488
; %bb.4479:                             ;   in Loop: Header=BB2_4287 Depth=3
	v_mov_b32_e32 v61, 0
	s_mov_b32 s74, exec_lo
	v_cmpx_ne_u32_e32 0, v19
	s_cbranch_execz .LBB2_4487
; %bb.4480:                             ;   in Loop: Header=BB2_4287 Depth=3
	v_bfe_u32 v19, v19, 23, 8
	v_or_b32_e32 v21, 0x800000, v2
	s_delay_alu instid0(VALU_DEP_2) | instskip(SKIP_1) | instid1(VALU_DEP_1)
	v_sub_nc_u32_e32 v20, 0x71, v19
	v_cmp_gt_u32_e64 s13, 0x72, v19
	v_cndmask_b32_e64 v20, 0, v20, s13
	v_cmp_eq_u32_e64 s13, 0, v19
	s_delay_alu instid0(VALU_DEP_1) | instskip(NEXT) | instid1(VALU_DEP_3)
	v_cndmask_b32_e64 v2, v21, v2, s13
	v_cndmask_b32_e64 v61, v20, 0x70, s13
	s_delay_alu instid0(VALU_DEP_1) | instskip(NEXT) | instid1(VALU_DEP_1)
	v_add_nc_u32_e32 v20, 21, v61
	v_lshlrev_b64_e64 v[56:57], v20, -1
	v_add_nc_u32_e32 v20, 20, v61
	s_delay_alu instid0(VALU_DEP_1) | instskip(NEXT) | instid1(VALU_DEP_3)
	v_lshlrev_b64_e64 v[58:59], v20, 1
	v_bfi_b32 v89, v57, 0, 0
	s_delay_alu instid0(VALU_DEP_4) | instskip(SKIP_1) | instid1(VALU_DEP_2)
	v_bfi_b32 v88, v56, 0, v2
	v_lshrrev_b64 v[56:57], v61, v[2:3]
	v_cmp_eq_u64_e64 s14, v[88:89], v[58:59]
	s_delay_alu instid0(VALU_DEP_2)
	v_mov_b64_e32 v[58:59], v[56:57]
	s_and_saveexec_b32 s75, s14
; %bb.4481:                             ;   in Loop: Header=BB2_4287 Depth=3
	v_bfe_u32 v2, v56, 21, 1
	s_delay_alu instid0(VALU_DEP_1) | instskip(NEXT) | instid1(VALU_DEP_1)
	v_add_nc_u64_e32 v[58:59], v[56:57], v[2:3]
	v_add_nc_u64_e32 v[58:59], -1, v[58:59]
; %bb.4482:                             ;   in Loop: Header=BB2_4287 Depth=3
	s_or_b32 exec_lo, exec_lo, s75
	v_add_nc_u32_e32 v2, 0xffffff81, v19
	v_lshrrev_b32_e32 v19, 23, v56
	s_mov_b32 s14, exec_lo
	s_delay_alu instid0(VALU_DEP_2) | instskip(NEXT) | instid1(VALU_DEP_1)
	v_cndmask_b32_e64 v2, v2, 0xffffff82, s13
	v_add3_u32 v59, v61, v2, v19
	v_and_b32_e32 v2, 0x1fffff, v58
                                        ; implicit-def: $vgpr19
	s_delay_alu instid0(VALU_DEP_1) | instskip(NEXT) | instid1(VALU_DEP_1)
	v_dual_add_nc_u32 v58, 14, v59 :: v_dual_add_nc_u32 v2, v2, v56
                                        ; implicit-def: $vgpr56_vgpr57
	v_cmpx_ne_u32_e32 0, v58
	s_xor_b32 s14, exec_lo, s14
; %bb.4483:                             ;   in Loop: Header=BB2_4287 Depth=3
	s_delay_alu instid0(VALU_DEP_2) | instskip(SKIP_1) | instid1(VALU_DEP_2)
	v_cmp_lt_u64_e64 s13, 0xffffff, v[2:3]
	v_add_nc_u32_e32 v19, 15, v59
	v_cndmask_b32_e64 v20, 0, 1, s13
	s_delay_alu instid0(VALU_DEP_2) | instskip(NEXT) | instid1(VALU_DEP_2)
	v_cndmask_b32_e64 v19, v58, v19, s13
	v_lshrrev_b64 v[56:57], v20, v[2:3]
; %bb.4484:                             ;   in Loop: Header=BB2_4287 Depth=3
	s_and_not1_saveexec_b32 s13, s14
; %bb.4485:                             ;   in Loop: Header=BB2_4287 Depth=3
	v_mov_b64_e32 v[56:57], v[2:3]
	v_bfe_u32 v19, v2, 23, 1
; %bb.4486:                             ;   in Loop: Header=BB2_4287 Depth=3
	s_or_b32 exec_lo, exec_lo, s13
	s_delay_alu instid0(VALU_DEP_2) | instskip(NEXT) | instid1(VALU_DEP_2)
	v_lshrrev_b64 v[56:57], 21, v[56:57]
	v_cmp_gt_i32_e64 s13, 32, v19
	v_min_i32_e32 v2, 31, v19
	v_cmp_eq_u32_e64 s14, 0, v19
	s_delay_alu instid0(VALU_DEP_2) | instskip(SKIP_1) | instid1(VALU_DEP_2)
	v_dual_cndmask_b32 v57, 0, v57, s13 :: v_dual_lshlrev_b32 v2, 2, v2
	v_cndmask_b32_e64 v56, 3, v56, s13
	v_and_b32_e32 v2, 0xfc, v2
	s_delay_alu instid0(VALU_DEP_2) | instskip(NEXT) | instid1(VALU_DEP_2)
	v_cmp_eq_u64_e64 s13, 0, v[56:57]
	v_and_or_b32 v2, v56, 3, v2
	s_and_b32 s13, s14, s13
	s_delay_alu instid0(VALU_DEP_1) | instid1(SALU_CYCLE_1)
	v_cndmask_b32_e64 v2, v2, 0, s13
	s_delay_alu instid0(VALU_DEP_1)
	v_or_b32_e32 v61, v2, v18
.LBB2_4487:                             ;   in Loop: Header=BB2_4287 Depth=3
	s_or_b32 exec_lo, exec_lo, s74
                                        ; implicit-def: $vgpr18
.LBB2_4488:                             ;   in Loop: Header=BB2_4287 Depth=3
	s_and_not1_saveexec_b32 s13, s73
; %bb.4489:                             ;   in Loop: Header=BB2_4287 Depth=3
	v_or_b32_e32 v61, 0x7b, v18
; %bb.4490:                             ;   in Loop: Header=BB2_4287 Depth=3
	s_or_b32 exec_lo, exec_lo, s13
                                        ; implicit-def: $vgpr19
                                        ; implicit-def: $vgpr18
.LBB2_4491:                             ;   in Loop: Header=BB2_4287 Depth=3
	s_and_not1_saveexec_b32 s14, s72
	s_cbranch_execz .LBB2_4497
; %bb.4492:                             ;   in Loop: Header=BB2_4287 Depth=3
	v_cmp_ne_u64_e64 s13, 0, v[2:3]
                                        ; implicit-def: $vgpr61
	s_and_saveexec_b32 s72, s13
	s_delay_alu instid0(SALU_CYCLE_1)
	s_xor_b32 s13, exec_lo, s72
; %bb.4493:                             ;   in Loop: Header=BB2_4287 Depth=3
	v_or_b32_e32 v61, 0x7f, v18
                                        ; implicit-def: $vgpr19
; %bb.4494:                             ;   in Loop: Header=BB2_4287 Depth=3
	s_and_not1_saveexec_b32 s72, s13
; %bb.4495:                             ;   in Loop: Header=BB2_4287 Depth=3
	v_cmp_lt_i32_e64 s13, -1, v19
	s_delay_alu instid0(VALU_DEP_1)
	v_cndmask_b32_e64 v61, 0xfc, v110, s13
; %bb.4496:                             ;   in Loop: Header=BB2_4287 Depth=3
	s_or_b32 exec_lo, exec_lo, s72
.LBB2_4497:                             ;   in Loop: Header=BB2_4287 Depth=3
	s_delay_alu instid0(SALU_CYCLE_1) | instskip(SKIP_2) | instid1(VALU_DEP_1)
	s_or_b32 exec_lo, exec_lo, s14
	v_dual_lshrrev_b32 v2, 16, v13 :: v_dual_mov_b32 v18, 0
	s_mov_b32 s14, exec_lo
	v_and_b32_e32 v19, 0xff, v2
	s_delay_alu instid0(VALU_DEP_1)
	v_cmpx_ne_u16_e32 0, v19
	s_cbranch_execz .LBB2_4507
; %bb.4498:                             ;   in Loop: Header=BB2_4287 Depth=3
	v_bfrev_b32_e32 v18, 1
	s_mov_b32 s72, exec_lo
	v_cmpx_ne_u16_e32 0x80, v19
	s_cbranch_execz .LBB2_4506
; %bb.4499:                             ;   in Loop: Header=BB2_4287 Depth=3
	v_and_b32_e32 v18, 0x7c0000, v13
	v_bfe_u32 v19, v13, 16, 2
	s_delay_alu instid0(VALU_DEP_2) | instskip(SKIP_1) | instid1(SALU_CYCLE_1)
	v_cmp_ne_u32_e64 s13, 0x7c0000, v18
                                        ; implicit-def: $vgpr18
	s_and_saveexec_b32 s73, s13
	s_xor_b32 s73, exec_lo, s73
	s_cbranch_execz .LBB2_4503
; %bb.4500:                             ;   in Loop: Header=BB2_4287 Depth=3
	v_bfe_u32 v18, v13, 18, 5
	s_mov_b32 s74, exec_lo
	s_delay_alu instid0(VALU_DEP_1)
	v_cmpx_eq_u32_e32 0, v18
; %bb.4501:                             ;   in Loop: Header=BB2_4287 Depth=3
	v_clz_i32_u32_e32 v18, v19
	s_delay_alu instid0(VALU_DEP_1) | instskip(NEXT) | instid1(VALU_DEP_1)
	v_min_u32_e32 v18, 32, v18
	v_subrev_nc_u32_e32 v19, 29, v18
	s_delay_alu instid0(VALU_DEP_1) | instskip(NEXT) | instid1(VALU_DEP_1)
	v_lshlrev_b64_e32 v[56:57], v19, v[2:3]
	v_dual_sub_nc_u32 v18, 30, v18 :: v_dual_bitop2_b32 v19, 3, v56 bitop3:0x40
; %bb.4502:                             ;   in Loop: Header=BB2_4287 Depth=3
	s_or_b32 exec_lo, exec_lo, s74
	v_lshlrev_b32_e32 v2, 24, v2
	s_delay_alu instid0(VALU_DEP_1) | instskip(NEXT) | instid1(VALU_DEP_1)
	v_and_b32_e32 v2, 0x80000000, v2
	v_lshl_add_u32 v2, v18, 23, v2
	s_delay_alu instid0(VALU_DEP_1) | instskip(NEXT) | instid1(VALU_DEP_1)
	v_lshl_or_b32 v2, v19, 21, v2
                                        ; implicit-def: $vgpr19
	v_add_nc_u32_e32 v18, 0x38000000, v2
                                        ; implicit-def: $vgpr2
.LBB2_4503:                             ;   in Loop: Header=BB2_4287 Depth=3
	s_and_not1_saveexec_b32 s73, s73
; %bb.4504:                             ;   in Loop: Header=BB2_4287 Depth=3
	v_bfe_i32 v2, v2, 0, 8
	s_delay_alu instid0(VALU_DEP_1) | instskip(NEXT) | instid1(VALU_DEP_1)
	v_cmp_lt_i16_e64 s13, -1, v2
	v_cndmask_b32_e64 v2, 0xff800000, v109, s13
	v_cmp_eq_u32_e64 s13, 0, v19
	s_delay_alu instid0(VALU_DEP_1)
	v_cndmask_b32_e64 v18, 0x7f800001, v2, s13
; %bb.4505:                             ;   in Loop: Header=BB2_4287 Depth=3
	s_or_b32 exec_lo, exec_lo, s73
.LBB2_4506:                             ;   in Loop: Header=BB2_4287 Depth=3
	s_delay_alu instid0(SALU_CYCLE_1)
	s_or_b32 exec_lo, exec_lo, s72
.LBB2_4507:                             ;   in Loop: Header=BB2_4287 Depth=3
	s_delay_alu instid0(SALU_CYCLE_1) | instskip(SKIP_3) | instid1(VALU_DEP_1)
	s_or_b32 exec_lo, exec_lo, s14
	v_lshrrev_b32_e32 v2, 16, v9
	s_mov_b32 s72, 0
	s_mov_b32 s14, exec_lo
	v_and_b32_e32 v56, 0xff, v2
	s_delay_alu instid0(VALU_DEP_1)
	v_cmpx_lt_i16_e32 0x7f, v56
	s_xor_b32 s14, exec_lo, s14
	s_cbranch_execz .LBB2_4848
; %bb.4508:                             ;   in Loop: Header=BB2_4287 Depth=3
	s_mov_b32 s72, -1
	s_mov_b32 s73, exec_lo
	v_cmpx_eq_u16_e32 0x80, v56
; %bb.4509:                             ;   in Loop: Header=BB2_4287 Depth=3
	s_xor_b32 s72, exec_lo, -1
; %bb.4510:                             ;   in Loop: Header=BB2_4287 Depth=3
	s_or_b32 exec_lo, exec_lo, s73
	s_delay_alu instid0(SALU_CYCLE_1)
	s_and_b32 s72, s72, exec_lo
                                        ; implicit-def: $vgpr56
	s_or_saveexec_b32 s14, s14
	v_bfrev_b32_e32 v19, 1
	s_xor_b32 exec_lo, exec_lo, s14
	s_cbranch_execnz .LBB2_4849
.LBB2_4511:                             ;   in Loop: Header=BB2_4287 Depth=3
	s_or_b32 exec_lo, exec_lo, s14
	s_and_saveexec_b32 s14, s72
	s_cbranch_execz .LBB2_4513
.LBB2_4512:                             ;   in Loop: Header=BB2_4287 Depth=3
	v_and_b32_e32 v19, 3, v2
	s_delay_alu instid0(VALU_DEP_1) | instskip(NEXT) | instid1(VALU_DEP_1)
	v_clz_i32_u32_e32 v20, v19
	v_min_u32_e32 v20, 32, v20
	s_delay_alu instid0(VALU_DEP_1) | instskip(SKIP_1) | instid1(VALU_DEP_2)
	v_subrev_nc_u32_e32 v21, 29, v20
	v_sub_nc_u32_e32 v20, 30, v20
	v_lshlrev_b64_e32 v[56:57], v21, v[2:3]
	v_bfe_u32 v57, v9, 18, 5
	v_lshlrev_b32_e32 v21, 24, v2
	v_bfe_i32 v2, v2, 0, 8
	s_delay_alu instid0(VALU_DEP_3) | instskip(NEXT) | instid1(VALU_DEP_3)
	v_cmp_eq_u32_e64 s13, 0, v57
	v_and_b32_e32 v21, 0x80000000, v21
	v_and_b32_e32 v56, 3, v56
	s_delay_alu instid0(VALU_DEP_3) | instskip(NEXT) | instid1(VALU_DEP_2)
	v_cndmask_b32_e64 v20, v57, v20, s13
	v_cndmask_b32_e64 v56, v19, v56, s13
	v_cmp_lt_i16_e64 s13, -1, v2
	s_delay_alu instid0(VALU_DEP_3) | instskip(SKIP_1) | instid1(VALU_DEP_3)
	v_lshl_add_u32 v20, v20, 23, v21
	v_and_b32_e32 v21, 0x7c0000, v9
	v_cndmask_b32_e64 v2, 0xff800000, v109, s13
	v_cmp_eq_u32_e64 s13, 0, v19
	s_delay_alu instid0(VALU_DEP_4) | instskip(NEXT) | instid1(VALU_DEP_2)
	v_lshl_or_b32 v20, v56, 21, v20
	v_cndmask_b32_e64 v2, 0x7f800001, v2, s13
	s_delay_alu instid0(VALU_DEP_2) | instskip(SKIP_1) | instid1(VALU_DEP_1)
	v_add_nc_u32_e32 v19, 0x38000000, v20
	v_cmp_eq_u32_e64 s13, 0x7c0000, v21
	v_cndmask_b32_e64 v19, v19, v2, s13
.LBB2_4513:                             ;   in Loop: Header=BB2_4287 Depth=3
	s_or_b32 exec_lo, exec_lo, s14
	s_delay_alu instid0(VALU_DEP_1) | instskip(SKIP_1) | instid1(VALU_DEP_1)
	v_dual_mul_f32 v19, v18, v19 :: v_dual_mov_b32 v57, v3
                                        ; implicit-def: $vgpr58
	s_mov_b32 s14, exec_lo
	v_and_b32_e32 v56, 0x7f800000, v19
	v_and_b32_e32 v2, 0x7fffff, v19
	v_lshrrev_b32_e32 v18, 24, v19
	s_delay_alu instid0(VALU_DEP_3)
	v_cmpx_ne_u64_e32 0x7f800000, v[56:57]
	s_xor_b32 s72, exec_lo, s14
	s_cbranch_execz .LBB2_4527
; %bb.4514:                             ;   in Loop: Header=BB2_4287 Depth=3
	v_and_b32_e32 v56, 0x7fffffff, v19
	v_mov_b32_e32 v57, v3
	v_and_b32_e32 v18, 0x80, v18
                                        ; implicit-def: $vgpr58
	s_mov_b32 s14, exec_lo
	s_delay_alu instid0(VALU_DEP_2)
	v_cmpx_gt_u64_e32 0x47600001, v[56:57]
	s_xor_b32 s73, exec_lo, s14
	s_cbranch_execz .LBB2_4524
; %bb.4515:                             ;   in Loop: Header=BB2_4287 Depth=3
	v_mov_b32_e32 v58, 0
	s_mov_b32 s74, exec_lo
	v_cmpx_ne_u32_e32 0, v19
	s_cbranch_execz .LBB2_4523
; %bb.4516:                             ;   in Loop: Header=BB2_4287 Depth=3
	v_bfe_u32 v19, v19, 23, 8
	v_or_b32_e32 v21, 0x800000, v2
	s_delay_alu instid0(VALU_DEP_2) | instskip(SKIP_1) | instid1(VALU_DEP_1)
	v_sub_nc_u32_e32 v20, 0x71, v19
	v_cmp_gt_u32_e64 s13, 0x72, v19
	v_cndmask_b32_e64 v20, 0, v20, s13
	v_cmp_eq_u32_e64 s13, 0, v19
	s_delay_alu instid0(VALU_DEP_1) | instskip(NEXT) | instid1(VALU_DEP_3)
	v_cndmask_b32_e64 v2, v21, v2, s13
	v_cndmask_b32_e64 v88, v20, 0x70, s13
	s_delay_alu instid0(VALU_DEP_1) | instskip(NEXT) | instid1(VALU_DEP_1)
	v_add_nc_u32_e32 v20, 21, v88
	v_lshlrev_b64_e64 v[56:57], v20, -1
	v_add_nc_u32_e32 v20, 20, v88
	s_delay_alu instid0(VALU_DEP_1) | instskip(NEXT) | instid1(VALU_DEP_3)
	v_lshlrev_b64_e64 v[58:59], v20, 1
	v_bfi_b32 v91, v57, 0, 0
	s_delay_alu instid0(VALU_DEP_4) | instskip(SKIP_1) | instid1(VALU_DEP_2)
	v_bfi_b32 v90, v56, 0, v2
	v_lshrrev_b64 v[56:57], v88, v[2:3]
	v_cmp_eq_u64_e64 s14, v[90:91], v[58:59]
	s_delay_alu instid0(VALU_DEP_2)
	v_mov_b64_e32 v[58:59], v[56:57]
	s_and_saveexec_b32 s75, s14
; %bb.4517:                             ;   in Loop: Header=BB2_4287 Depth=3
	v_bfe_u32 v2, v56, 21, 1
	s_delay_alu instid0(VALU_DEP_1) | instskip(NEXT) | instid1(VALU_DEP_1)
	v_add_nc_u64_e32 v[58:59], v[56:57], v[2:3]
	v_add_nc_u64_e32 v[58:59], -1, v[58:59]
; %bb.4518:                             ;   in Loop: Header=BB2_4287 Depth=3
	s_or_b32 exec_lo, exec_lo, s75
	v_add_nc_u32_e32 v2, 0xffffff81, v19
	v_lshrrev_b32_e32 v19, 23, v56
	s_mov_b32 s14, exec_lo
	s_delay_alu instid0(VALU_DEP_2) | instskip(NEXT) | instid1(VALU_DEP_1)
	v_cndmask_b32_e64 v2, v2, 0xffffff82, s13
	v_add3_u32 v59, v88, v2, v19
	v_and_b32_e32 v2, 0x1fffff, v58
                                        ; implicit-def: $vgpr19
	s_delay_alu instid0(VALU_DEP_1) | instskip(NEXT) | instid1(VALU_DEP_1)
	v_dual_add_nc_u32 v58, 14, v59 :: v_dual_add_nc_u32 v2, v2, v56
                                        ; implicit-def: $vgpr56_vgpr57
	v_cmpx_ne_u32_e32 0, v58
	s_xor_b32 s14, exec_lo, s14
; %bb.4519:                             ;   in Loop: Header=BB2_4287 Depth=3
	s_delay_alu instid0(VALU_DEP_2) | instskip(SKIP_1) | instid1(VALU_DEP_2)
	v_cmp_lt_u64_e64 s13, 0xffffff, v[2:3]
	v_add_nc_u32_e32 v19, 15, v59
	v_cndmask_b32_e64 v20, 0, 1, s13
	s_delay_alu instid0(VALU_DEP_2) | instskip(NEXT) | instid1(VALU_DEP_2)
	v_cndmask_b32_e64 v19, v58, v19, s13
	v_lshrrev_b64 v[56:57], v20, v[2:3]
; %bb.4520:                             ;   in Loop: Header=BB2_4287 Depth=3
	s_and_not1_saveexec_b32 s13, s14
; %bb.4521:                             ;   in Loop: Header=BB2_4287 Depth=3
	v_mov_b64_e32 v[56:57], v[2:3]
	v_bfe_u32 v19, v2, 23, 1
; %bb.4522:                             ;   in Loop: Header=BB2_4287 Depth=3
	s_or_b32 exec_lo, exec_lo, s13
	s_delay_alu instid0(VALU_DEP_2) | instskip(NEXT) | instid1(VALU_DEP_2)
	v_lshrrev_b64 v[56:57], 21, v[56:57]
	v_cmp_gt_i32_e64 s13, 32, v19
	v_min_i32_e32 v2, 31, v19
	v_cmp_eq_u32_e64 s14, 0, v19
	s_delay_alu instid0(VALU_DEP_2) | instskip(SKIP_1) | instid1(VALU_DEP_2)
	v_dual_cndmask_b32 v57, 0, v57, s13 :: v_dual_lshlrev_b32 v2, 2, v2
	v_cndmask_b32_e64 v56, 3, v56, s13
	v_and_b32_e32 v2, 0xfc, v2
	s_delay_alu instid0(VALU_DEP_2) | instskip(NEXT) | instid1(VALU_DEP_2)
	v_cmp_eq_u64_e64 s13, 0, v[56:57]
	v_and_or_b32 v2, v56, 3, v2
	s_and_b32 s13, s14, s13
	s_delay_alu instid0(VALU_DEP_1) | instid1(SALU_CYCLE_1)
	v_cndmask_b32_e64 v2, v2, 0, s13
	s_delay_alu instid0(VALU_DEP_1)
	v_or_b32_e32 v58, v2, v18
.LBB2_4523:                             ;   in Loop: Header=BB2_4287 Depth=3
	s_or_b32 exec_lo, exec_lo, s74
                                        ; implicit-def: $vgpr18
.LBB2_4524:                             ;   in Loop: Header=BB2_4287 Depth=3
	s_and_not1_saveexec_b32 s13, s73
; %bb.4525:                             ;   in Loop: Header=BB2_4287 Depth=3
	v_or_b32_e32 v58, 0x7b, v18
; %bb.4526:                             ;   in Loop: Header=BB2_4287 Depth=3
	s_or_b32 exec_lo, exec_lo, s13
                                        ; implicit-def: $vgpr19
                                        ; implicit-def: $vgpr18
.LBB2_4527:                             ;   in Loop: Header=BB2_4287 Depth=3
	s_and_not1_saveexec_b32 s14, s72
	s_cbranch_execz .LBB2_4533
; %bb.4528:                             ;   in Loop: Header=BB2_4287 Depth=3
	v_cmp_ne_u64_e64 s13, 0, v[2:3]
                                        ; implicit-def: $vgpr58
	s_and_saveexec_b32 s72, s13
	s_delay_alu instid0(SALU_CYCLE_1)
	s_xor_b32 s13, exec_lo, s72
; %bb.4529:                             ;   in Loop: Header=BB2_4287 Depth=3
	v_or_b32_e32 v58, 0x7f, v18
                                        ; implicit-def: $vgpr19
; %bb.4530:                             ;   in Loop: Header=BB2_4287 Depth=3
	s_and_not1_saveexec_b32 s72, s13
; %bb.4531:                             ;   in Loop: Header=BB2_4287 Depth=3
	v_cmp_lt_i32_e64 s13, -1, v19
	s_delay_alu instid0(VALU_DEP_1)
	v_cndmask_b32_e64 v58, 0xfc, v110, s13
; %bb.4532:                             ;   in Loop: Header=BB2_4287 Depth=3
	s_or_b32 exec_lo, exec_lo, s72
.LBB2_4533:                             ;   in Loop: Header=BB2_4287 Depth=3
	s_delay_alu instid0(SALU_CYCLE_1)
	s_or_b32 exec_lo, exec_lo, s14
	v_mov_b32_e32 v18, 0
	s_mov_b32 s14, exec_lo
	v_cmpx_lt_u64_e64 s[22:23], v[12:13]
	s_cbranch_execz .LBB2_4543
; %bb.4534:                             ;   in Loop: Header=BB2_4287 Depth=3
	v_lshrrev_b32_e32 v2, 24, v13
	v_bfrev_b32_e32 v18, 1
	s_mov_b32 s72, exec_lo
	s_delay_alu instid0(VALU_DEP_2)
	v_cmpx_ne_u32_e32 0x80, v2
	s_cbranch_execz .LBB2_4542
; %bb.4535:                             ;   in Loop: Header=BB2_4287 Depth=3
	v_and_b32_e32 v18, 0x7c000000, v13
	v_bfe_u32 v19, v13, 24, 2
	s_delay_alu instid0(VALU_DEP_2) | instskip(SKIP_1) | instid1(SALU_CYCLE_1)
	v_cmp_ne_u32_e64 s13, 0x7c000000, v18
                                        ; implicit-def: $vgpr18
	s_and_saveexec_b32 s73, s13
	s_xor_b32 s73, exec_lo, s73
	s_cbranch_execz .LBB2_4539
; %bb.4536:                             ;   in Loop: Header=BB2_4287 Depth=3
	v_bfe_u32 v18, v13, 26, 5
	s_mov_b32 s74, exec_lo
	s_delay_alu instid0(VALU_DEP_1)
	v_cmpx_eq_u32_e32 0, v18
; %bb.4537:                             ;   in Loop: Header=BB2_4287 Depth=3
	v_clz_i32_u32_e32 v18, v19
	s_delay_alu instid0(VALU_DEP_1) | instskip(NEXT) | instid1(VALU_DEP_1)
	v_min_u32_e32 v18, 32, v18
	v_subrev_nc_u32_e32 v19, 29, v18
	s_delay_alu instid0(VALU_DEP_1) | instskip(NEXT) | instid1(VALU_DEP_1)
	v_lshlrev_b64_e32 v[56:57], v19, v[2:3]
	v_dual_sub_nc_u32 v18, 30, v18 :: v_dual_bitop2_b32 v19, 3, v56 bitop3:0x40
; %bb.4538:                             ;   in Loop: Header=BB2_4287 Depth=3
	s_or_b32 exec_lo, exec_lo, s74
	v_and_b32_e32 v2, 0x80000000, v13
	s_delay_alu instid0(VALU_DEP_1) | instskip(NEXT) | instid1(VALU_DEP_1)
	v_lshl_add_u32 v2, v18, 23, v2
	v_lshl_or_b32 v2, v19, 21, v2
                                        ; implicit-def: $vgpr19
	s_delay_alu instid0(VALU_DEP_1)
	v_add_nc_u32_e32 v18, 0x38000000, v2
.LBB2_4539:                             ;   in Loop: Header=BB2_4287 Depth=3
	s_and_not1_saveexec_b32 s73, s73
; %bb.4540:                             ;   in Loop: Header=BB2_4287 Depth=3
	v_cmp_lt_i64_e64 s13, -1, v[12:13]
	s_delay_alu instid0(VALU_DEP_1) | instskip(SKIP_1) | instid1(VALU_DEP_1)
	v_cndmask_b32_e64 v2, 0xff800000, v109, s13
	v_cmp_eq_u32_e64 s13, 0, v19
	v_cndmask_b32_e64 v18, 0x7f800001, v2, s13
; %bb.4541:                             ;   in Loop: Header=BB2_4287 Depth=3
	s_or_b32 exec_lo, exec_lo, s73
.LBB2_4542:                             ;   in Loop: Header=BB2_4287 Depth=3
	s_delay_alu instid0(SALU_CYCLE_1)
	s_or_b32 exec_lo, exec_lo, s72
.LBB2_4543:                             ;   in Loop: Header=BB2_4287 Depth=3
	s_delay_alu instid0(SALU_CYCLE_1) | instskip(SKIP_3) | instid1(VALU_DEP_2)
	s_or_b32 exec_lo, exec_lo, s14
	v_bfe_u32 v19, v9, 24, 2
	v_bfe_u32 v21, v9, 26, 5
	s_mov_b32 s14, exec_lo
	v_clz_i32_u32_e32 v2, v19
	s_delay_alu instid0(VALU_DEP_2) | instskip(NEXT) | instid1(VALU_DEP_2)
	v_cmp_eq_u32_e64 s13, 0, v21
	v_min_u32_e32 v20, 32, v2
	v_lshrrev_b32_e32 v2, 24, v9
	s_delay_alu instid0(VALU_DEP_2) | instskip(NEXT) | instid1(VALU_DEP_1)
	v_subrev_nc_u32_e32 v12, 29, v20
	v_lshlrev_b64_e32 v[12:13], v12, v[2:3]
	v_sub_nc_u32_e32 v13, 30, v20
	v_and_b32_e32 v20, 0x80000000, v9
	s_delay_alu instid0(VALU_DEP_2) | instskip(NEXT) | instid1(VALU_DEP_1)
	v_dual_cndmask_b32 v13, v21, v13, s13 :: v_dual_bitop2_b32 v12, 3, v12 bitop3:0x40
	v_lshl_add_u32 v13, v13, 23, v20
	s_delay_alu instid0(VALU_DEP_2) | instskip(SKIP_1) | instid1(VALU_DEP_2)
	v_cndmask_b32_e64 v12, v19, v12, s13
	v_cmp_lt_i64_e64 s13, -1, v[8:9]
	v_lshl_or_b32 v12, v12, 21, v13
	v_and_b32_e32 v13, 0x7c000000, v9
	s_delay_alu instid0(VALU_DEP_3) | instskip(SKIP_1) | instid1(VALU_DEP_4)
	v_cndmask_b32_e64 v20, 0xff800000, v109, s13
	v_cmp_eq_u32_e64 s13, 0, v19
	v_add_nc_u32_e32 v12, 0x38000000, v12
	s_delay_alu instid0(VALU_DEP_2) | instskip(SKIP_1) | instid1(VALU_DEP_1)
	v_cndmask_b32_e64 v19, 0x7f800001, v20, s13
	v_cmp_eq_u32_e64 s13, 0x7c000000, v13
	v_dual_mov_b32 v13, v3 :: v_dual_cndmask_b32 v12, v12, v19, s13
	v_cmp_ne_u32_e64 s13, 0x80, v2
	s_delay_alu instid0(VALU_DEP_1) | instskip(SKIP_1) | instid1(VALU_DEP_1)
	v_cndmask_b32_e64 v2, 0x80000000, v12, s13
	v_cmp_lt_u64_e64 s13, s[22:23], v[8:9]
	v_cndmask_b32_e64 v2, 0, v2, s13
	s_delay_alu instid0(VALU_DEP_1) | instskip(NEXT) | instid1(VALU_DEP_1)
	v_mul_f32_e32 v8, v2, v18
                                        ; implicit-def: $vgpr18
	v_and_b32_e32 v12, 0x7f800000, v8
	v_and_b32_e32 v2, 0x7fffff, v8
	v_lshrrev_b32_e32 v9, 24, v8
	s_delay_alu instid0(VALU_DEP_3)
	v_cmpx_ne_u64_e32 0x7f800000, v[12:13]
	s_xor_b32 s72, exec_lo, s14
	s_cbranch_execz .LBB2_4557
; %bb.4544:                             ;   in Loop: Header=BB2_4287 Depth=3
	v_and_b32_e32 v12, 0x7fffffff, v8
	v_mov_b32_e32 v13, v3
	v_and_b32_e32 v19, 0x80, v9
                                        ; implicit-def: $vgpr18
	s_mov_b32 s14, exec_lo
	s_delay_alu instid0(VALU_DEP_2)
	v_cmpx_gt_u64_e32 0x47600001, v[12:13]
	s_xor_b32 s73, exec_lo, s14
	s_cbranch_execz .LBB2_4554
; %bb.4545:                             ;   in Loop: Header=BB2_4287 Depth=3
	v_mov_b32_e32 v18, 0
	s_mov_b32 s74, exec_lo
	v_cmpx_ne_u32_e32 0, v8
	s_cbranch_execz .LBB2_4553
; %bb.4546:                             ;   in Loop: Header=BB2_4287 Depth=3
	v_bfe_u32 v18, v8, 23, 8
	v_or_b32_e32 v12, 0x800000, v2
	s_delay_alu instid0(VALU_DEP_2) | instskip(SKIP_1) | instid1(VALU_DEP_1)
	v_sub_nc_u32_e32 v8, 0x71, v18
	v_cmp_gt_u32_e64 s13, 0x72, v18
	v_cndmask_b32_e64 v8, 0, v8, s13
	v_cmp_eq_u32_e64 s13, 0, v18
	s_delay_alu instid0(VALU_DEP_1) | instskip(NEXT) | instid1(VALU_DEP_3)
	v_cndmask_b32_e64 v2, v12, v2, s13
	v_cndmask_b32_e64 v56, v8, 0x70, s13
	s_delay_alu instid0(VALU_DEP_1) | instskip(NEXT) | instid1(VALU_DEP_1)
	v_dual_add_nc_u32 v8, 21, v56 :: v_dual_add_nc_u32 v13, 20, v56
	v_lshlrev_b64_e64 v[8:9], v8, -1
	s_delay_alu instid0(VALU_DEP_2) | instskip(NEXT) | instid1(VALU_DEP_2)
	v_lshlrev_b64_e64 v[12:13], v13, 1
	v_bfi_b32 v89, v9, 0, 0
	s_delay_alu instid0(VALU_DEP_3) | instskip(SKIP_1) | instid1(VALU_DEP_2)
	v_bfi_b32 v88, v8, 0, v2
	v_lshrrev_b64 v[8:9], v56, v[2:3]
	v_cmp_eq_u64_e64 s14, v[88:89], v[12:13]
	s_delay_alu instid0(VALU_DEP_2)
	v_mov_b64_e32 v[12:13], v[8:9]
	s_and_saveexec_b32 s75, s14
; %bb.4547:                             ;   in Loop: Header=BB2_4287 Depth=3
	v_bfe_u32 v2, v8, 21, 1
	s_delay_alu instid0(VALU_DEP_1) | instskip(NEXT) | instid1(VALU_DEP_1)
	v_add_nc_u64_e32 v[12:13], v[8:9], v[2:3]
	v_add_nc_u64_e32 v[12:13], -1, v[12:13]
; %bb.4548:                             ;   in Loop: Header=BB2_4287 Depth=3
	s_or_b32 exec_lo, exec_lo, s75
	v_add_nc_u32_e32 v2, 0xffffff81, v18
	v_lshrrev_b32_e32 v9, 23, v8
	s_mov_b32 s14, exec_lo
	s_delay_alu instid0(VALU_DEP_2) | instskip(NEXT) | instid1(VALU_DEP_1)
	v_cndmask_b32_e64 v2, v2, 0xffffff82, s13
	v_add3_u32 v13, v56, v2, v9
	v_and_b32_e32 v2, 0x1fffff, v12
                                        ; implicit-def: $vgpr12
	s_delay_alu instid0(VALU_DEP_1) | instskip(NEXT) | instid1(VALU_DEP_1)
	v_dual_add_nc_u32 v18, 14, v13 :: v_dual_add_nc_u32 v2, v2, v8
                                        ; implicit-def: $vgpr8_vgpr9
	v_cmpx_ne_u32_e32 0, v18
	s_xor_b32 s14, exec_lo, s14
; %bb.4549:                             ;   in Loop: Header=BB2_4287 Depth=3
	s_delay_alu instid0(VALU_DEP_2) | instskip(SKIP_1) | instid1(VALU_DEP_1)
	v_cmp_lt_u64_e64 s13, 0xffffff, v[2:3]
	v_add_nc_u32_e32 v8, 15, v13
	v_cndmask_b32_e64 v12, v18, v8, s13
	v_cndmask_b32_e64 v8, 0, 1, s13
	s_delay_alu instid0(VALU_DEP_1)
	v_lshrrev_b64 v[8:9], v8, v[2:3]
; %bb.4550:                             ;   in Loop: Header=BB2_4287 Depth=3
	s_and_not1_saveexec_b32 s13, s14
; %bb.4551:                             ;   in Loop: Header=BB2_4287 Depth=3
	v_mov_b64_e32 v[8:9], v[2:3]
	v_bfe_u32 v12, v2, 23, 1
; %bb.4552:                             ;   in Loop: Header=BB2_4287 Depth=3
	s_or_b32 exec_lo, exec_lo, s13
	s_delay_alu instid0(VALU_DEP_2) | instskip(NEXT) | instid1(VALU_DEP_2)
	v_lshrrev_b64 v[8:9], 21, v[8:9]
	v_cmp_gt_i32_e64 s13, 32, v12
	v_min_i32_e32 v2, 31, v12
	v_cmp_eq_u32_e64 s14, 0, v12
	s_delay_alu instid0(VALU_DEP_2) | instskip(SKIP_1) | instid1(VALU_DEP_2)
	v_dual_cndmask_b32 v9, 0, v9, s13 :: v_dual_lshlrev_b32 v2, 2, v2
	v_cndmask_b32_e64 v8, 3, v8, s13
	v_and_b32_e32 v2, 0xfc, v2
	s_delay_alu instid0(VALU_DEP_2) | instskip(NEXT) | instid1(VALU_DEP_2)
	v_cmp_eq_u64_e64 s13, 0, v[8:9]
	v_and_or_b32 v2, v8, 3, v2
	s_and_b32 s13, s14, s13
	s_delay_alu instid0(VALU_DEP_1) | instid1(SALU_CYCLE_1)
	v_cndmask_b32_e64 v2, v2, 0, s13
	s_delay_alu instid0(VALU_DEP_1)
	v_or_b32_e32 v18, v2, v19
.LBB2_4553:                             ;   in Loop: Header=BB2_4287 Depth=3
	s_or_b32 exec_lo, exec_lo, s74
                                        ; implicit-def: $vgpr19
.LBB2_4554:                             ;   in Loop: Header=BB2_4287 Depth=3
	s_and_not1_saveexec_b32 s13, s73
; %bb.4555:                             ;   in Loop: Header=BB2_4287 Depth=3
	v_or_b32_e32 v18, 0x7b, v19
; %bb.4556:                             ;   in Loop: Header=BB2_4287 Depth=3
	s_or_b32 exec_lo, exec_lo, s13
                                        ; implicit-def: $vgpr8
                                        ; implicit-def: $vgpr9
.LBB2_4557:                             ;   in Loop: Header=BB2_4287 Depth=3
	s_and_not1_saveexec_b32 s14, s72
	s_cbranch_execz .LBB2_4563
; %bb.4558:                             ;   in Loop: Header=BB2_4287 Depth=3
	v_cmp_ne_u64_e64 s13, 0, v[2:3]
                                        ; implicit-def: $vgpr18
	s_and_saveexec_b32 s72, s13
	s_delay_alu instid0(SALU_CYCLE_1)
	s_xor_b32 s13, exec_lo, s72
; %bb.4559:                             ;   in Loop: Header=BB2_4287 Depth=3
	v_or_b32_e32 v18, 0x7f, v9
                                        ; implicit-def: $vgpr8
; %bb.4560:                             ;   in Loop: Header=BB2_4287 Depth=3
	s_and_not1_saveexec_b32 s72, s13
; %bb.4561:                             ;   in Loop: Header=BB2_4287 Depth=3
	v_cmp_lt_i32_e64 s13, -1, v8
	s_delay_alu instid0(VALU_DEP_1)
	v_cndmask_b32_e64 v18, 0xfc, v110, s13
; %bb.4562:                             ;   in Loop: Header=BB2_4287 Depth=3
	s_or_b32 exec_lo, exec_lo, s72
.LBB2_4563:                             ;   in Loop: Header=BB2_4287 Depth=3
	s_delay_alu instid0(SALU_CYCLE_1) | instskip(SKIP_1) | instid1(VALU_DEP_1)
	s_or_b32 exec_lo, exec_lo, s14
	v_and_b32_e32 v2, 0xff, v14
	v_cmp_ne_u16_e64 s13, 0, v2
	v_mov_b32_e32 v2, 0
	s_and_saveexec_b32 s14, s13
	s_cbranch_execz .LBB2_4573
; %bb.4564:                             ;   in Loop: Header=BB2_4287 Depth=3
	v_bfe_i32 v9, v14, 0, 8
	v_bfrev_b32_e32 v2, 1
	s_mov_b32 s72, exec_lo
	s_delay_alu instid0(VALU_DEP_2)
	v_cmpx_ne_u16_e32 0xff80, v9
	s_cbranch_execz .LBB2_4572
; %bb.4565:                             ;   in Loop: Header=BB2_4287 Depth=3
	v_and_b32_e32 v2, 0x7c, v14
	v_and_b32_e32 v8, 3, v14
	s_delay_alu instid0(VALU_DEP_2) | instskip(SKIP_1) | instid1(SALU_CYCLE_1)
	v_cmp_ne_u32_e64 s13, 0x7c, v2
                                        ; implicit-def: $vgpr2
	s_and_saveexec_b32 s73, s13
	s_xor_b32 s73, exec_lo, s73
	s_cbranch_execz .LBB2_4569
; %bb.4566:                             ;   in Loop: Header=BB2_4287 Depth=3
	v_bfe_u32 v2, v14, 2, 5
	s_mov_b32 s74, exec_lo
	s_delay_alu instid0(VALU_DEP_1)
	v_cmpx_eq_u32_e32 0, v2
; %bb.4567:                             ;   in Loop: Header=BB2_4287 Depth=3
	v_clz_i32_u32_e32 v2, v8
	s_delay_alu instid0(VALU_DEP_1) | instskip(NEXT) | instid1(VALU_DEP_1)
	v_min_u32_e32 v2, 32, v2
	v_subrev_nc_u32_e32 v8, 29, v2
	s_delay_alu instid0(VALU_DEP_1) | instskip(NEXT) | instid1(VALU_DEP_1)
	v_lshlrev_b64_e32 v[8:9], v8, v[14:15]
	v_dual_sub_nc_u32 v2, 30, v2 :: v_dual_bitop2_b32 v8, 3, v8 bitop3:0x40
; %bb.4568:                             ;   in Loop: Header=BB2_4287 Depth=3
	s_or_b32 exec_lo, exec_lo, s74
	v_lshlrev_b32_e32 v9, 24, v14
	s_delay_alu instid0(VALU_DEP_1) | instskip(NEXT) | instid1(VALU_DEP_1)
	v_and_b32_e32 v9, 0x80000000, v9
	v_lshl_add_u32 v2, v2, 23, v9
                                        ; implicit-def: $vgpr9
	s_delay_alu instid0(VALU_DEP_1) | instskip(NEXT) | instid1(VALU_DEP_1)
	v_lshl_or_b32 v2, v8, 21, v2
                                        ; implicit-def: $vgpr8
	v_add_nc_u32_e32 v2, 0x38000000, v2
.LBB2_4569:                             ;   in Loop: Header=BB2_4287 Depth=3
	s_and_not1_saveexec_b32 s73, s73
; %bb.4570:                             ;   in Loop: Header=BB2_4287 Depth=3
	v_cmp_lt_i16_e64 s13, -1, v9
	s_delay_alu instid0(VALU_DEP_1) | instskip(SKIP_1) | instid1(VALU_DEP_1)
	v_cndmask_b32_e64 v2, 0xff800000, v109, s13
	v_cmp_eq_u32_e64 s13, 0, v8
	v_cndmask_b32_e64 v2, 0x7f800001, v2, s13
; %bb.4571:                             ;   in Loop: Header=BB2_4287 Depth=3
	s_or_b32 exec_lo, exec_lo, s73
.LBB2_4572:                             ;   in Loop: Header=BB2_4287 Depth=3
	s_delay_alu instid0(SALU_CYCLE_1)
	s_or_b32 exec_lo, exec_lo, s72
.LBB2_4573:                             ;   in Loop: Header=BB2_4287 Depth=3
	s_delay_alu instid0(SALU_CYCLE_1) | instskip(SKIP_3) | instid1(VALU_DEP_1)
	s_or_b32 exec_lo, exec_lo, s14
	v_and_b32_e32 v9, 0xff, v10
	s_mov_b32 s72, 0
	s_mov_b32 s14, exec_lo
	v_cmpx_lt_i16_e32 0x7f, v9
	s_xor_b32 s14, exec_lo, s14
	s_cbranch_execz .LBB2_4850
; %bb.4574:                             ;   in Loop: Header=BB2_4287 Depth=3
	s_mov_b32 s72, -1
	s_mov_b32 s73, exec_lo
	v_cmpx_eq_u16_e32 0x80, v9
; %bb.4575:                             ;   in Loop: Header=BB2_4287 Depth=3
	s_xor_b32 s72, exec_lo, -1
; %bb.4576:                             ;   in Loop: Header=BB2_4287 Depth=3
	s_or_b32 exec_lo, exec_lo, s73
	s_delay_alu instid0(SALU_CYCLE_1)
	s_and_b32 s72, s72, exec_lo
                                        ; implicit-def: $vgpr9
	s_or_saveexec_b32 s14, s14
	v_bfrev_b32_e32 v8, 1
	s_xor_b32 exec_lo, exec_lo, s14
	s_cbranch_execnz .LBB2_4851
.LBB2_4577:                             ;   in Loop: Header=BB2_4287 Depth=3
	s_or_b32 exec_lo, exec_lo, s14
	s_and_saveexec_b32 s14, s72
	s_cbranch_execz .LBB2_4579
.LBB2_4578:                             ;   in Loop: Header=BB2_4287 Depth=3
	v_and_b32_e32 v12, 3, v10
	v_bfe_u32 v19, v10, 2, 5
	s_delay_alu instid0(VALU_DEP_2) | instskip(NEXT) | instid1(VALU_DEP_2)
	v_clz_i32_u32_e32 v8, v12
	v_cmp_eq_u32_e64 s13, 0, v19
	s_delay_alu instid0(VALU_DEP_2) | instskip(NEXT) | instid1(VALU_DEP_1)
	v_min_u32_e32 v13, 32, v8
	v_subrev_nc_u32_e32 v8, 29, v13
	s_delay_alu instid0(VALU_DEP_1) | instskip(SKIP_1) | instid1(VALU_DEP_1)
	v_lshlrev_b64_e32 v[8:9], v8, v[10:11]
	v_dual_lshlrev_b32 v9, 24, v10 :: v_dual_sub_nc_u32 v13, 30, v13
	v_and_b32_e32 v9, 0x80000000, v9
	s_delay_alu instid0(VALU_DEP_2) | instskip(SKIP_1) | instid1(VALU_DEP_2)
	v_dual_cndmask_b32 v13, v19, v13, s13 :: v_dual_bitop2_b32 v8, 3, v8 bitop3:0x40
	v_bfe_i32 v19, v10, 0, 8
	v_cndmask_b32_e64 v8, v12, v8, s13
	s_delay_alu instid0(VALU_DEP_3) | instskip(NEXT) | instid1(VALU_DEP_3)
	v_lshl_add_u32 v9, v13, 23, v9
	v_cmp_lt_i16_e64 s13, -1, v19
	s_delay_alu instid0(VALU_DEP_2) | instskip(NEXT) | instid1(VALU_DEP_2)
	v_lshl_or_b32 v8, v8, 21, v9
	v_cndmask_b32_e64 v13, 0xff800000, v109, s13
	v_and_b32_e32 v9, 0x7c, v10
	v_cmp_eq_u32_e64 s13, 0, v12
	s_delay_alu instid0(VALU_DEP_4) | instskip(NEXT) | instid1(VALU_DEP_2)
	v_add_nc_u32_e32 v8, 0x38000000, v8
	v_cndmask_b32_e64 v12, 0x7f800001, v13, s13
	s_delay_alu instid0(VALU_DEP_4) | instskip(NEXT) | instid1(VALU_DEP_1)
	v_cmp_eq_u32_e64 s13, 0x7c, v9
	v_cndmask_b32_e64 v8, v8, v12, s13
.LBB2_4579:                             ;   in Loop: Header=BB2_4287 Depth=3
	s_or_b32 exec_lo, exec_lo, s14
	s_delay_alu instid0(VALU_DEP_1) | instskip(SKIP_1) | instid1(VALU_DEP_1)
	v_dual_mul_f32 v8, v2, v8 :: v_dual_mov_b32 v13, v3
                                        ; implicit-def: $vgpr19
	s_mov_b32 s14, exec_lo
	v_and_b32_e32 v12, 0x7f800000, v8
	v_and_b32_e32 v2, 0x7fffff, v8
	v_lshrrev_b32_e32 v9, 24, v8
	s_delay_alu instid0(VALU_DEP_3)
	v_cmpx_ne_u64_e32 0x7f800000, v[12:13]
	s_xor_b32 s72, exec_lo, s14
	s_cbranch_execz .LBB2_4593
; %bb.4580:                             ;   in Loop: Header=BB2_4287 Depth=3
	v_and_b32_e32 v12, 0x7fffffff, v8
	v_mov_b32_e32 v13, v3
	v_and_b32_e32 v56, 0x80, v9
                                        ; implicit-def: $vgpr19
	s_mov_b32 s14, exec_lo
	s_delay_alu instid0(VALU_DEP_2)
	v_cmpx_gt_u64_e32 0x47600001, v[12:13]
	s_xor_b32 s73, exec_lo, s14
	s_cbranch_execz .LBB2_4590
; %bb.4581:                             ;   in Loop: Header=BB2_4287 Depth=3
	v_mov_b32_e32 v19, 0
	s_mov_b32 s74, exec_lo
	v_cmpx_ne_u32_e32 0, v8
	s_cbranch_execz .LBB2_4589
; %bb.4582:                             ;   in Loop: Header=BB2_4287 Depth=3
	v_bfe_u32 v19, v8, 23, 8
	v_or_b32_e32 v12, 0x800000, v2
	s_delay_alu instid0(VALU_DEP_2) | instskip(SKIP_1) | instid1(VALU_DEP_1)
	v_sub_nc_u32_e32 v8, 0x71, v19
	v_cmp_gt_u32_e64 s13, 0x72, v19
	v_cndmask_b32_e64 v8, 0, v8, s13
	v_cmp_eq_u32_e64 s13, 0, v19
	s_delay_alu instid0(VALU_DEP_1) | instskip(NEXT) | instid1(VALU_DEP_1)
	v_cndmask_b32_e64 v57, v8, 0x70, s13
	v_dual_cndmask_b32 v2, v12, v2, s13 :: v_dual_add_nc_u32 v8, 21, v57
	v_add_nc_u32_e32 v13, 20, v57
	s_delay_alu instid0(VALU_DEP_2) | instskip(NEXT) | instid1(VALU_DEP_2)
	v_lshlrev_b64_e64 v[8:9], v8, -1
	v_lshlrev_b64_e64 v[12:13], v13, 1
	s_delay_alu instid0(VALU_DEP_2) | instskip(NEXT) | instid1(VALU_DEP_3)
	v_bfi_b32 v89, v9, 0, 0
	v_bfi_b32 v88, v8, 0, v2
	v_lshrrev_b64 v[8:9], v57, v[2:3]
	s_delay_alu instid0(VALU_DEP_2) | instskip(NEXT) | instid1(VALU_DEP_2)
	v_cmp_eq_u64_e64 s14, v[88:89], v[12:13]
	v_mov_b64_e32 v[12:13], v[8:9]
	s_and_saveexec_b32 s75, s14
; %bb.4583:                             ;   in Loop: Header=BB2_4287 Depth=3
	v_bfe_u32 v2, v8, 21, 1
	s_delay_alu instid0(VALU_DEP_1) | instskip(NEXT) | instid1(VALU_DEP_1)
	v_add_nc_u64_e32 v[12:13], v[8:9], v[2:3]
	v_add_nc_u64_e32 v[12:13], -1, v[12:13]
; %bb.4584:                             ;   in Loop: Header=BB2_4287 Depth=3
	s_or_b32 exec_lo, exec_lo, s75
	v_add_nc_u32_e32 v2, 0xffffff81, v19
	v_lshrrev_b32_e32 v9, 23, v8
	s_mov_b32 s14, exec_lo
	s_delay_alu instid0(VALU_DEP_2) | instskip(NEXT) | instid1(VALU_DEP_1)
	v_cndmask_b32_e64 v2, v2, 0xffffff82, s13
	v_add3_u32 v13, v57, v2, v9
	v_and_b32_e32 v2, 0x1fffff, v12
                                        ; implicit-def: $vgpr12
	s_delay_alu instid0(VALU_DEP_1) | instskip(NEXT) | instid1(VALU_DEP_1)
	v_dual_add_nc_u32 v19, 14, v13 :: v_dual_add_nc_u32 v2, v2, v8
                                        ; implicit-def: $vgpr8_vgpr9
	v_cmpx_ne_u32_e32 0, v19
	s_xor_b32 s14, exec_lo, s14
; %bb.4585:                             ;   in Loop: Header=BB2_4287 Depth=3
	s_delay_alu instid0(VALU_DEP_2) | instskip(SKIP_1) | instid1(VALU_DEP_1)
	v_cmp_lt_u64_e64 s13, 0xffffff, v[2:3]
	v_add_nc_u32_e32 v8, 15, v13
	v_cndmask_b32_e64 v12, v19, v8, s13
	v_cndmask_b32_e64 v8, 0, 1, s13
	s_delay_alu instid0(VALU_DEP_1)
	v_lshrrev_b64 v[8:9], v8, v[2:3]
; %bb.4586:                             ;   in Loop: Header=BB2_4287 Depth=3
	s_and_not1_saveexec_b32 s13, s14
; %bb.4587:                             ;   in Loop: Header=BB2_4287 Depth=3
	v_mov_b64_e32 v[8:9], v[2:3]
	v_bfe_u32 v12, v2, 23, 1
; %bb.4588:                             ;   in Loop: Header=BB2_4287 Depth=3
	s_or_b32 exec_lo, exec_lo, s13
	s_delay_alu instid0(VALU_DEP_2) | instskip(NEXT) | instid1(VALU_DEP_2)
	v_lshrrev_b64 v[8:9], 21, v[8:9]
	v_cmp_gt_i32_e64 s13, 32, v12
	v_min_i32_e32 v2, 31, v12
	v_cmp_eq_u32_e64 s14, 0, v12
	s_delay_alu instid0(VALU_DEP_2) | instskip(SKIP_1) | instid1(VALU_DEP_2)
	v_dual_cndmask_b32 v9, 0, v9, s13 :: v_dual_lshlrev_b32 v2, 2, v2
	v_cndmask_b32_e64 v8, 3, v8, s13
	v_and_b32_e32 v2, 0xfc, v2
	s_delay_alu instid0(VALU_DEP_2) | instskip(NEXT) | instid1(VALU_DEP_2)
	v_cmp_eq_u64_e64 s13, 0, v[8:9]
	v_and_or_b32 v2, v8, 3, v2
	s_and_b32 s13, s14, s13
	s_delay_alu instid0(VALU_DEP_1) | instid1(SALU_CYCLE_1)
	v_cndmask_b32_e64 v2, v2, 0, s13
	s_delay_alu instid0(VALU_DEP_1)
	v_or_b32_e32 v19, v2, v56
.LBB2_4589:                             ;   in Loop: Header=BB2_4287 Depth=3
	s_or_b32 exec_lo, exec_lo, s74
                                        ; implicit-def: $vgpr56
.LBB2_4590:                             ;   in Loop: Header=BB2_4287 Depth=3
	s_and_not1_saveexec_b32 s13, s73
; %bb.4591:                             ;   in Loop: Header=BB2_4287 Depth=3
	v_or_b32_e32 v19, 0x7b, v56
; %bb.4592:                             ;   in Loop: Header=BB2_4287 Depth=3
	s_or_b32 exec_lo, exec_lo, s13
                                        ; implicit-def: $vgpr8
                                        ; implicit-def: $vgpr9
.LBB2_4593:                             ;   in Loop: Header=BB2_4287 Depth=3
	s_and_not1_saveexec_b32 s14, s72
	s_cbranch_execz .LBB2_4599
; %bb.4594:                             ;   in Loop: Header=BB2_4287 Depth=3
	v_cmp_ne_u64_e64 s13, 0, v[2:3]
                                        ; implicit-def: $vgpr19
	s_and_saveexec_b32 s72, s13
	s_delay_alu instid0(SALU_CYCLE_1)
	s_xor_b32 s13, exec_lo, s72
; %bb.4595:                             ;   in Loop: Header=BB2_4287 Depth=3
	v_or_b32_e32 v19, 0x7f, v9
                                        ; implicit-def: $vgpr8
; %bb.4596:                             ;   in Loop: Header=BB2_4287 Depth=3
	s_and_not1_saveexec_b32 s72, s13
; %bb.4597:                             ;   in Loop: Header=BB2_4287 Depth=3
	v_cmp_lt_i32_e64 s13, -1, v8
	s_delay_alu instid0(VALU_DEP_1)
	v_cndmask_b32_e64 v19, 0xfc, v110, s13
; %bb.4598:                             ;   in Loop: Header=BB2_4287 Depth=3
	s_or_b32 exec_lo, exec_lo, s72
.LBB2_4599:                             ;   in Loop: Header=BB2_4287 Depth=3
	s_delay_alu instid0(SALU_CYCLE_1) | instskip(SKIP_3) | instid1(VALU_DEP_2)
	s_or_b32 exec_lo, exec_lo, s14
	v_lshrrev_b16 v2, 8, v14
	v_mov_b32_e32 v8, 0
	s_mov_b32 s14, exec_lo
	v_cmpx_ne_u16_e32 0, v2
	s_cbranch_execz .LBB2_4609
; %bb.4600:                             ;   in Loop: Header=BB2_4287 Depth=3
	v_bfrev_b32_e32 v8, 1
	s_mov_b32 s72, exec_lo
	v_cmpx_ne_u16_e32 0x80, v2
	s_cbranch_execz .LBB2_4608
; %bb.4601:                             ;   in Loop: Header=BB2_4287 Depth=3
	v_and_b32_e32 v12, 0xffff, v2
	s_delay_alu instid0(VALU_DEP_1) | instskip(SKIP_1) | instid1(VALU_DEP_2)
	v_and_b32_e32 v8, 0x7c, v12
	v_and_b32_e32 v9, 3, v12
	v_cmp_ne_u32_e64 s13, 0x7c, v8
                                        ; implicit-def: $vgpr8
	s_and_saveexec_b32 s73, s13
	s_delay_alu instid0(SALU_CYCLE_1)
	s_xor_b32 s73, exec_lo, s73
	s_cbranch_execz .LBB2_4605
; %bb.4602:                             ;   in Loop: Header=BB2_4287 Depth=3
	v_bfe_u32 v8, v12, 2, 5
	s_mov_b32 s74, exec_lo
	s_delay_alu instid0(VALU_DEP_1)
	v_cmpx_eq_u32_e32 0, v8
; %bb.4603:                             ;   in Loop: Header=BB2_4287 Depth=3
	v_clz_i32_u32_e32 v8, v9
	s_delay_alu instid0(VALU_DEP_1) | instskip(NEXT) | instid1(VALU_DEP_1)
	v_min_u32_e32 v8, 32, v8
	v_subrev_nc_u32_e32 v9, 29, v8
	v_sub_nc_u32_e32 v8, 30, v8
	s_delay_alu instid0(VALU_DEP_2) | instskip(NEXT) | instid1(VALU_DEP_1)
	v_lshlrev_b64_e32 v[12:13], v9, v[2:3]
	v_and_b32_e32 v9, 3, v12
; %bb.4604:                             ;   in Loop: Header=BB2_4287 Depth=3
	s_or_b32 exec_lo, exec_lo, s74
	v_lshlrev_b32_e32 v2, 16, v14
	s_delay_alu instid0(VALU_DEP_1) | instskip(NEXT) | instid1(VALU_DEP_1)
	v_and_b32_e32 v2, 0x80000000, v2
	v_lshl_add_u32 v2, v8, 23, v2
	s_delay_alu instid0(VALU_DEP_1) | instskip(NEXT) | instid1(VALU_DEP_1)
	v_lshl_or_b32 v2, v9, 21, v2
                                        ; implicit-def: $vgpr9
	v_add_nc_u32_e32 v8, 0x38000000, v2
.LBB2_4605:                             ;   in Loop: Header=BB2_4287 Depth=3
	s_and_not1_saveexec_b32 s73, s73
; %bb.4606:                             ;   in Loop: Header=BB2_4287 Depth=3
	v_cmp_lt_i16_e64 s13, -1, v14
	s_delay_alu instid0(VALU_DEP_1) | instskip(SKIP_1) | instid1(VALU_DEP_1)
	v_cndmask_b32_e64 v2, 0xff800000, v109, s13
	v_cmp_eq_u32_e64 s13, 0, v9
	v_cndmask_b32_e64 v8, 0x7f800001, v2, s13
; %bb.4607:                             ;   in Loop: Header=BB2_4287 Depth=3
	s_or_b32 exec_lo, exec_lo, s73
.LBB2_4608:                             ;   in Loop: Header=BB2_4287 Depth=3
	s_delay_alu instid0(SALU_CYCLE_1)
	s_or_b32 exec_lo, exec_lo, s72
.LBB2_4609:                             ;   in Loop: Header=BB2_4287 Depth=3
	s_delay_alu instid0(SALU_CYCLE_1) | instskip(SKIP_3) | instid1(VALU_DEP_1)
	s_or_b32 exec_lo, exec_lo, s14
	v_lshrrev_b16 v2, 8, v10
	s_mov_b32 s72, 0
	s_mov_b32 s14, exec_lo
	v_cmpx_lt_i16_e32 0x7f, v2
	s_xor_b32 s14, exec_lo, s14
	s_cbranch_execz .LBB2_4852
; %bb.4610:                             ;   in Loop: Header=BB2_4287 Depth=3
	s_mov_b32 s72, -1
	s_mov_b32 s73, exec_lo
	v_cmpx_eq_u16_e32 0x80, v2
; %bb.4611:                             ;   in Loop: Header=BB2_4287 Depth=3
	s_xor_b32 s72, exec_lo, -1
; %bb.4612:                             ;   in Loop: Header=BB2_4287 Depth=3
	s_or_b32 exec_lo, exec_lo, s73
	s_delay_alu instid0(SALU_CYCLE_1)
	s_and_b32 s72, s72, exec_lo
	s_or_saveexec_b32 s14, s14
	v_bfrev_b32_e32 v9, 1
	s_xor_b32 exec_lo, exec_lo, s14
	s_cbranch_execnz .LBB2_4853
.LBB2_4613:                             ;   in Loop: Header=BB2_4287 Depth=3
	s_or_b32 exec_lo, exec_lo, s14
	s_and_saveexec_b32 s14, s72
	s_cbranch_execz .LBB2_4615
.LBB2_4614:                             ;   in Loop: Header=BB2_4287 Depth=3
	v_and_b32_e32 v9, 0xffff, v2
	s_delay_alu instid0(VALU_DEP_1) | instskip(NEXT) | instid1(VALU_DEP_1)
	v_and_b32_e32 v20, 3, v9
	v_clz_i32_u32_e32 v12, v20
	s_delay_alu instid0(VALU_DEP_1) | instskip(NEXT) | instid1(VALU_DEP_1)
	v_min_u32_e32 v21, 32, v12
	v_subrev_nc_u32_e32 v12, 29, v21
	s_delay_alu instid0(VALU_DEP_1) | instskip(SKIP_3) | instid1(VALU_DEP_3)
	v_lshlrev_b64_e32 v[12:13], v12, v[2:3]
	v_bfe_u32 v13, v9, 2, 5
	v_dual_lshlrev_b32 v2, 24, v2 :: v_dual_sub_nc_u32 v21, 30, v21
	v_and_b32_e32 v9, 0x7c, v9
	v_cmp_eq_u32_e64 s13, 0, v13
	s_delay_alu instid0(VALU_DEP_3) | instskip(NEXT) | instid1(VALU_DEP_2)
	v_and_b32_e32 v2, 0x80000000, v2
	v_dual_cndmask_b32 v13, v13, v21, s13 :: v_dual_bitop2_b32 v12, 3, v12 bitop3:0x40
	s_delay_alu instid0(VALU_DEP_1) | instskip(SKIP_1) | instid1(VALU_DEP_3)
	v_cndmask_b32_e64 v12, v20, v12, s13
	v_cmp_lt_i16_e64 s13, -1, v10
	v_lshl_add_u32 v2, v13, 23, v2
	s_delay_alu instid0(VALU_DEP_2) | instskip(SKIP_1) | instid1(VALU_DEP_3)
	v_cndmask_b32_e64 v13, 0xff800000, v109, s13
	v_cmp_eq_u32_e64 s13, 0, v20
	v_lshl_or_b32 v2, v12, 21, v2
	s_delay_alu instid0(VALU_DEP_2) | instskip(NEXT) | instid1(VALU_DEP_2)
	v_cndmask_b32_e64 v12, 0x7f800001, v13, s13
	v_add_nc_u32_e32 v2, 0x38000000, v2
	v_cmp_eq_u32_e64 s13, 0x7c, v9
	s_delay_alu instid0(VALU_DEP_1)
	v_cndmask_b32_e64 v9, v2, v12, s13
.LBB2_4615:                             ;   in Loop: Header=BB2_4287 Depth=3
	s_or_b32 exec_lo, exec_lo, s14
	s_delay_alu instid0(VALU_DEP_1) | instskip(SKIP_1) | instid1(VALU_DEP_1)
	v_dual_mul_f32 v8, v8, v9 :: v_dual_mov_b32 v13, v3
                                        ; implicit-def: $vgpr59
	s_mov_b32 s14, exec_lo
	v_and_b32_e32 v12, 0x7f800000, v8
	v_and_b32_e32 v2, 0x7fffff, v8
	v_lshrrev_b32_e32 v9, 24, v8
	s_delay_alu instid0(VALU_DEP_3)
	v_cmpx_ne_u64_e32 0x7f800000, v[12:13]
	s_xor_b32 s72, exec_lo, s14
	s_cbranch_execz .LBB2_4629
; %bb.4616:                             ;   in Loop: Header=BB2_4287 Depth=3
	v_and_b32_e32 v12, 0x7fffffff, v8
	v_mov_b32_e32 v13, v3
	v_and_b32_e32 v56, 0x80, v9
                                        ; implicit-def: $vgpr59
	s_mov_b32 s14, exec_lo
	s_delay_alu instid0(VALU_DEP_2)
	v_cmpx_gt_u64_e32 0x47600001, v[12:13]
	s_xor_b32 s73, exec_lo, s14
	s_cbranch_execz .LBB2_4626
; %bb.4617:                             ;   in Loop: Header=BB2_4287 Depth=3
	v_mov_b32_e32 v59, 0
	s_mov_b32 s74, exec_lo
	v_cmpx_ne_u32_e32 0, v8
	s_cbranch_execz .LBB2_4625
; %bb.4618:                             ;   in Loop: Header=BB2_4287 Depth=3
	v_bfe_u32 v57, v8, 23, 8
	v_or_b32_e32 v12, 0x800000, v2
	s_delay_alu instid0(VALU_DEP_2) | instskip(SKIP_1) | instid1(VALU_DEP_1)
	v_sub_nc_u32_e32 v8, 0x71, v57
	v_cmp_gt_u32_e64 s13, 0x72, v57
	v_cndmask_b32_e64 v8, 0, v8, s13
	v_cmp_eq_u32_e64 s13, 0, v57
	s_delay_alu instid0(VALU_DEP_1) | instskip(NEXT) | instid1(VALU_DEP_1)
	v_cndmask_b32_e64 v59, v8, 0x70, s13
	v_dual_cndmask_b32 v2, v12, v2, s13 :: v_dual_add_nc_u32 v8, 21, v59
	v_add_nc_u32_e32 v13, 20, v59
	s_delay_alu instid0(VALU_DEP_2) | instskip(NEXT) | instid1(VALU_DEP_2)
	v_lshlrev_b64_e64 v[8:9], v8, -1
	v_lshlrev_b64_e64 v[12:13], v13, 1
	s_delay_alu instid0(VALU_DEP_2) | instskip(NEXT) | instid1(VALU_DEP_3)
	v_bfi_b32 v89, v9, 0, 0
	v_bfi_b32 v88, v8, 0, v2
	v_lshrrev_b64 v[8:9], v59, v[2:3]
	s_delay_alu instid0(VALU_DEP_2) | instskip(NEXT) | instid1(VALU_DEP_2)
	v_cmp_eq_u64_e64 s14, v[88:89], v[12:13]
	v_mov_b64_e32 v[12:13], v[8:9]
	s_and_saveexec_b32 s75, s14
; %bb.4619:                             ;   in Loop: Header=BB2_4287 Depth=3
	v_bfe_u32 v2, v8, 21, 1
	s_delay_alu instid0(VALU_DEP_1) | instskip(NEXT) | instid1(VALU_DEP_1)
	v_add_nc_u64_e32 v[12:13], v[8:9], v[2:3]
	v_add_nc_u64_e32 v[12:13], -1, v[12:13]
; %bb.4620:                             ;   in Loop: Header=BB2_4287 Depth=3
	s_or_b32 exec_lo, exec_lo, s75
	v_add_nc_u32_e32 v2, 0xffffff81, v57
	v_lshrrev_b32_e32 v9, 23, v8
	s_mov_b32 s14, exec_lo
	s_delay_alu instid0(VALU_DEP_2) | instskip(NEXT) | instid1(VALU_DEP_1)
	v_cndmask_b32_e64 v2, v2, 0xffffff82, s13
	v_add3_u32 v13, v59, v2, v9
	v_and_b32_e32 v2, 0x1fffff, v12
                                        ; implicit-def: $vgpr12
	s_delay_alu instid0(VALU_DEP_1) | instskip(NEXT) | instid1(VALU_DEP_1)
	v_dual_add_nc_u32 v57, 14, v13 :: v_dual_add_nc_u32 v2, v2, v8
                                        ; implicit-def: $vgpr8_vgpr9
	v_cmpx_ne_u32_e32 0, v57
	s_xor_b32 s14, exec_lo, s14
; %bb.4621:                             ;   in Loop: Header=BB2_4287 Depth=3
	s_delay_alu instid0(VALU_DEP_2) | instskip(SKIP_1) | instid1(VALU_DEP_1)
	v_cmp_lt_u64_e64 s13, 0xffffff, v[2:3]
	v_add_nc_u32_e32 v8, 15, v13
	v_cndmask_b32_e64 v12, v57, v8, s13
	v_cndmask_b32_e64 v8, 0, 1, s13
	s_delay_alu instid0(VALU_DEP_1)
	v_lshrrev_b64 v[8:9], v8, v[2:3]
; %bb.4622:                             ;   in Loop: Header=BB2_4287 Depth=3
	s_and_not1_saveexec_b32 s13, s14
; %bb.4623:                             ;   in Loop: Header=BB2_4287 Depth=3
	v_mov_b64_e32 v[8:9], v[2:3]
	v_bfe_u32 v12, v2, 23, 1
; %bb.4624:                             ;   in Loop: Header=BB2_4287 Depth=3
	s_or_b32 exec_lo, exec_lo, s13
	s_delay_alu instid0(VALU_DEP_2) | instskip(NEXT) | instid1(VALU_DEP_2)
	v_lshrrev_b64 v[8:9], 21, v[8:9]
	v_cmp_gt_i32_e64 s13, 32, v12
	v_min_i32_e32 v2, 31, v12
	v_cmp_eq_u32_e64 s14, 0, v12
	s_delay_alu instid0(VALU_DEP_2) | instskip(SKIP_1) | instid1(VALU_DEP_2)
	v_dual_cndmask_b32 v9, 0, v9, s13 :: v_dual_lshlrev_b32 v2, 2, v2
	v_cndmask_b32_e64 v8, 3, v8, s13
	v_and_b32_e32 v2, 0xfc, v2
	s_delay_alu instid0(VALU_DEP_2) | instskip(NEXT) | instid1(VALU_DEP_2)
	v_cmp_eq_u64_e64 s13, 0, v[8:9]
	v_and_or_b32 v2, v8, 3, v2
	s_and_b32 s13, s14, s13
	s_delay_alu instid0(VALU_DEP_1) | instid1(SALU_CYCLE_1)
	v_cndmask_b32_e64 v2, v2, 0, s13
	s_delay_alu instid0(VALU_DEP_1)
	v_or_b32_e32 v59, v2, v56
.LBB2_4625:                             ;   in Loop: Header=BB2_4287 Depth=3
	s_or_b32 exec_lo, exec_lo, s74
                                        ; implicit-def: $vgpr56
.LBB2_4626:                             ;   in Loop: Header=BB2_4287 Depth=3
	s_and_not1_saveexec_b32 s13, s73
; %bb.4627:                             ;   in Loop: Header=BB2_4287 Depth=3
	v_or_b32_e32 v59, 0x7b, v56
; %bb.4628:                             ;   in Loop: Header=BB2_4287 Depth=3
	s_or_b32 exec_lo, exec_lo, s13
                                        ; implicit-def: $vgpr8
                                        ; implicit-def: $vgpr9
.LBB2_4629:                             ;   in Loop: Header=BB2_4287 Depth=3
	s_and_not1_saveexec_b32 s14, s72
	s_cbranch_execz .LBB2_4635
; %bb.4630:                             ;   in Loop: Header=BB2_4287 Depth=3
	v_cmp_ne_u64_e64 s13, 0, v[2:3]
                                        ; implicit-def: $vgpr59
	s_and_saveexec_b32 s72, s13
	s_delay_alu instid0(SALU_CYCLE_1)
	s_xor_b32 s13, exec_lo, s72
; %bb.4631:                             ;   in Loop: Header=BB2_4287 Depth=3
	v_or_b32_e32 v59, 0x7f, v9
                                        ; implicit-def: $vgpr8
; %bb.4632:                             ;   in Loop: Header=BB2_4287 Depth=3
	s_and_not1_saveexec_b32 s72, s13
; %bb.4633:                             ;   in Loop: Header=BB2_4287 Depth=3
	v_cmp_lt_i32_e64 s13, -1, v8
	s_delay_alu instid0(VALU_DEP_1)
	v_cndmask_b32_e64 v59, 0xfc, v110, s13
; %bb.4634:                             ;   in Loop: Header=BB2_4287 Depth=3
	s_or_b32 exec_lo, exec_lo, s72
.LBB2_4635:                             ;   in Loop: Header=BB2_4287 Depth=3
	s_delay_alu instid0(SALU_CYCLE_1) | instskip(SKIP_2) | instid1(VALU_DEP_1)
	s_or_b32 exec_lo, exec_lo, s14
	v_dual_lshrrev_b32 v2, 16, v14 :: v_dual_mov_b32 v8, 0
	s_mov_b32 s14, exec_lo
	v_and_b32_e32 v9, 0xff, v2
	s_delay_alu instid0(VALU_DEP_1)
	v_cmpx_ne_u16_e32 0, v9
	s_cbranch_execz .LBB2_4645
; %bb.4636:                             ;   in Loop: Header=BB2_4287 Depth=3
	v_bfrev_b32_e32 v8, 1
	s_mov_b32 s72, exec_lo
	v_cmpx_ne_u16_e32 0x80, v9
	s_cbranch_execz .LBB2_4644
; %bb.4637:                             ;   in Loop: Header=BB2_4287 Depth=3
	v_and_b32_e32 v8, 0x7c0000, v14
	v_bfe_u32 v9, v14, 16, 2
	s_delay_alu instid0(VALU_DEP_2) | instskip(SKIP_1) | instid1(SALU_CYCLE_1)
	v_cmp_ne_u32_e64 s13, 0x7c0000, v8
                                        ; implicit-def: $vgpr8
	s_and_saveexec_b32 s73, s13
	s_xor_b32 s73, exec_lo, s73
	s_cbranch_execz .LBB2_4641
; %bb.4638:                             ;   in Loop: Header=BB2_4287 Depth=3
	v_bfe_u32 v8, v14, 18, 5
	s_mov_b32 s74, exec_lo
	s_delay_alu instid0(VALU_DEP_1)
	v_cmpx_eq_u32_e32 0, v8
; %bb.4639:                             ;   in Loop: Header=BB2_4287 Depth=3
	v_clz_i32_u32_e32 v8, v9
	s_delay_alu instid0(VALU_DEP_1) | instskip(NEXT) | instid1(VALU_DEP_1)
	v_min_u32_e32 v8, 32, v8
	v_subrev_nc_u32_e32 v9, 29, v8
	v_sub_nc_u32_e32 v8, 30, v8
	s_delay_alu instid0(VALU_DEP_2) | instskip(NEXT) | instid1(VALU_DEP_1)
	v_lshlrev_b64_e32 v[12:13], v9, v[2:3]
	v_and_b32_e32 v9, 3, v12
; %bb.4640:                             ;   in Loop: Header=BB2_4287 Depth=3
	s_or_b32 exec_lo, exec_lo, s74
	v_lshlrev_b32_e32 v2, 24, v2
	s_delay_alu instid0(VALU_DEP_1) | instskip(NEXT) | instid1(VALU_DEP_1)
	v_and_b32_e32 v2, 0x80000000, v2
	v_lshl_add_u32 v2, v8, 23, v2
	s_delay_alu instid0(VALU_DEP_1) | instskip(NEXT) | instid1(VALU_DEP_1)
	v_lshl_or_b32 v2, v9, 21, v2
                                        ; implicit-def: $vgpr9
	v_add_nc_u32_e32 v8, 0x38000000, v2
                                        ; implicit-def: $vgpr2
.LBB2_4641:                             ;   in Loop: Header=BB2_4287 Depth=3
	s_and_not1_saveexec_b32 s73, s73
; %bb.4642:                             ;   in Loop: Header=BB2_4287 Depth=3
	v_bfe_i32 v2, v2, 0, 8
	s_delay_alu instid0(VALU_DEP_1) | instskip(NEXT) | instid1(VALU_DEP_1)
	v_cmp_lt_i16_e64 s13, -1, v2
	v_cndmask_b32_e64 v2, 0xff800000, v109, s13
	v_cmp_eq_u32_e64 s13, 0, v9
	s_delay_alu instid0(VALU_DEP_1)
	v_cndmask_b32_e64 v8, 0x7f800001, v2, s13
; %bb.4643:                             ;   in Loop: Header=BB2_4287 Depth=3
	s_or_b32 exec_lo, exec_lo, s73
.LBB2_4644:                             ;   in Loop: Header=BB2_4287 Depth=3
	s_delay_alu instid0(SALU_CYCLE_1)
	s_or_b32 exec_lo, exec_lo, s72
.LBB2_4645:                             ;   in Loop: Header=BB2_4287 Depth=3
	s_delay_alu instid0(SALU_CYCLE_1) | instskip(SKIP_3) | instid1(VALU_DEP_1)
	s_or_b32 exec_lo, exec_lo, s14
	v_lshrrev_b32_e32 v2, 16, v10
	s_mov_b32 s72, 0
	s_mov_b32 s14, exec_lo
	v_and_b32_e32 v12, 0xff, v2
	s_delay_alu instid0(VALU_DEP_1)
	v_cmpx_lt_i16_e32 0x7f, v12
	s_xor_b32 s14, exec_lo, s14
	s_cbranch_execz .LBB2_4854
; %bb.4646:                             ;   in Loop: Header=BB2_4287 Depth=3
	s_mov_b32 s72, -1
	s_mov_b32 s73, exec_lo
	v_cmpx_eq_u16_e32 0x80, v12
; %bb.4647:                             ;   in Loop: Header=BB2_4287 Depth=3
	s_xor_b32 s72, exec_lo, -1
; %bb.4648:                             ;   in Loop: Header=BB2_4287 Depth=3
	s_or_b32 exec_lo, exec_lo, s73
	s_delay_alu instid0(SALU_CYCLE_1)
	s_and_b32 s72, s72, exec_lo
                                        ; implicit-def: $vgpr12
	s_or_saveexec_b32 s14, s14
	v_bfrev_b32_e32 v9, 1
	s_xor_b32 exec_lo, exec_lo, s14
	s_cbranch_execnz .LBB2_4855
.LBB2_4649:                             ;   in Loop: Header=BB2_4287 Depth=3
	s_or_b32 exec_lo, exec_lo, s14
	s_and_saveexec_b32 s14, s72
	s_cbranch_execz .LBB2_4651
.LBB2_4650:                             ;   in Loop: Header=BB2_4287 Depth=3
	v_and_b32_e32 v9, 3, v2
	v_bfe_u32 v21, v10, 18, 5
	s_delay_alu instid0(VALU_DEP_2) | instskip(NEXT) | instid1(VALU_DEP_2)
	v_clz_i32_u32_e32 v12, v9
	v_cmp_eq_u32_e64 s13, 0, v21
	s_delay_alu instid0(VALU_DEP_2) | instskip(NEXT) | instid1(VALU_DEP_1)
	v_min_u32_e32 v20, 32, v12
	v_subrev_nc_u32_e32 v12, 29, v20
	v_sub_nc_u32_e32 v20, 30, v20
	s_delay_alu instid0(VALU_DEP_2) | instskip(NEXT) | instid1(VALU_DEP_2)
	v_lshlrev_b64_e32 v[12:13], v12, v[2:3]
	v_dual_lshlrev_b32 v13, 24, v2 :: v_dual_cndmask_b32 v20, v21, v20, s13
	v_bfe_i32 v2, v2, 0, 8
	s_delay_alu instid0(VALU_DEP_2) | instskip(NEXT) | instid1(VALU_DEP_4)
	v_and_b32_e32 v13, 0x80000000, v13
	v_and_b32_e32 v12, 3, v12
	s_delay_alu instid0(VALU_DEP_2) | instskip(NEXT) | instid1(VALU_DEP_2)
	v_lshl_add_u32 v13, v20, 23, v13
	v_cndmask_b32_e64 v12, v9, v12, s13
	v_cmp_lt_i16_e64 s13, -1, v2
	s_delay_alu instid0(VALU_DEP_2) | instskip(NEXT) | instid1(VALU_DEP_2)
	v_lshl_or_b32 v12, v12, 21, v13
	v_cndmask_b32_e64 v2, 0xff800000, v109, s13
	v_and_b32_e32 v13, 0x7c0000, v10
	v_cmp_eq_u32_e64 s13, 0, v9
	s_delay_alu instid0(VALU_DEP_4) | instskip(NEXT) | instid1(VALU_DEP_2)
	v_add_nc_u32_e32 v9, 0x38000000, v12
	v_cndmask_b32_e64 v2, 0x7f800001, v2, s13
	s_delay_alu instid0(VALU_DEP_4) | instskip(NEXT) | instid1(VALU_DEP_1)
	v_cmp_eq_u32_e64 s13, 0x7c0000, v13
	v_cndmask_b32_e64 v9, v9, v2, s13
.LBB2_4651:                             ;   in Loop: Header=BB2_4287 Depth=3
	s_or_b32 exec_lo, exec_lo, s14
	s_delay_alu instid0(VALU_DEP_1) | instskip(SKIP_1) | instid1(VALU_DEP_1)
	v_dual_mul_f32 v8, v8, v9 :: v_dual_mov_b32 v13, v3
                                        ; implicit-def: $vgpr88
	s_mov_b32 s14, exec_lo
	v_and_b32_e32 v12, 0x7f800000, v8
	v_and_b32_e32 v2, 0x7fffff, v8
	v_lshrrev_b32_e32 v9, 24, v8
	s_delay_alu instid0(VALU_DEP_3)
	v_cmpx_ne_u64_e32 0x7f800000, v[12:13]
	s_xor_b32 s72, exec_lo, s14
	s_cbranch_execz .LBB2_4665
; %bb.4652:                             ;   in Loop: Header=BB2_4287 Depth=3
	v_and_b32_e32 v12, 0x7fffffff, v8
	v_mov_b32_e32 v13, v3
	v_and_b32_e32 v56, 0x80, v9
                                        ; implicit-def: $vgpr88
	s_mov_b32 s14, exec_lo
	s_delay_alu instid0(VALU_DEP_2)
	v_cmpx_gt_u64_e32 0x47600001, v[12:13]
	s_xor_b32 s73, exec_lo, s14
	s_cbranch_execz .LBB2_4662
; %bb.4653:                             ;   in Loop: Header=BB2_4287 Depth=3
	v_mov_b32_e32 v88, 0
	s_mov_b32 s74, exec_lo
	v_cmpx_ne_u32_e32 0, v8
	s_cbranch_execz .LBB2_4661
; %bb.4654:                             ;   in Loop: Header=BB2_4287 Depth=3
	v_bfe_u32 v57, v8, 23, 8
	v_or_b32_e32 v12, 0x800000, v2
	s_delay_alu instid0(VALU_DEP_2) | instskip(SKIP_1) | instid1(VALU_DEP_1)
	v_sub_nc_u32_e32 v8, 0x71, v57
	v_cmp_gt_u32_e64 s13, 0x72, v57
	v_cndmask_b32_e64 v8, 0, v8, s13
	v_cmp_eq_u32_e64 s13, 0, v57
	s_delay_alu instid0(VALU_DEP_1) | instskip(NEXT) | instid1(VALU_DEP_3)
	v_cndmask_b32_e64 v2, v12, v2, s13
	v_cndmask_b32_e64 v88, v8, 0x70, s13
	s_delay_alu instid0(VALU_DEP_1) | instskip(NEXT) | instid1(VALU_DEP_1)
	v_dual_add_nc_u32 v8, 21, v88 :: v_dual_add_nc_u32 v13, 20, v88
	v_lshlrev_b64_e64 v[8:9], v8, -1
	s_delay_alu instid0(VALU_DEP_2) | instskip(NEXT) | instid1(VALU_DEP_2)
	v_lshlrev_b64_e64 v[12:13], v13, 1
	v_bfi_b32 v91, v9, 0, 0
	s_delay_alu instid0(VALU_DEP_3) | instskip(SKIP_1) | instid1(VALU_DEP_2)
	v_bfi_b32 v90, v8, 0, v2
	v_lshrrev_b64 v[8:9], v88, v[2:3]
	v_cmp_eq_u64_e64 s14, v[90:91], v[12:13]
	s_delay_alu instid0(VALU_DEP_2)
	v_mov_b64_e32 v[12:13], v[8:9]
	s_and_saveexec_b32 s75, s14
; %bb.4655:                             ;   in Loop: Header=BB2_4287 Depth=3
	v_bfe_u32 v2, v8, 21, 1
	s_delay_alu instid0(VALU_DEP_1) | instskip(NEXT) | instid1(VALU_DEP_1)
	v_add_nc_u64_e32 v[12:13], v[8:9], v[2:3]
	v_add_nc_u64_e32 v[12:13], -1, v[12:13]
; %bb.4656:                             ;   in Loop: Header=BB2_4287 Depth=3
	s_or_b32 exec_lo, exec_lo, s75
	v_add_nc_u32_e32 v2, 0xffffff81, v57
	v_lshrrev_b32_e32 v9, 23, v8
	s_mov_b32 s14, exec_lo
	s_delay_alu instid0(VALU_DEP_2) | instskip(NEXT) | instid1(VALU_DEP_1)
	v_cndmask_b32_e64 v2, v2, 0xffffff82, s13
	v_add3_u32 v13, v88, v2, v9
	v_and_b32_e32 v2, 0x1fffff, v12
                                        ; implicit-def: $vgpr12
	s_delay_alu instid0(VALU_DEP_1) | instskip(NEXT) | instid1(VALU_DEP_1)
	v_dual_add_nc_u32 v57, 14, v13 :: v_dual_add_nc_u32 v2, v2, v8
                                        ; implicit-def: $vgpr8_vgpr9
	v_cmpx_ne_u32_e32 0, v57
	s_xor_b32 s14, exec_lo, s14
; %bb.4657:                             ;   in Loop: Header=BB2_4287 Depth=3
	s_delay_alu instid0(VALU_DEP_2) | instskip(SKIP_1) | instid1(VALU_DEP_1)
	v_cmp_lt_u64_e64 s13, 0xffffff, v[2:3]
	v_add_nc_u32_e32 v8, 15, v13
	v_cndmask_b32_e64 v12, v57, v8, s13
	v_cndmask_b32_e64 v8, 0, 1, s13
	s_delay_alu instid0(VALU_DEP_1)
	v_lshrrev_b64 v[8:9], v8, v[2:3]
; %bb.4658:                             ;   in Loop: Header=BB2_4287 Depth=3
	s_and_not1_saveexec_b32 s13, s14
; %bb.4659:                             ;   in Loop: Header=BB2_4287 Depth=3
	v_mov_b64_e32 v[8:9], v[2:3]
	v_bfe_u32 v12, v2, 23, 1
; %bb.4660:                             ;   in Loop: Header=BB2_4287 Depth=3
	s_or_b32 exec_lo, exec_lo, s13
	s_delay_alu instid0(VALU_DEP_2) | instskip(NEXT) | instid1(VALU_DEP_2)
	v_lshrrev_b64 v[8:9], 21, v[8:9]
	v_cmp_gt_i32_e64 s13, 32, v12
	v_min_i32_e32 v2, 31, v12
	v_cmp_eq_u32_e64 s14, 0, v12
	s_delay_alu instid0(VALU_DEP_2) | instskip(SKIP_1) | instid1(VALU_DEP_2)
	v_dual_cndmask_b32 v9, 0, v9, s13 :: v_dual_lshlrev_b32 v2, 2, v2
	v_cndmask_b32_e64 v8, 3, v8, s13
	v_and_b32_e32 v2, 0xfc, v2
	s_delay_alu instid0(VALU_DEP_2) | instskip(NEXT) | instid1(VALU_DEP_2)
	v_cmp_eq_u64_e64 s13, 0, v[8:9]
	v_and_or_b32 v2, v8, 3, v2
	s_and_b32 s13, s14, s13
	s_delay_alu instid0(VALU_DEP_1) | instid1(SALU_CYCLE_1)
	v_cndmask_b32_e64 v2, v2, 0, s13
	s_delay_alu instid0(VALU_DEP_1)
	v_or_b32_e32 v88, v2, v56
.LBB2_4661:                             ;   in Loop: Header=BB2_4287 Depth=3
	s_or_b32 exec_lo, exec_lo, s74
                                        ; implicit-def: $vgpr56
.LBB2_4662:                             ;   in Loop: Header=BB2_4287 Depth=3
	s_and_not1_saveexec_b32 s13, s73
; %bb.4663:                             ;   in Loop: Header=BB2_4287 Depth=3
	v_or_b32_e32 v88, 0x7b, v56
; %bb.4664:                             ;   in Loop: Header=BB2_4287 Depth=3
	s_or_b32 exec_lo, exec_lo, s13
                                        ; implicit-def: $vgpr8
                                        ; implicit-def: $vgpr9
.LBB2_4665:                             ;   in Loop: Header=BB2_4287 Depth=3
	s_and_not1_saveexec_b32 s14, s72
	s_cbranch_execz .LBB2_4671
; %bb.4666:                             ;   in Loop: Header=BB2_4287 Depth=3
	v_cmp_ne_u64_e64 s13, 0, v[2:3]
                                        ; implicit-def: $vgpr88
	s_and_saveexec_b32 s72, s13
	s_delay_alu instid0(SALU_CYCLE_1)
	s_xor_b32 s13, exec_lo, s72
; %bb.4667:                             ;   in Loop: Header=BB2_4287 Depth=3
	v_or_b32_e32 v88, 0x7f, v9
                                        ; implicit-def: $vgpr8
; %bb.4668:                             ;   in Loop: Header=BB2_4287 Depth=3
	s_and_not1_saveexec_b32 s72, s13
; %bb.4669:                             ;   in Loop: Header=BB2_4287 Depth=3
	v_cmp_lt_i32_e64 s13, -1, v8
	s_delay_alu instid0(VALU_DEP_1)
	v_cndmask_b32_e64 v88, 0xfc, v110, s13
; %bb.4670:                             ;   in Loop: Header=BB2_4287 Depth=3
	s_or_b32 exec_lo, exec_lo, s72
.LBB2_4671:                             ;   in Loop: Header=BB2_4287 Depth=3
	s_delay_alu instid0(SALU_CYCLE_1)
	s_or_b32 exec_lo, exec_lo, s14
	v_mov_b32_e32 v8, 0
	s_mov_b32 s14, exec_lo
	v_cmpx_lt_u32_e32 0xffffff, v14
	s_cbranch_execz .LBB2_4681
; %bb.4672:                             ;   in Loop: Header=BB2_4287 Depth=3
	v_lshrrev_b32_e32 v2, 24, v14
	v_bfrev_b32_e32 v8, 1
	s_mov_b32 s72, exec_lo
	s_delay_alu instid0(VALU_DEP_2)
	v_cmpx_ne_u32_e32 0x80, v2
	s_cbranch_execz .LBB2_4680
; %bb.4673:                             ;   in Loop: Header=BB2_4287 Depth=3
	v_and_b32_e32 v8, 0x7c000000, v14
	v_bfe_u32 v9, v14, 24, 2
	s_delay_alu instid0(VALU_DEP_2) | instskip(SKIP_1) | instid1(SALU_CYCLE_1)
	v_cmp_ne_u32_e64 s13, 0x7c000000, v8
                                        ; implicit-def: $vgpr8
	s_and_saveexec_b32 s73, s13
	s_xor_b32 s73, exec_lo, s73
	s_cbranch_execz .LBB2_4677
; %bb.4674:                             ;   in Loop: Header=BB2_4287 Depth=3
	v_bfe_u32 v8, v14, 26, 5
	s_mov_b32 s74, exec_lo
	s_delay_alu instid0(VALU_DEP_1)
	v_cmpx_eq_u32_e32 0, v8
; %bb.4675:                             ;   in Loop: Header=BB2_4287 Depth=3
	v_clz_i32_u32_e32 v8, v9
	s_delay_alu instid0(VALU_DEP_1) | instskip(NEXT) | instid1(VALU_DEP_1)
	v_min_u32_e32 v8, 32, v8
	v_subrev_nc_u32_e32 v9, 29, v8
	v_sub_nc_u32_e32 v8, 30, v8
	s_delay_alu instid0(VALU_DEP_2) | instskip(NEXT) | instid1(VALU_DEP_1)
	v_lshlrev_b64_e32 v[12:13], v9, v[2:3]
	v_and_b32_e32 v9, 3, v12
; %bb.4676:                             ;   in Loop: Header=BB2_4287 Depth=3
	s_or_b32 exec_lo, exec_lo, s74
	v_and_b32_e32 v2, 0x80000000, v14
	s_delay_alu instid0(VALU_DEP_1) | instskip(NEXT) | instid1(VALU_DEP_1)
	v_lshl_add_u32 v2, v8, 23, v2
	v_lshl_or_b32 v2, v9, 21, v2
                                        ; implicit-def: $vgpr9
	s_delay_alu instid0(VALU_DEP_1)
	v_add_nc_u32_e32 v8, 0x38000000, v2
.LBB2_4677:                             ;   in Loop: Header=BB2_4287 Depth=3
	s_and_not1_saveexec_b32 s73, s73
; %bb.4678:                             ;   in Loop: Header=BB2_4287 Depth=3
	v_cmp_lt_i32_e64 s13, -1, v14
	s_delay_alu instid0(VALU_DEP_1) | instskip(SKIP_1) | instid1(VALU_DEP_1)
	v_cndmask_b32_e64 v2, 0xff800000, v109, s13
	v_cmp_eq_u32_e64 s13, 0, v9
	v_cndmask_b32_e64 v8, 0x7f800001, v2, s13
; %bb.4679:                             ;   in Loop: Header=BB2_4287 Depth=3
	s_or_b32 exec_lo, exec_lo, s73
.LBB2_4680:                             ;   in Loop: Header=BB2_4287 Depth=3
	s_delay_alu instid0(SALU_CYCLE_1)
	s_or_b32 exec_lo, exec_lo, s72
.LBB2_4681:                             ;   in Loop: Header=BB2_4287 Depth=3
	s_delay_alu instid0(SALU_CYCLE_1) | instskip(SKIP_3) | instid1(VALU_DEP_2)
	s_or_b32 exec_lo, exec_lo, s14
	v_bfe_u32 v9, v10, 24, 2
	v_bfe_u32 v21, v10, 26, 5
                                        ; implicit-def: $vgpr89
	s_mov_b32 s14, exec_lo
	v_clz_i32_u32_e32 v2, v9
	s_delay_alu instid0(VALU_DEP_2) | instskip(NEXT) | instid1(VALU_DEP_2)
	v_cmp_eq_u32_e64 s13, 0, v21
	v_min_u32_e32 v20, 32, v2
	v_lshrrev_b32_e32 v2, 24, v10
	s_delay_alu instid0(VALU_DEP_2) | instskip(NEXT) | instid1(VALU_DEP_1)
	v_subrev_nc_u32_e32 v12, 29, v20
	v_lshlrev_b64_e32 v[12:13], v12, v[2:3]
	v_sub_nc_u32_e32 v13, 30, v20
	v_and_b32_e32 v20, 0x80000000, v10
	s_delay_alu instid0(VALU_DEP_2) | instskip(NEXT) | instid1(VALU_DEP_1)
	v_dual_cndmask_b32 v13, v21, v13, s13 :: v_dual_bitop2_b32 v12, 3, v12 bitop3:0x40
	v_lshl_add_u32 v13, v13, 23, v20
	s_delay_alu instid0(VALU_DEP_2) | instskip(SKIP_1) | instid1(VALU_DEP_2)
	v_cndmask_b32_e64 v12, v9, v12, s13
	v_cmp_lt_i32_e64 s13, -1, v10
	v_lshl_or_b32 v12, v12, 21, v13
	s_delay_alu instid0(VALU_DEP_2) | instskip(SKIP_2) | instid1(VALU_DEP_4)
	v_cndmask_b32_e64 v20, 0xff800000, v109, s13
	v_and_b32_e32 v13, 0x7c000000, v10
	v_cmp_eq_u32_e64 s13, 0, v9
	v_add_nc_u32_e32 v12, 0x38000000, v12
	s_delay_alu instid0(VALU_DEP_2) | instskip(NEXT) | instid1(VALU_DEP_4)
	v_cndmask_b32_e64 v9, 0x7f800001, v20, s13
	v_cmp_eq_u32_e64 s13, 0x7c000000, v13
	s_delay_alu instid0(VALU_DEP_1) | instskip(SKIP_1) | instid1(VALU_DEP_1)
	v_dual_mov_b32 v13, v3 :: v_dual_cndmask_b32 v9, v12, v9, s13
	v_cmp_ne_u32_e64 s13, 0x80, v2
	v_cndmask_b32_e64 v2, 0x80000000, v9, s13
	v_cmp_lt_u32_e64 s13, 0xffffff, v10
	s_delay_alu instid0(VALU_DEP_1) | instskip(NEXT) | instid1(VALU_DEP_1)
	v_cndmask_b32_e64 v2, 0, v2, s13
	v_mul_f32_e32 v8, v2, v8
	s_delay_alu instid0(VALU_DEP_1) | instskip(SKIP_2) | instid1(VALU_DEP_3)
	v_and_b32_e32 v12, 0x7f800000, v8
	v_and_b32_e32 v2, 0x7fffff, v8
	v_lshrrev_b32_e32 v9, 24, v8
	v_cmpx_ne_u64_e32 0x7f800000, v[12:13]
	s_xor_b32 s72, exec_lo, s14
	s_cbranch_execz .LBB2_4695
; %bb.4682:                             ;   in Loop: Header=BB2_4287 Depth=3
	v_and_b32_e32 v12, 0x7fffffff, v8
	v_mov_b32_e32 v13, v3
	v_and_b32_e32 v56, 0x80, v9
                                        ; implicit-def: $vgpr89
	s_mov_b32 s14, exec_lo
	s_delay_alu instid0(VALU_DEP_2)
	v_cmpx_gt_u64_e32 0x47600001, v[12:13]
	s_xor_b32 s73, exec_lo, s14
	s_cbranch_execz .LBB2_4692
; %bb.4683:                             ;   in Loop: Header=BB2_4287 Depth=3
	v_mov_b32_e32 v89, 0
	s_mov_b32 s74, exec_lo
	v_cmpx_ne_u32_e32 0, v8
	s_cbranch_execz .LBB2_4691
; %bb.4684:                             ;   in Loop: Header=BB2_4287 Depth=3
	v_bfe_u32 v57, v8, 23, 8
	v_or_b32_e32 v12, 0x800000, v2
	s_delay_alu instid0(VALU_DEP_2) | instskip(SKIP_1) | instid1(VALU_DEP_1)
	v_sub_nc_u32_e32 v8, 0x71, v57
	v_cmp_gt_u32_e64 s13, 0x72, v57
	v_cndmask_b32_e64 v8, 0, v8, s13
	v_cmp_eq_u32_e64 s13, 0, v57
	s_delay_alu instid0(VALU_DEP_1) | instskip(NEXT) | instid1(VALU_DEP_1)
	v_cndmask_b32_e64 v89, v8, 0x70, s13
	v_dual_cndmask_b32 v2, v12, v2, s13 :: v_dual_add_nc_u32 v8, 21, v89
	v_add_nc_u32_e32 v13, 20, v89
	s_delay_alu instid0(VALU_DEP_2) | instskip(NEXT) | instid1(VALU_DEP_2)
	v_lshlrev_b64_e64 v[8:9], v8, -1
	v_lshlrev_b64_e64 v[12:13], v13, 1
	s_delay_alu instid0(VALU_DEP_2) | instskip(NEXT) | instid1(VALU_DEP_3)
	v_bfi_b32 v91, v9, 0, 0
	v_bfi_b32 v90, v8, 0, v2
	v_lshrrev_b64 v[8:9], v89, v[2:3]
	s_delay_alu instid0(VALU_DEP_2) | instskip(NEXT) | instid1(VALU_DEP_2)
	v_cmp_eq_u64_e64 s14, v[90:91], v[12:13]
	v_mov_b64_e32 v[12:13], v[8:9]
	s_and_saveexec_b32 s75, s14
; %bb.4685:                             ;   in Loop: Header=BB2_4287 Depth=3
	v_bfe_u32 v2, v8, 21, 1
	s_delay_alu instid0(VALU_DEP_1) | instskip(NEXT) | instid1(VALU_DEP_1)
	v_add_nc_u64_e32 v[12:13], v[8:9], v[2:3]
	v_add_nc_u64_e32 v[12:13], -1, v[12:13]
; %bb.4686:                             ;   in Loop: Header=BB2_4287 Depth=3
	s_or_b32 exec_lo, exec_lo, s75
	v_add_nc_u32_e32 v2, 0xffffff81, v57
	v_lshrrev_b32_e32 v9, 23, v8
	s_mov_b32 s14, exec_lo
	s_delay_alu instid0(VALU_DEP_2) | instskip(NEXT) | instid1(VALU_DEP_1)
	v_cndmask_b32_e64 v2, v2, 0xffffff82, s13
	v_add3_u32 v13, v89, v2, v9
	v_and_b32_e32 v2, 0x1fffff, v12
                                        ; implicit-def: $vgpr12
	s_delay_alu instid0(VALU_DEP_1) | instskip(NEXT) | instid1(VALU_DEP_1)
	v_dual_add_nc_u32 v57, 14, v13 :: v_dual_add_nc_u32 v2, v2, v8
                                        ; implicit-def: $vgpr8_vgpr9
	v_cmpx_ne_u32_e32 0, v57
	s_xor_b32 s14, exec_lo, s14
; %bb.4687:                             ;   in Loop: Header=BB2_4287 Depth=3
	s_delay_alu instid0(VALU_DEP_2) | instskip(SKIP_1) | instid1(VALU_DEP_1)
	v_cmp_lt_u64_e64 s13, 0xffffff, v[2:3]
	v_add_nc_u32_e32 v8, 15, v13
	v_cndmask_b32_e64 v12, v57, v8, s13
	v_cndmask_b32_e64 v8, 0, 1, s13
	s_delay_alu instid0(VALU_DEP_1)
	v_lshrrev_b64 v[8:9], v8, v[2:3]
; %bb.4688:                             ;   in Loop: Header=BB2_4287 Depth=3
	s_and_not1_saveexec_b32 s13, s14
; %bb.4689:                             ;   in Loop: Header=BB2_4287 Depth=3
	v_mov_b64_e32 v[8:9], v[2:3]
	v_bfe_u32 v12, v2, 23, 1
; %bb.4690:                             ;   in Loop: Header=BB2_4287 Depth=3
	s_or_b32 exec_lo, exec_lo, s13
	s_delay_alu instid0(VALU_DEP_2) | instskip(NEXT) | instid1(VALU_DEP_2)
	v_lshrrev_b64 v[8:9], 21, v[8:9]
	v_cmp_gt_i32_e64 s13, 32, v12
	v_min_i32_e32 v2, 31, v12
	v_cmp_eq_u32_e64 s14, 0, v12
	s_delay_alu instid0(VALU_DEP_2) | instskip(SKIP_1) | instid1(VALU_DEP_2)
	v_dual_cndmask_b32 v9, 0, v9, s13 :: v_dual_lshlrev_b32 v2, 2, v2
	v_cndmask_b32_e64 v8, 3, v8, s13
	v_and_b32_e32 v2, 0xfc, v2
	s_delay_alu instid0(VALU_DEP_2) | instskip(NEXT) | instid1(VALU_DEP_2)
	v_cmp_eq_u64_e64 s13, 0, v[8:9]
	v_and_or_b32 v2, v8, 3, v2
	s_and_b32 s13, s14, s13
	s_delay_alu instid0(VALU_DEP_1) | instid1(SALU_CYCLE_1)
	v_cndmask_b32_e64 v2, v2, 0, s13
	s_delay_alu instid0(VALU_DEP_1)
	v_or_b32_e32 v89, v2, v56
.LBB2_4691:                             ;   in Loop: Header=BB2_4287 Depth=3
	s_or_b32 exec_lo, exec_lo, s74
                                        ; implicit-def: $vgpr56
.LBB2_4692:                             ;   in Loop: Header=BB2_4287 Depth=3
	s_and_not1_saveexec_b32 s13, s73
; %bb.4693:                             ;   in Loop: Header=BB2_4287 Depth=3
	v_or_b32_e32 v89, 0x7b, v56
; %bb.4694:                             ;   in Loop: Header=BB2_4287 Depth=3
	s_or_b32 exec_lo, exec_lo, s13
                                        ; implicit-def: $vgpr8
                                        ; implicit-def: $vgpr9
.LBB2_4695:                             ;   in Loop: Header=BB2_4287 Depth=3
	s_and_not1_saveexec_b32 s14, s72
	s_cbranch_execz .LBB2_4701
; %bb.4696:                             ;   in Loop: Header=BB2_4287 Depth=3
	v_cmp_ne_u64_e64 s13, 0, v[2:3]
                                        ; implicit-def: $vgpr89
	s_and_saveexec_b32 s72, s13
	s_delay_alu instid0(SALU_CYCLE_1)
	s_xor_b32 s13, exec_lo, s72
; %bb.4697:                             ;   in Loop: Header=BB2_4287 Depth=3
	v_or_b32_e32 v89, 0x7f, v9
                                        ; implicit-def: $vgpr8
; %bb.4698:                             ;   in Loop: Header=BB2_4287 Depth=3
	s_and_not1_saveexec_b32 s72, s13
; %bb.4699:                             ;   in Loop: Header=BB2_4287 Depth=3
	v_cmp_lt_i32_e64 s13, -1, v8
	s_delay_alu instid0(VALU_DEP_1)
	v_cndmask_b32_e64 v89, 0xfc, v110, s13
; %bb.4700:                             ;   in Loop: Header=BB2_4287 Depth=3
	s_or_b32 exec_lo, exec_lo, s72
.LBB2_4701:                             ;   in Loop: Header=BB2_4287 Depth=3
	s_delay_alu instid0(SALU_CYCLE_1) | instskip(SKIP_3) | instid1(VALU_DEP_2)
	s_or_b32 exec_lo, exec_lo, s14
	v_and_b32_e32 v8, 0xff, v15
	v_dual_mov_b32 v2, v15 :: v_dual_mov_b32 v12, 0
	s_mov_b32 s14, exec_lo
	v_cmpx_ne_u16_e32 0, v8
	s_cbranch_execz .LBB2_4711
; %bb.4702:                             ;   in Loop: Header=BB2_4287 Depth=3
	v_bfrev_b32_e32 v12, 1
	s_mov_b32 s72, exec_lo
	v_cmpx_ne_u16_e32 0x80, v8
	s_cbranch_execz .LBB2_4710
; %bb.4703:                             ;   in Loop: Header=BB2_4287 Depth=3
	v_and_b32_e32 v9, 0x7c, v15
	v_and_b32_e32 v8, 3, v15
	s_mov_b32 s73, exec_lo
                                        ; implicit-def: $vgpr12
	s_delay_alu instid0(VALU_DEP_2)
	v_cmpx_ne_u32_e32 0x7c, v9
	s_xor_b32 s73, exec_lo, s73
	s_cbranch_execz .LBB2_4707
; %bb.4704:                             ;   in Loop: Header=BB2_4287 Depth=3
	v_bfe_u32 v9, v15, 2, 5
	s_mov_b32 s74, exec_lo
	s_delay_alu instid0(VALU_DEP_1)
	v_cmpx_eq_u32_e32 0, v9
; %bb.4705:                             ;   in Loop: Header=BB2_4287 Depth=3
	v_clz_i32_u32_e32 v8, v8
	s_delay_alu instid0(VALU_DEP_1) | instskip(NEXT) | instid1(VALU_DEP_1)
	v_min_u32_e32 v12, 32, v8
	v_subrev_nc_u32_e32 v8, 29, v12
	s_delay_alu instid0(VALU_DEP_1) | instskip(SKIP_1) | instid1(VALU_DEP_2)
	v_lshlrev_b64_e32 v[8:9], v8, v[2:3]
	v_sub_nc_u32_e32 v9, 30, v12
	v_and_b32_e32 v8, 3, v8
; %bb.4706:                             ;   in Loop: Header=BB2_4287 Depth=3
	s_or_b32 exec_lo, exec_lo, s74
	v_lshlrev_b32_e32 v12, 24, v15
	s_delay_alu instid0(VALU_DEP_1) | instskip(NEXT) | instid1(VALU_DEP_1)
	v_and_b32_e32 v12, 0x80000000, v12
	v_lshl_add_u32 v9, v9, 23, v12
	s_delay_alu instid0(VALU_DEP_1) | instskip(NEXT) | instid1(VALU_DEP_1)
	v_lshl_or_b32 v8, v8, 21, v9
	v_add_nc_u32_e32 v12, 0x38000000, v8
                                        ; implicit-def: $vgpr8
.LBB2_4707:                             ;   in Loop: Header=BB2_4287 Depth=3
	s_and_not1_saveexec_b32 s73, s73
; %bb.4708:                             ;   in Loop: Header=BB2_4287 Depth=3
	v_bfe_i32 v9, v15, 0, 8
	s_delay_alu instid0(VALU_DEP_1) | instskip(NEXT) | instid1(VALU_DEP_1)
	v_cmp_lt_i16_e64 s13, -1, v9
	v_cndmask_b32_e64 v9, 0xff800000, v109, s13
	v_cmp_eq_u32_e64 s13, 0, v8
	s_delay_alu instid0(VALU_DEP_1)
	v_cndmask_b32_e64 v12, 0x7f800001, v9, s13
; %bb.4709:                             ;   in Loop: Header=BB2_4287 Depth=3
	s_or_b32 exec_lo, exec_lo, s73
.LBB2_4710:                             ;   in Loop: Header=BB2_4287 Depth=3
	s_delay_alu instid0(SALU_CYCLE_1)
	s_or_b32 exec_lo, exec_lo, s72
.LBB2_4711:                             ;   in Loop: Header=BB2_4287 Depth=3
	s_delay_alu instid0(SALU_CYCLE_1) | instskip(SKIP_4) | instid1(VALU_DEP_2)
	s_or_b32 exec_lo, exec_lo, s14
	v_and_b32_e32 v9, 0xff, v11
	v_mov_b32_e32 v8, v11
	s_mov_b32 s72, 0
	s_mov_b32 s14, exec_lo
	v_cmpx_lt_i16_e32 0x7f, v9
	s_xor_b32 s14, exec_lo, s14
	s_cbranch_execz .LBB2_4856
; %bb.4712:                             ;   in Loop: Header=BB2_4287 Depth=3
	s_mov_b32 s72, -1
	s_mov_b32 s73, exec_lo
	v_cmpx_eq_u16_e32 0x80, v9
; %bb.4713:                             ;   in Loop: Header=BB2_4287 Depth=3
	s_xor_b32 s72, exec_lo, -1
; %bb.4714:                             ;   in Loop: Header=BB2_4287 Depth=3
	s_or_b32 exec_lo, exec_lo, s73
	s_delay_alu instid0(SALU_CYCLE_1)
	s_and_b32 s72, s72, exec_lo
                                        ; implicit-def: $vgpr9
	s_or_saveexec_b32 s14, s14
	v_bfrev_b32_e32 v13, 1
	s_xor_b32 exec_lo, exec_lo, s14
	s_cbranch_execnz .LBB2_4857
.LBB2_4715:                             ;   in Loop: Header=BB2_4287 Depth=3
	s_or_b32 exec_lo, exec_lo, s14
	v_mov_b32_e32 v9, v3
	s_and_saveexec_b32 s14, s72
	s_cbranch_execz .LBB2_4717
.LBB2_4716:                             ;   in Loop: Header=BB2_4287 Depth=3
	v_and_b32_e32 v13, 3, v11
	s_delay_alu instid0(VALU_DEP_1) | instskip(NEXT) | instid1(VALU_DEP_1)
	v_clz_i32_u32_e32 v20, v13
	v_min_u32_e32 v20, 32, v20
	s_delay_alu instid0(VALU_DEP_1) | instskip(SKIP_1) | instid1(VALU_DEP_2)
	v_subrev_nc_u32_e32 v21, 29, v20
	v_sub_nc_u32_e32 v20, 30, v20
	v_lshlrev_b64_e32 v[56:57], v21, v[8:9]
	v_bfe_u32 v21, v11, 2, 5
	v_lshlrev_b32_e32 v9, 24, v11
	s_delay_alu instid0(VALU_DEP_2) | instskip(NEXT) | instid1(VALU_DEP_2)
	v_cmp_eq_u32_e64 s13, 0, v21
	v_and_b32_e32 v9, 0x80000000, v9
	v_and_b32_e32 v56, 3, v56
	s_delay_alu instid0(VALU_DEP_3) | instskip(SKIP_1) | instid1(VALU_DEP_3)
	v_cndmask_b32_e64 v20, v21, v20, s13
	v_bfe_i32 v21, v11, 0, 8
	v_cndmask_b32_e64 v56, v13, v56, s13
	s_delay_alu instid0(VALU_DEP_3) | instskip(NEXT) | instid1(VALU_DEP_3)
	v_lshl_add_u32 v9, v20, 23, v9
	v_cmp_lt_i16_e64 s13, -1, v21
	v_and_b32_e32 v21, 0x7c, v11
	s_delay_alu instid0(VALU_DEP_3) | instskip(NEXT) | instid1(VALU_DEP_3)
	v_lshl_or_b32 v9, v56, 21, v9
	v_cndmask_b32_e64 v20, 0xff800000, v109, s13
	v_cmp_eq_u32_e64 s13, 0, v13
	s_delay_alu instid0(VALU_DEP_3) | instskip(NEXT) | instid1(VALU_DEP_2)
	v_add_nc_u32_e32 v9, 0x38000000, v9
	v_cndmask_b32_e64 v13, 0x7f800001, v20, s13
	v_cmp_eq_u32_e64 s13, 0x7c, v21
	s_delay_alu instid0(VALU_DEP_1)
	v_cndmask_b32_e64 v13, v9, v13, s13
.LBB2_4717:                             ;   in Loop: Header=BB2_4287 Depth=3
	s_or_b32 exec_lo, exec_lo, s14
	s_delay_alu instid0(VALU_DEP_1) | instskip(SKIP_2) | instid1(VALU_DEP_2)
	v_dual_mul_f32 v57, v12, v13 :: v_dual_mov_b32 v91, v3
	v_mov_b32_e32 v13, v3
                                        ; implicit-def: $vgpr56
	s_mov_b32 s14, exec_lo
	v_and_b32_e32 v90, 0x7f800000, v57
	v_and_b32_e32 v12, 0x7fffff, v57
	v_lshrrev_b32_e32 v9, 24, v57
	s_delay_alu instid0(VALU_DEP_3)
	v_cmpx_ne_u64_e32 0x7f800000, v[90:91]
	s_xor_b32 s72, exec_lo, s14
	s_cbranch_execz .LBB2_4731
; %bb.4718:                             ;   in Loop: Header=BB2_4287 Depth=3
	v_and_b32_e32 v90, 0x7fffffff, v57
	v_mov_b32_e32 v91, v3
	v_and_b32_e32 v9, 0x80, v9
                                        ; implicit-def: $vgpr56
	s_mov_b32 s14, exec_lo
	s_delay_alu instid0(VALU_DEP_2)
	v_cmpx_gt_u64_e32 0x47600001, v[90:91]
	s_xor_b32 s73, exec_lo, s14
	s_cbranch_execz .LBB2_4728
; %bb.4719:                             ;   in Loop: Header=BB2_4287 Depth=3
	v_mov_b32_e32 v56, 0
	s_mov_b32 s74, exec_lo
	v_cmpx_ne_u32_e32 0, v57
	s_cbranch_execz .LBB2_4727
; %bb.4720:                             ;   in Loop: Header=BB2_4287 Depth=3
	v_bfe_u32 v90, v57, 23, 8
	v_or_b32_e32 v21, 0x800000, v12
	s_delay_alu instid0(VALU_DEP_2) | instskip(SKIP_1) | instid1(VALU_DEP_1)
	v_sub_nc_u32_e32 v20, 0x71, v90
	v_cmp_gt_u32_e64 s13, 0x72, v90
	v_cndmask_b32_e64 v20, 0, v20, s13
	v_cmp_eq_u32_e64 s13, 0, v90
	s_delay_alu instid0(VALU_DEP_1) | instskip(NEXT) | instid1(VALU_DEP_1)
	v_cndmask_b32_e64 v91, v20, 0x70, s13
	v_dual_cndmask_b32 v12, v21, v12, s13 :: v_dual_add_nc_u32 v20, 21, v91
	s_delay_alu instid0(VALU_DEP_1) | instskip(SKIP_1) | instid1(VALU_DEP_1)
	v_lshlrev_b64_e64 v[56:57], v20, -1
	v_add_nc_u32_e32 v20, 20, v91
	v_lshlrev_b64_e64 v[92:93], v20, 1
	s_delay_alu instid0(VALU_DEP_3) | instskip(SKIP_2) | instid1(VALU_DEP_1)
	v_bfi_b32 v56, v56, 0, v12
	v_lshrrev_b64 v[12:13], v91, v[12:13]
	v_bfi_b32 v57, v57, 0, 0
	v_cmp_eq_u64_e64 s14, v[56:57], v[92:93]
	s_delay_alu instid0(VALU_DEP_3)
	v_mov_b64_e32 v[56:57], v[12:13]
	s_and_saveexec_b32 s75, s14
; %bb.4721:                             ;   in Loop: Header=BB2_4287 Depth=3
	v_bfe_u32 v56, v12, 21, 1
	v_mov_b32_e32 v57, v3
	s_delay_alu instid0(VALU_DEP_1) | instskip(NEXT) | instid1(VALU_DEP_1)
	v_add_nc_u64_e32 v[56:57], v[12:13], v[56:57]
	v_add_nc_u64_e32 v[56:57], -1, v[56:57]
; %bb.4722:                             ;   in Loop: Header=BB2_4287 Depth=3
	s_or_b32 exec_lo, exec_lo, s75
	v_add_nc_u32_e32 v13, 0xffffff81, v90
	v_lshrrev_b32_e32 v20, 23, v12
	s_mov_b32 s14, exec_lo
	s_delay_alu instid0(VALU_DEP_2) | instskip(NEXT) | instid1(VALU_DEP_1)
	v_cndmask_b32_e64 v13, v13, 0xffffff82, s13
	v_add3_u32 v57, v91, v13, v20
	v_and_b32_e32 v13, 0x1fffff, v56
                                        ; implicit-def: $vgpr56
	s_delay_alu instid0(VALU_DEP_1) | instskip(SKIP_1) | instid1(VALU_DEP_2)
	v_dual_add_nc_u32 v90, 14, v57 :: v_dual_add_nc_u32 v12, v13, v12
	v_mov_b32_e32 v13, v3
	v_cmpx_ne_u32_e32 0, v90
	s_xor_b32 s14, exec_lo, s14
; %bb.4723:                             ;   in Loop: Header=BB2_4287 Depth=3
	s_delay_alu instid0(VALU_DEP_2) | instskip(SKIP_1) | instid1(VALU_DEP_1)
	v_cmp_lt_u64_e64 s13, 0xffffff, v[12:13]
	v_add_nc_u32_e32 v20, 15, v57
	v_cndmask_b32_e64 v56, v90, v20, s13
	v_cndmask_b32_e64 v20, 0, 1, s13
	s_delay_alu instid0(VALU_DEP_1)
	v_lshrrev_b64 v[12:13], v20, v[12:13]
; %bb.4724:                             ;   in Loop: Header=BB2_4287 Depth=3
	s_and_not1_saveexec_b32 s13, s14
; %bb.4725:                             ;   in Loop: Header=BB2_4287 Depth=3
	s_delay_alu instid0(VALU_DEP_1)
	v_bfe_u32 v56, v12, 23, 1
; %bb.4726:                             ;   in Loop: Header=BB2_4287 Depth=3
	s_or_b32 exec_lo, exec_lo, s13
	s_delay_alu instid0(VALU_DEP_2) | instskip(NEXT) | instid1(VALU_DEP_2)
	v_lshrrev_b64 v[12:13], 21, v[12:13]
	v_cmp_gt_i32_e64 s13, 32, v56
	v_min_i32_e32 v20, 31, v56
	v_cmp_eq_u32_e64 s14, 0, v56
	s_delay_alu instid0(VALU_DEP_2) | instskip(SKIP_1) | instid1(VALU_DEP_2)
	v_dual_cndmask_b32 v13, 0, v13, s13 :: v_dual_lshlrev_b32 v20, 2, v20
	v_cndmask_b32_e64 v12, 3, v12, s13
	v_and_b32_e32 v20, 0xfc, v20
	s_delay_alu instid0(VALU_DEP_2) | instskip(NEXT) | instid1(VALU_DEP_2)
	v_cmp_eq_u64_e64 s13, 0, v[12:13]
	v_and_or_b32 v12, v12, 3, v20
	s_and_b32 s13, s14, s13
	s_delay_alu instid0(VALU_DEP_1) | instid1(SALU_CYCLE_1)
	v_cndmask_b32_e64 v12, v12, 0, s13
	s_delay_alu instid0(VALU_DEP_1)
	v_or_b32_e32 v56, v12, v9
.LBB2_4727:                             ;   in Loop: Header=BB2_4287 Depth=3
	s_or_b32 exec_lo, exec_lo, s74
                                        ; implicit-def: $vgpr9
.LBB2_4728:                             ;   in Loop: Header=BB2_4287 Depth=3
	s_and_not1_saveexec_b32 s13, s73
; %bb.4729:                             ;   in Loop: Header=BB2_4287 Depth=3
	v_or_b32_e32 v56, 0x7b, v9
; %bb.4730:                             ;   in Loop: Header=BB2_4287 Depth=3
	s_or_b32 exec_lo, exec_lo, s13
                                        ; implicit-def: $vgpr57
                                        ; implicit-def: $vgpr12_vgpr13
                                        ; implicit-def: $vgpr9
.LBB2_4731:                             ;   in Loop: Header=BB2_4287 Depth=3
	s_and_not1_saveexec_b32 s14, s72
	s_cbranch_execz .LBB2_4737
; %bb.4732:                             ;   in Loop: Header=BB2_4287 Depth=3
	v_cmp_ne_u64_e64 s13, 0, v[12:13]
                                        ; implicit-def: $vgpr56
	s_and_saveexec_b32 s72, s13
	s_delay_alu instid0(SALU_CYCLE_1)
	s_xor_b32 s13, exec_lo, s72
; %bb.4733:                             ;   in Loop: Header=BB2_4287 Depth=3
	v_or_b32_e32 v56, 0x7f, v9
                                        ; implicit-def: $vgpr57
; %bb.4734:                             ;   in Loop: Header=BB2_4287 Depth=3
	s_and_not1_saveexec_b32 s72, s13
; %bb.4735:                             ;   in Loop: Header=BB2_4287 Depth=3
	v_cmp_lt_i32_e64 s13, -1, v57
	s_delay_alu instid0(VALU_DEP_1)
	v_cndmask_b32_e64 v56, 0xfc, v110, s13
; %bb.4736:                             ;   in Loop: Header=BB2_4287 Depth=3
	s_or_b32 exec_lo, exec_lo, s72
.LBB2_4737:                             ;   in Loop: Header=BB2_4287 Depth=3
	s_delay_alu instid0(SALU_CYCLE_1) | instskip(SKIP_3) | instid1(VALU_DEP_2)
	s_or_b32 exec_lo, exec_lo, s14
	v_lshrrev_b16 v12, 8, v2
	v_mov_b32_e32 v9, 0
	s_mov_b32 s14, exec_lo
	v_cmpx_ne_u16_e32 0, v12
	s_cbranch_execz .LBB2_4747
; %bb.4738:                             ;   in Loop: Header=BB2_4287 Depth=3
	v_bfrev_b32_e32 v9, 1
	s_mov_b32 s72, exec_lo
	v_cmpx_ne_u16_e32 0x80, v12
	s_cbranch_execz .LBB2_4746
; %bb.4739:                             ;   in Loop: Header=BB2_4287 Depth=3
	v_and_b32_e32 v57, 0xffff, v12
	s_delay_alu instid0(VALU_DEP_1) | instskip(SKIP_1) | instid1(VALU_DEP_2)
	v_and_b32_e32 v9, 0x7c, v57
	v_and_b32_e32 v13, 3, v57
	v_cmp_ne_u32_e64 s13, 0x7c, v9
                                        ; implicit-def: $vgpr9
	s_and_saveexec_b32 s73, s13
	s_delay_alu instid0(SALU_CYCLE_1)
	s_xor_b32 s73, exec_lo, s73
	s_cbranch_execz .LBB2_4743
; %bb.4740:                             ;   in Loop: Header=BB2_4287 Depth=3
	v_bfe_u32 v9, v57, 2, 5
	s_mov_b32 s74, exec_lo
	s_delay_alu instid0(VALU_DEP_1)
	v_cmpx_eq_u32_e32 0, v9
	s_cbranch_execz .LBB2_4742
; %bb.4741:                             ;   in Loop: Header=BB2_4287 Depth=3
	v_clz_i32_u32_e32 v9, v13
	s_delay_alu instid0(VALU_DEP_1) | instskip(SKIP_1) | instid1(VALU_DEP_2)
	v_min_u32_e32 v9, 32, v9
	v_mov_b32_e32 v13, v3
	v_subrev_nc_u32_e32 v20, 29, v9
	v_sub_nc_u32_e32 v9, 30, v9
	s_delay_alu instid0(VALU_DEP_2) | instskip(NEXT) | instid1(VALU_DEP_1)
	v_lshlrev_b64_e32 v[12:13], v20, v[12:13]
	v_and_b32_e32 v13, 3, v12
.LBB2_4742:                             ;   in Loop: Header=BB2_4287 Depth=3
	s_or_b32 exec_lo, exec_lo, s74
	v_lshlrev_b32_e32 v2, 16, v2
	s_delay_alu instid0(VALU_DEP_1) | instskip(NEXT) | instid1(VALU_DEP_1)
	v_and_b32_e32 v2, 0x80000000, v2
	v_lshl_add_u32 v2, v9, 23, v2
	s_delay_alu instid0(VALU_DEP_1) | instskip(NEXT) | instid1(VALU_DEP_1)
	v_lshl_or_b32 v2, v13, 21, v2
                                        ; implicit-def: $vgpr13
	v_add_nc_u32_e32 v9, 0x38000000, v2
.LBB2_4743:                             ;   in Loop: Header=BB2_4287 Depth=3
	s_and_not1_saveexec_b32 s73, s73
; %bb.4744:                             ;   in Loop: Header=BB2_4287 Depth=3
	v_cmp_lt_i16_e64 s13, -1, v2
	s_delay_alu instid0(VALU_DEP_1) | instskip(SKIP_1) | instid1(VALU_DEP_1)
	v_cndmask_b32_e64 v2, 0xff800000, v109, s13
	v_cmp_eq_u32_e64 s13, 0, v13
	v_cndmask_b32_e64 v9, 0x7f800001, v2, s13
; %bb.4745:                             ;   in Loop: Header=BB2_4287 Depth=3
	s_or_b32 exec_lo, exec_lo, s73
.LBB2_4746:                             ;   in Loop: Header=BB2_4287 Depth=3
	s_delay_alu instid0(SALU_CYCLE_1)
	s_or_b32 exec_lo, exec_lo, s72
.LBB2_4747:                             ;   in Loop: Header=BB2_4287 Depth=3
	s_delay_alu instid0(SALU_CYCLE_1) | instskip(SKIP_3) | instid1(VALU_DEP_1)
	s_or_b32 exec_lo, exec_lo, s14
	v_lshrrev_b16 v2, 8, v8
	s_mov_b32 s72, 0
	s_mov_b32 s14, exec_lo
	v_cmpx_lt_i16_e32 0x7f, v2
	s_xor_b32 s14, exec_lo, s14
	s_cbranch_execz .LBB2_4858
; %bb.4748:                             ;   in Loop: Header=BB2_4287 Depth=3
	s_mov_b32 s72, -1
	s_mov_b32 s73, exec_lo
	v_cmpx_eq_u16_e32 0x80, v2
; %bb.4749:                             ;   in Loop: Header=BB2_4287 Depth=3
	s_xor_b32 s72, exec_lo, -1
; %bb.4750:                             ;   in Loop: Header=BB2_4287 Depth=3
	s_or_b32 exec_lo, exec_lo, s73
	s_delay_alu instid0(SALU_CYCLE_1)
	s_and_b32 s72, s72, exec_lo
	s_or_saveexec_b32 s14, s14
	v_bfrev_b32_e32 v12, 1
	s_xor_b32 exec_lo, exec_lo, s14
	s_cbranch_execnz .LBB2_4859
.LBB2_4751:                             ;   in Loop: Header=BB2_4287 Depth=3
	s_or_b32 exec_lo, exec_lo, s14
	s_and_saveexec_b32 s14, s72
	s_cbranch_execz .LBB2_4753
.LBB2_4752:                             ;   in Loop: Header=BB2_4287 Depth=3
	v_and_b32_e32 v20, 0xffff, v2
	s_delay_alu instid0(VALU_DEP_1) | instskip(NEXT) | instid1(VALU_DEP_1)
	v_and_b32_e32 v21, 3, v20
	v_clz_i32_u32_e32 v12, v21
	s_delay_alu instid0(VALU_DEP_1) | instskip(NEXT) | instid1(VALU_DEP_1)
	v_min_u32_e32 v57, 32, v12
	v_subrev_nc_u32_e32 v12, 29, v57
	s_delay_alu instid0(VALU_DEP_1) | instskip(SKIP_2) | instid1(VALU_DEP_2)
	v_lshlrev_b64_e32 v[12:13], v12, v[2:3]
	v_bfe_u32 v13, v20, 2, 5
	v_dual_lshlrev_b32 v2, 24, v2 :: v_dual_sub_nc_u32 v57, 30, v57
	v_cmp_eq_u32_e64 s13, 0, v13
	s_delay_alu instid0(VALU_DEP_2) | instskip(NEXT) | instid1(VALU_DEP_2)
	v_and_b32_e32 v2, 0x80000000, v2
	v_dual_cndmask_b32 v13, v13, v57, s13 :: v_dual_bitop2_b32 v12, 3, v12 bitop3:0x40
	s_delay_alu instid0(VALU_DEP_1) | instskip(SKIP_1) | instid1(VALU_DEP_3)
	v_cndmask_b32_e64 v12, v21, v12, s13
	v_cmp_lt_i16_e64 s13, -1, v8
	v_lshl_add_u32 v2, v13, 23, v2
	s_delay_alu instid0(VALU_DEP_2) | instskip(SKIP_1) | instid1(VALU_DEP_3)
	v_cndmask_b32_e64 v8, 0xff800000, v109, s13
	v_cmp_eq_u32_e64 s13, 0, v21
	v_lshl_or_b32 v2, v12, 21, v2
	v_and_b32_e32 v12, 0x7c, v20
	s_delay_alu instid0(VALU_DEP_3) | instskip(NEXT) | instid1(VALU_DEP_3)
	v_cndmask_b32_e64 v8, 0x7f800001, v8, s13
	v_add_nc_u32_e32 v2, 0x38000000, v2
	s_delay_alu instid0(VALU_DEP_3) | instskip(NEXT) | instid1(VALU_DEP_1)
	v_cmp_eq_u32_e64 s13, 0x7c, v12
	v_cndmask_b32_e64 v12, v2, v8, s13
.LBB2_4753:                             ;   in Loop: Header=BB2_4287 Depth=3
	s_or_b32 exec_lo, exec_lo, s14
	s_delay_alu instid0(VALU_DEP_1) | instskip(SKIP_1) | instid1(VALU_DEP_1)
	v_dual_mul_f32 v8, v9, v12 :: v_dual_mov_b32 v13, v3
                                        ; implicit-def: $vgpr57
	s_mov_b32 s14, exec_lo
	v_and_b32_e32 v12, 0x7f800000, v8
	v_and_b32_e32 v2, 0x7fffff, v8
	v_lshrrev_b32_e32 v9, 24, v8
	s_delay_alu instid0(VALU_DEP_3)
	v_cmpx_ne_u64_e32 0x7f800000, v[12:13]
	s_xor_b32 s72, exec_lo, s14
	s_cbranch_execz .LBB2_4767
; %bb.4754:                             ;   in Loop: Header=BB2_4287 Depth=3
	v_and_b32_e32 v12, 0x7fffffff, v8
	v_mov_b32_e32 v13, v3
	v_and_b32_e32 v90, 0x80, v9
                                        ; implicit-def: $vgpr57
	s_mov_b32 s14, exec_lo
	s_delay_alu instid0(VALU_DEP_2)
	v_cmpx_gt_u64_e32 0x47600001, v[12:13]
	s_xor_b32 s73, exec_lo, s14
	s_cbranch_execz .LBB2_4764
; %bb.4755:                             ;   in Loop: Header=BB2_4287 Depth=3
	v_mov_b32_e32 v57, 0
	s_mov_b32 s74, exec_lo
	v_cmpx_ne_u32_e32 0, v8
	s_cbranch_execz .LBB2_4763
; %bb.4756:                             ;   in Loop: Header=BB2_4287 Depth=3
	v_bfe_u32 v57, v8, 23, 8
	v_or_b32_e32 v12, 0x800000, v2
	s_delay_alu instid0(VALU_DEP_2) | instskip(SKIP_1) | instid1(VALU_DEP_1)
	v_sub_nc_u32_e32 v8, 0x71, v57
	v_cmp_gt_u32_e64 s13, 0x72, v57
	v_cndmask_b32_e64 v8, 0, v8, s13
	v_cmp_eq_u32_e64 s13, 0, v57
	s_delay_alu instid0(VALU_DEP_1) | instskip(NEXT) | instid1(VALU_DEP_1)
	v_cndmask_b32_e64 v91, v8, 0x70, s13
	v_dual_cndmask_b32 v2, v12, v2, s13 :: v_dual_add_nc_u32 v8, 21, v91
	v_add_nc_u32_e32 v13, 20, v91
	s_delay_alu instid0(VALU_DEP_2) | instskip(NEXT) | instid1(VALU_DEP_2)
	v_lshlrev_b64_e64 v[8:9], v8, -1
	v_lshlrev_b64_e64 v[12:13], v13, 1
	s_delay_alu instid0(VALU_DEP_2) | instskip(NEXT) | instid1(VALU_DEP_3)
	v_bfi_b32 v93, v9, 0, 0
	v_bfi_b32 v92, v8, 0, v2
	v_lshrrev_b64 v[8:9], v91, v[2:3]
	s_delay_alu instid0(VALU_DEP_2) | instskip(NEXT) | instid1(VALU_DEP_2)
	v_cmp_eq_u64_e64 s14, v[92:93], v[12:13]
	v_mov_b64_e32 v[12:13], v[8:9]
	s_and_saveexec_b32 s75, s14
; %bb.4757:                             ;   in Loop: Header=BB2_4287 Depth=3
	v_bfe_u32 v2, v8, 21, 1
	s_delay_alu instid0(VALU_DEP_1) | instskip(NEXT) | instid1(VALU_DEP_1)
	v_add_nc_u64_e32 v[12:13], v[8:9], v[2:3]
	v_add_nc_u64_e32 v[12:13], -1, v[12:13]
; %bb.4758:                             ;   in Loop: Header=BB2_4287 Depth=3
	s_or_b32 exec_lo, exec_lo, s75
	v_add_nc_u32_e32 v2, 0xffffff81, v57
	v_lshrrev_b32_e32 v9, 23, v8
	s_mov_b32 s14, exec_lo
	s_delay_alu instid0(VALU_DEP_2) | instskip(NEXT) | instid1(VALU_DEP_1)
	v_cndmask_b32_e64 v2, v2, 0xffffff82, s13
	v_add3_u32 v13, v91, v2, v9
	v_and_b32_e32 v2, 0x1fffff, v12
                                        ; implicit-def: $vgpr12
	s_delay_alu instid0(VALU_DEP_1) | instskip(NEXT) | instid1(VALU_DEP_1)
	v_dual_add_nc_u32 v57, 14, v13 :: v_dual_add_nc_u32 v2, v2, v8
                                        ; implicit-def: $vgpr8_vgpr9
	v_cmpx_ne_u32_e32 0, v57
	s_xor_b32 s14, exec_lo, s14
; %bb.4759:                             ;   in Loop: Header=BB2_4287 Depth=3
	s_delay_alu instid0(VALU_DEP_2) | instskip(SKIP_1) | instid1(VALU_DEP_1)
	v_cmp_lt_u64_e64 s13, 0xffffff, v[2:3]
	v_add_nc_u32_e32 v8, 15, v13
	v_cndmask_b32_e64 v12, v57, v8, s13
	v_cndmask_b32_e64 v8, 0, 1, s13
	s_delay_alu instid0(VALU_DEP_1)
	v_lshrrev_b64 v[8:9], v8, v[2:3]
; %bb.4760:                             ;   in Loop: Header=BB2_4287 Depth=3
	s_and_not1_saveexec_b32 s13, s14
; %bb.4761:                             ;   in Loop: Header=BB2_4287 Depth=3
	v_mov_b64_e32 v[8:9], v[2:3]
	v_bfe_u32 v12, v2, 23, 1
; %bb.4762:                             ;   in Loop: Header=BB2_4287 Depth=3
	s_or_b32 exec_lo, exec_lo, s13
	s_delay_alu instid0(VALU_DEP_2) | instskip(NEXT) | instid1(VALU_DEP_2)
	v_lshrrev_b64 v[8:9], 21, v[8:9]
	v_cmp_gt_i32_e64 s13, 32, v12
	v_min_i32_e32 v2, 31, v12
	v_cmp_eq_u32_e64 s14, 0, v12
	s_delay_alu instid0(VALU_DEP_2) | instskip(SKIP_1) | instid1(VALU_DEP_2)
	v_dual_cndmask_b32 v9, 0, v9, s13 :: v_dual_lshlrev_b32 v2, 2, v2
	v_cndmask_b32_e64 v8, 3, v8, s13
	v_and_b32_e32 v2, 0xfc, v2
	s_delay_alu instid0(VALU_DEP_2) | instskip(NEXT) | instid1(VALU_DEP_2)
	v_cmp_eq_u64_e64 s13, 0, v[8:9]
	v_and_or_b32 v2, v8, 3, v2
	s_and_b32 s13, s14, s13
	s_delay_alu instid0(VALU_DEP_1) | instid1(SALU_CYCLE_1)
	v_cndmask_b32_e64 v2, v2, 0, s13
	s_delay_alu instid0(VALU_DEP_1)
	v_or_b32_e32 v57, v2, v90
.LBB2_4763:                             ;   in Loop: Header=BB2_4287 Depth=3
	s_or_b32 exec_lo, exec_lo, s74
                                        ; implicit-def: $vgpr90
.LBB2_4764:                             ;   in Loop: Header=BB2_4287 Depth=3
	s_and_not1_saveexec_b32 s13, s73
; %bb.4765:                             ;   in Loop: Header=BB2_4287 Depth=3
	v_or_b32_e32 v57, 0x7b, v90
; %bb.4766:                             ;   in Loop: Header=BB2_4287 Depth=3
	s_or_b32 exec_lo, exec_lo, s13
                                        ; implicit-def: $vgpr8
                                        ; implicit-def: $vgpr9
.LBB2_4767:                             ;   in Loop: Header=BB2_4287 Depth=3
	s_and_not1_saveexec_b32 s14, s72
	s_cbranch_execz .LBB2_4773
; %bb.4768:                             ;   in Loop: Header=BB2_4287 Depth=3
	v_cmp_ne_u64_e64 s13, 0, v[2:3]
                                        ; implicit-def: $vgpr57
	s_and_saveexec_b32 s72, s13
	s_delay_alu instid0(SALU_CYCLE_1)
	s_xor_b32 s13, exec_lo, s72
; %bb.4769:                             ;   in Loop: Header=BB2_4287 Depth=3
	v_or_b32_e32 v57, 0x7f, v9
                                        ; implicit-def: $vgpr8
; %bb.4770:                             ;   in Loop: Header=BB2_4287 Depth=3
	s_and_not1_saveexec_b32 s72, s13
; %bb.4771:                             ;   in Loop: Header=BB2_4287 Depth=3
	v_cmp_lt_i32_e64 s13, -1, v8
	s_delay_alu instid0(VALU_DEP_1)
	v_cndmask_b32_e64 v57, 0xfc, v110, s13
; %bb.4772:                             ;   in Loop: Header=BB2_4287 Depth=3
	s_or_b32 exec_lo, exec_lo, s72
.LBB2_4773:                             ;   in Loop: Header=BB2_4287 Depth=3
	s_delay_alu instid0(SALU_CYCLE_1) | instskip(SKIP_2) | instid1(VALU_DEP_1)
	s_or_b32 exec_lo, exec_lo, s14
	v_dual_lshrrev_b32 v2, 16, v15 :: v_dual_mov_b32 v8, 0
	s_mov_b32 s14, exec_lo
	v_and_b32_e32 v9, 0xff, v2
	s_delay_alu instid0(VALU_DEP_1)
	v_cmpx_ne_u16_e32 0, v9
	s_cbranch_execz .LBB2_4783
; %bb.4774:                             ;   in Loop: Header=BB2_4287 Depth=3
	v_bfrev_b32_e32 v8, 1
	s_mov_b32 s72, exec_lo
	v_cmpx_ne_u16_e32 0x80, v9
	s_cbranch_execz .LBB2_4782
; %bb.4775:                             ;   in Loop: Header=BB2_4287 Depth=3
	v_and_b32_e32 v8, 0x7c0000, v15
	v_bfe_u32 v9, v15, 16, 2
	s_delay_alu instid0(VALU_DEP_2) | instskip(SKIP_1) | instid1(SALU_CYCLE_1)
	v_cmp_ne_u32_e64 s13, 0x7c0000, v8
                                        ; implicit-def: $vgpr8
	s_and_saveexec_b32 s73, s13
	s_xor_b32 s73, exec_lo, s73
	s_cbranch_execz .LBB2_4779
; %bb.4776:                             ;   in Loop: Header=BB2_4287 Depth=3
	v_bfe_u32 v8, v15, 18, 5
	s_mov_b32 s74, exec_lo
	s_delay_alu instid0(VALU_DEP_1)
	v_cmpx_eq_u32_e32 0, v8
; %bb.4777:                             ;   in Loop: Header=BB2_4287 Depth=3
	v_clz_i32_u32_e32 v8, v9
	s_delay_alu instid0(VALU_DEP_1) | instskip(NEXT) | instid1(VALU_DEP_1)
	v_min_u32_e32 v8, 32, v8
	v_subrev_nc_u32_e32 v9, 29, v8
	v_sub_nc_u32_e32 v8, 30, v8
	s_delay_alu instid0(VALU_DEP_2) | instskip(NEXT) | instid1(VALU_DEP_1)
	v_lshlrev_b64_e32 v[12:13], v9, v[2:3]
	v_and_b32_e32 v9, 3, v12
; %bb.4778:                             ;   in Loop: Header=BB2_4287 Depth=3
	s_or_b32 exec_lo, exec_lo, s74
	v_lshlrev_b32_e32 v2, 24, v2
	s_delay_alu instid0(VALU_DEP_1) | instskip(NEXT) | instid1(VALU_DEP_1)
	v_and_b32_e32 v2, 0x80000000, v2
	v_lshl_add_u32 v2, v8, 23, v2
	s_delay_alu instid0(VALU_DEP_1) | instskip(NEXT) | instid1(VALU_DEP_1)
	v_lshl_or_b32 v2, v9, 21, v2
                                        ; implicit-def: $vgpr9
	v_add_nc_u32_e32 v8, 0x38000000, v2
                                        ; implicit-def: $vgpr2
.LBB2_4779:                             ;   in Loop: Header=BB2_4287 Depth=3
	s_and_not1_saveexec_b32 s73, s73
; %bb.4780:                             ;   in Loop: Header=BB2_4287 Depth=3
	v_bfe_i32 v2, v2, 0, 8
	s_delay_alu instid0(VALU_DEP_1) | instskip(NEXT) | instid1(VALU_DEP_1)
	v_cmp_lt_i16_e64 s13, -1, v2
	v_cndmask_b32_e64 v2, 0xff800000, v109, s13
	v_cmp_eq_u32_e64 s13, 0, v9
	s_delay_alu instid0(VALU_DEP_1)
	v_cndmask_b32_e64 v8, 0x7f800001, v2, s13
; %bb.4781:                             ;   in Loop: Header=BB2_4287 Depth=3
	s_or_b32 exec_lo, exec_lo, s73
.LBB2_4782:                             ;   in Loop: Header=BB2_4287 Depth=3
	s_delay_alu instid0(SALU_CYCLE_1)
	s_or_b32 exec_lo, exec_lo, s72
.LBB2_4783:                             ;   in Loop: Header=BB2_4287 Depth=3
	s_delay_alu instid0(SALU_CYCLE_1) | instskip(SKIP_3) | instid1(VALU_DEP_1)
	s_or_b32 exec_lo, exec_lo, s14
	v_lshrrev_b32_e32 v2, 16, v11
	s_mov_b32 s72, 0
	s_mov_b32 s14, exec_lo
	v_and_b32_e32 v12, 0xff, v2
	s_delay_alu instid0(VALU_DEP_1)
	v_cmpx_lt_i16_e32 0x7f, v12
	s_xor_b32 s14, exec_lo, s14
	s_cbranch_execz .LBB2_4860
; %bb.4784:                             ;   in Loop: Header=BB2_4287 Depth=3
	s_mov_b32 s72, -1
	s_mov_b32 s73, exec_lo
	v_cmpx_eq_u16_e32 0x80, v12
; %bb.4785:                             ;   in Loop: Header=BB2_4287 Depth=3
	s_xor_b32 s72, exec_lo, -1
; %bb.4786:                             ;   in Loop: Header=BB2_4287 Depth=3
	s_or_b32 exec_lo, exec_lo, s73
	s_delay_alu instid0(SALU_CYCLE_1)
	s_and_b32 s72, s72, exec_lo
                                        ; implicit-def: $vgpr12
	s_or_saveexec_b32 s14, s14
	v_bfrev_b32_e32 v9, 1
	s_xor_b32 exec_lo, exec_lo, s14
	s_cbranch_execnz .LBB2_4861
.LBB2_4787:                             ;   in Loop: Header=BB2_4287 Depth=3
	s_or_b32 exec_lo, exec_lo, s14
	s_and_saveexec_b32 s14, s72
	s_cbranch_execz .LBB2_4789
.LBB2_4788:                             ;   in Loop: Header=BB2_4287 Depth=3
	v_and_b32_e32 v9, 3, v2
	v_bfe_u32 v21, v11, 18, 5
	s_delay_alu instid0(VALU_DEP_2) | instskip(NEXT) | instid1(VALU_DEP_2)
	v_clz_i32_u32_e32 v12, v9
	v_cmp_eq_u32_e64 s13, 0, v21
	s_delay_alu instid0(VALU_DEP_2) | instskip(NEXT) | instid1(VALU_DEP_1)
	v_min_u32_e32 v20, 32, v12
	v_subrev_nc_u32_e32 v12, 29, v20
	v_sub_nc_u32_e32 v20, 30, v20
	s_delay_alu instid0(VALU_DEP_2) | instskip(NEXT) | instid1(VALU_DEP_2)
	v_lshlrev_b64_e32 v[12:13], v12, v[2:3]
	v_dual_lshlrev_b32 v13, 24, v2 :: v_dual_cndmask_b32 v20, v21, v20, s13
	v_bfe_i32 v2, v2, 0, 8
	s_delay_alu instid0(VALU_DEP_2) | instskip(NEXT) | instid1(VALU_DEP_4)
	v_and_b32_e32 v13, 0x80000000, v13
	v_and_b32_e32 v12, 3, v12
	s_delay_alu instid0(VALU_DEP_2) | instskip(NEXT) | instid1(VALU_DEP_2)
	v_lshl_add_u32 v13, v20, 23, v13
	v_cndmask_b32_e64 v12, v9, v12, s13
	v_cmp_lt_i16_e64 s13, -1, v2
	s_delay_alu instid0(VALU_DEP_2) | instskip(NEXT) | instid1(VALU_DEP_2)
	v_lshl_or_b32 v12, v12, 21, v13
	v_cndmask_b32_e64 v2, 0xff800000, v109, s13
	v_and_b32_e32 v13, 0x7c0000, v11
	v_cmp_eq_u32_e64 s13, 0, v9
	s_delay_alu instid0(VALU_DEP_4) | instskip(NEXT) | instid1(VALU_DEP_2)
	v_add_nc_u32_e32 v9, 0x38000000, v12
	v_cndmask_b32_e64 v2, 0x7f800001, v2, s13
	s_delay_alu instid0(VALU_DEP_4) | instskip(NEXT) | instid1(VALU_DEP_1)
	v_cmp_eq_u32_e64 s13, 0x7c0000, v13
	v_cndmask_b32_e64 v9, v9, v2, s13
.LBB2_4789:                             ;   in Loop: Header=BB2_4287 Depth=3
	s_or_b32 exec_lo, exec_lo, s14
	s_delay_alu instid0(VALU_DEP_1) | instskip(NEXT) | instid1(VALU_DEP_1)
	v_dual_mul_f32 v8, v8, v9 :: v_dual_mov_b32 v13, v3
	v_and_b32_e32 v12, 0x7f800000, v8
	v_and_b32_e32 v2, 0x7fffff, v8
	v_lshrrev_b32_e32 v9, 24, v8
	s_delay_alu instid0(VALU_DEP_3) | instskip(SKIP_1) | instid1(SALU_CYCLE_1)
	v_cmp_ne_u64_e64 s13, 0x7f800000, v[12:13]
                                        ; implicit-def: $vgpr12
	s_and_saveexec_b32 s14, s13
	s_xor_b32 s72, exec_lo, s14
	s_cbranch_execz .LBB2_4803
; %bb.4790:                             ;   in Loop: Header=BB2_4287 Depth=3
	v_and_b32_e32 v12, 0x7fffffff, v8
	v_mov_b32_e32 v13, v3
	v_and_b32_e32 v90, 0x80, v9
	s_delay_alu instid0(VALU_DEP_2) | instskip(SKIP_1) | instid1(SALU_CYCLE_1)
	v_cmp_gt_u64_e64 s13, 0x47600001, v[12:13]
                                        ; implicit-def: $vgpr12
	s_and_saveexec_b32 s14, s13
	s_xor_b32 s73, exec_lo, s14
	s_cbranch_execz .LBB2_4800
; %bb.4791:                             ;   in Loop: Header=BB2_4287 Depth=3
	v_mov_b32_e32 v12, 0
	s_mov_b32 s74, exec_lo
	v_cmpx_ne_u32_e32 0, v8
	s_cbranch_execz .LBB2_4799
; %bb.4792:                             ;   in Loop: Header=BB2_4287 Depth=3
	v_bfe_u32 v91, v8, 23, 8
	v_or_b32_e32 v12, 0x800000, v2
	s_delay_alu instid0(VALU_DEP_2) | instskip(SKIP_1) | instid1(VALU_DEP_1)
	v_sub_nc_u32_e32 v8, 0x71, v91
	v_cmp_gt_u32_e64 s13, 0x72, v91
	v_cndmask_b32_e64 v8, 0, v8, s13
	v_cmp_eq_u32_e64 s13, 0, v91
	s_delay_alu instid0(VALU_DEP_1) | instskip(NEXT) | instid1(VALU_DEP_3)
	v_cndmask_b32_e64 v2, v12, v2, s13
	v_cndmask_b32_e64 v92, v8, 0x70, s13
	s_delay_alu instid0(VALU_DEP_1) | instskip(NEXT) | instid1(VALU_DEP_1)
	v_dual_add_nc_u32 v8, 21, v92 :: v_dual_add_nc_u32 v13, 20, v92
	v_lshlrev_b64_e64 v[8:9], v8, -1
	s_delay_alu instid0(VALU_DEP_2) | instskip(NEXT) | instid1(VALU_DEP_2)
	v_lshlrev_b64_e64 v[12:13], v13, 1
	v_bfi_b32 v95, v9, 0, 0
	s_delay_alu instid0(VALU_DEP_3) | instskip(SKIP_1) | instid1(VALU_DEP_2)
	v_bfi_b32 v94, v8, 0, v2
	v_lshrrev_b64 v[8:9], v92, v[2:3]
	v_cmp_eq_u64_e64 s14, v[94:95], v[12:13]
	s_delay_alu instid0(VALU_DEP_2)
	v_mov_b64_e32 v[12:13], v[8:9]
	s_and_saveexec_b32 s75, s14
; %bb.4793:                             ;   in Loop: Header=BB2_4287 Depth=3
	v_bfe_u32 v2, v8, 21, 1
	s_delay_alu instid0(VALU_DEP_1) | instskip(NEXT) | instid1(VALU_DEP_1)
	v_add_nc_u64_e32 v[12:13], v[8:9], v[2:3]
	v_add_nc_u64_e32 v[12:13], -1, v[12:13]
; %bb.4794:                             ;   in Loop: Header=BB2_4287 Depth=3
	s_or_b32 exec_lo, exec_lo, s75
	v_add_nc_u32_e32 v2, 0xffffff81, v91
	v_lshrrev_b32_e32 v9, 23, v8
	s_mov_b32 s14, exec_lo
	s_delay_alu instid0(VALU_DEP_2) | instskip(NEXT) | instid1(VALU_DEP_1)
	v_cndmask_b32_e64 v2, v2, 0xffffff82, s13
	v_add3_u32 v13, v92, v2, v9
	v_and_b32_e32 v2, 0x1fffff, v12
                                        ; implicit-def: $vgpr12
	s_delay_alu instid0(VALU_DEP_1) | instskip(NEXT) | instid1(VALU_DEP_1)
	v_dual_add_nc_u32 v91, 14, v13 :: v_dual_add_nc_u32 v2, v2, v8
                                        ; implicit-def: $vgpr8_vgpr9
	v_cmpx_ne_u32_e32 0, v91
	s_xor_b32 s14, exec_lo, s14
; %bb.4795:                             ;   in Loop: Header=BB2_4287 Depth=3
	s_delay_alu instid0(VALU_DEP_2) | instskip(SKIP_1) | instid1(VALU_DEP_1)
	v_cmp_lt_u64_e64 s13, 0xffffff, v[2:3]
	v_add_nc_u32_e32 v8, 15, v13
	v_cndmask_b32_e64 v12, v91, v8, s13
	v_cndmask_b32_e64 v8, 0, 1, s13
	s_delay_alu instid0(VALU_DEP_1)
	v_lshrrev_b64 v[8:9], v8, v[2:3]
; %bb.4796:                             ;   in Loop: Header=BB2_4287 Depth=3
	s_and_not1_saveexec_b32 s13, s14
; %bb.4797:                             ;   in Loop: Header=BB2_4287 Depth=3
	v_mov_b64_e32 v[8:9], v[2:3]
	v_bfe_u32 v12, v2, 23, 1
; %bb.4798:                             ;   in Loop: Header=BB2_4287 Depth=3
	s_or_b32 exec_lo, exec_lo, s13
	s_delay_alu instid0(VALU_DEP_2) | instskip(NEXT) | instid1(VALU_DEP_2)
	v_lshrrev_b64 v[8:9], 21, v[8:9]
	v_cmp_gt_i32_e64 s13, 32, v12
	v_min_i32_e32 v2, 31, v12
	v_cmp_eq_u32_e64 s14, 0, v12
	s_delay_alu instid0(VALU_DEP_2) | instskip(SKIP_1) | instid1(VALU_DEP_2)
	v_dual_cndmask_b32 v9, 0, v9, s13 :: v_dual_lshlrev_b32 v2, 2, v2
	v_cndmask_b32_e64 v8, 3, v8, s13
	v_and_b32_e32 v2, 0xfc, v2
	s_delay_alu instid0(VALU_DEP_2) | instskip(NEXT) | instid1(VALU_DEP_2)
	v_cmp_eq_u64_e64 s13, 0, v[8:9]
	v_and_or_b32 v2, v8, 3, v2
	s_and_b32 s13, s14, s13
	s_delay_alu instid0(VALU_DEP_1) | instid1(SALU_CYCLE_1)
	v_cndmask_b32_e64 v2, v2, 0, s13
	s_delay_alu instid0(VALU_DEP_1)
	v_or_b32_e32 v12, v2, v90
.LBB2_4799:                             ;   in Loop: Header=BB2_4287 Depth=3
	s_or_b32 exec_lo, exec_lo, s74
                                        ; implicit-def: $vgpr90
.LBB2_4800:                             ;   in Loop: Header=BB2_4287 Depth=3
	s_and_not1_saveexec_b32 s13, s73
; %bb.4801:                             ;   in Loop: Header=BB2_4287 Depth=3
	v_or_b32_e32 v12, 0x7b, v90
; %bb.4802:                             ;   in Loop: Header=BB2_4287 Depth=3
	s_or_b32 exec_lo, exec_lo, s13
                                        ; implicit-def: $vgpr8
                                        ; implicit-def: $vgpr9
.LBB2_4803:                             ;   in Loop: Header=BB2_4287 Depth=3
	s_and_not1_saveexec_b32 s14, s72
	s_cbranch_execz .LBB2_4809
; %bb.4804:                             ;   in Loop: Header=BB2_4287 Depth=3
	v_cmp_ne_u64_e64 s13, 0, v[2:3]
                                        ; implicit-def: $vgpr12
	s_and_saveexec_b32 s72, s13
	s_delay_alu instid0(SALU_CYCLE_1)
	s_xor_b32 s13, exec_lo, s72
; %bb.4805:                             ;   in Loop: Header=BB2_4287 Depth=3
	v_or_b32_e32 v12, 0x7f, v9
                                        ; implicit-def: $vgpr8
; %bb.4806:                             ;   in Loop: Header=BB2_4287 Depth=3
	s_and_not1_saveexec_b32 s72, s13
; %bb.4807:                             ;   in Loop: Header=BB2_4287 Depth=3
	v_cmp_lt_i32_e64 s13, -1, v8
	s_delay_alu instid0(VALU_DEP_1)
	v_cndmask_b32_e64 v12, 0xfc, v110, s13
; %bb.4808:                             ;   in Loop: Header=BB2_4287 Depth=3
	s_or_b32 exec_lo, exec_lo, s72
.LBB2_4809:                             ;   in Loop: Header=BB2_4287 Depth=3
	s_delay_alu instid0(SALU_CYCLE_1)
	s_or_b32 exec_lo, exec_lo, s14
	v_mov_b32_e32 v8, 0
	s_mov_b32 s14, exec_lo
	v_cmpx_lt_u64_e64 s[22:23], v[14:15]
	s_cbranch_execz .LBB2_4819
; %bb.4810:                             ;   in Loop: Header=BB2_4287 Depth=3
	v_lshrrev_b32_e32 v2, 24, v15
	v_bfrev_b32_e32 v8, 1
	s_mov_b32 s72, exec_lo
	s_delay_alu instid0(VALU_DEP_2)
	v_cmpx_ne_u32_e32 0x80, v2
	s_cbranch_execz .LBB2_4818
; %bb.4811:                             ;   in Loop: Header=BB2_4287 Depth=3
	v_and_b32_e32 v8, 0x7c000000, v15
	v_bfe_u32 v9, v15, 24, 2
	s_delay_alu instid0(VALU_DEP_2) | instskip(SKIP_1) | instid1(SALU_CYCLE_1)
	v_cmp_ne_u32_e64 s13, 0x7c000000, v8
                                        ; implicit-def: $vgpr8
	s_and_saveexec_b32 s73, s13
	s_xor_b32 s73, exec_lo, s73
	s_cbranch_execz .LBB2_4815
; %bb.4812:                             ;   in Loop: Header=BB2_4287 Depth=3
	v_bfe_u32 v8, v15, 26, 5
	s_mov_b32 s74, exec_lo
	s_delay_alu instid0(VALU_DEP_1)
	v_cmpx_eq_u32_e32 0, v8
; %bb.4813:                             ;   in Loop: Header=BB2_4287 Depth=3
	v_clz_i32_u32_e32 v8, v9
	s_delay_alu instid0(VALU_DEP_1) | instskip(NEXT) | instid1(VALU_DEP_1)
	v_min_u32_e32 v8, 32, v8
	v_subrev_nc_u32_e32 v9, 29, v8
	s_delay_alu instid0(VALU_DEP_1) | instskip(NEXT) | instid1(VALU_DEP_1)
	v_lshlrev_b64_e32 v[90:91], v9, v[2:3]
	v_dual_sub_nc_u32 v8, 30, v8 :: v_dual_bitop2_b32 v9, 3, v90 bitop3:0x40
; %bb.4814:                             ;   in Loop: Header=BB2_4287 Depth=3
	s_or_b32 exec_lo, exec_lo, s74
	v_and_b32_e32 v2, 0x80000000, v15
                                        ; implicit-def: $vgpr14_vgpr15
	s_delay_alu instid0(VALU_DEP_1) | instskip(NEXT) | instid1(VALU_DEP_1)
	v_lshl_add_u32 v2, v8, 23, v2
	v_lshl_or_b32 v2, v9, 21, v2
                                        ; implicit-def: $vgpr9
	s_delay_alu instid0(VALU_DEP_1)
	v_add_nc_u32_e32 v8, 0x38000000, v2
.LBB2_4815:                             ;   in Loop: Header=BB2_4287 Depth=3
	s_and_not1_saveexec_b32 s73, s73
; %bb.4816:                             ;   in Loop: Header=BB2_4287 Depth=3
	v_cmp_lt_i64_e64 s13, -1, v[14:15]
	s_delay_alu instid0(VALU_DEP_1) | instskip(SKIP_1) | instid1(VALU_DEP_1)
	v_cndmask_b32_e64 v2, 0xff800000, v109, s13
	v_cmp_eq_u32_e64 s13, 0, v9
	v_cndmask_b32_e64 v8, 0x7f800001, v2, s13
; %bb.4817:                             ;   in Loop: Header=BB2_4287 Depth=3
	s_or_b32 exec_lo, exec_lo, s73
.LBB2_4818:                             ;   in Loop: Header=BB2_4287 Depth=3
	s_delay_alu instid0(SALU_CYCLE_1)
	s_or_b32 exec_lo, exec_lo, s72
.LBB2_4819:                             ;   in Loop: Header=BB2_4287 Depth=3
	s_delay_alu instid0(SALU_CYCLE_1) | instskip(SKIP_2) | instid1(VALU_DEP_2)
	s_or_b32 exec_lo, exec_lo, s14
	v_bfe_u32 v9, v11, 24, 2
	v_bfe_u32 v20, v11, 26, 5
	v_clz_i32_u32_e32 v2, v9
	s_delay_alu instid0(VALU_DEP_2) | instskip(NEXT) | instid1(VALU_DEP_2)
	v_cmp_eq_u32_e64 s13, 0, v20
	v_min_u32_e32 v13, 32, v2
	v_lshrrev_b32_e32 v2, 24, v11
	s_delay_alu instid0(VALU_DEP_2) | instskip(SKIP_1) | instid1(VALU_DEP_2)
	v_subrev_nc_u32_e32 v14, 29, v13
	v_sub_nc_u32_e32 v13, 30, v13
	v_lshlrev_b64_e32 v[14:15], v14, v[2:3]
	s_delay_alu instid0(VALU_DEP_2) | instskip(SKIP_1) | instid1(VALU_DEP_3)
	v_cndmask_b32_e64 v13, v20, v13, s13
	v_and_b32_e32 v15, 0x80000000, v11
	v_and_b32_e32 v14, 3, v14
	s_delay_alu instid0(VALU_DEP_2) | instskip(NEXT) | instid1(VALU_DEP_2)
	v_lshl_add_u32 v13, v13, 23, v15
	v_cndmask_b32_e64 v14, v9, v14, s13
	v_cmp_lt_i64_e64 s13, -1, v[10:11]
	s_delay_alu instid0(VALU_DEP_2) | instskip(SKIP_1) | instid1(VALU_DEP_3)
	v_lshl_or_b32 v13, v14, 21, v13
	v_and_b32_e32 v14, 0x7c000000, v11
	v_cndmask_b32_e64 v15, 0xff800000, v109, s13
	v_cmp_eq_u32_e64 s13, 0, v9
	s_delay_alu instid0(VALU_DEP_4) | instskip(NEXT) | instid1(VALU_DEP_2)
	v_add_nc_u32_e32 v13, 0x38000000, v13
	v_cndmask_b32_e64 v9, 0x7f800001, v15, s13
	v_cmp_eq_u32_e64 s13, 0x7c000000, v14
	s_delay_alu instid0(VALU_DEP_1) | instskip(SKIP_1) | instid1(VALU_DEP_1)
	v_cndmask_b32_e64 v9, v13, v9, s13
	v_cmp_ne_u32_e64 s13, 0x80, v2
	v_cndmask_b32_e64 v2, 0x80000000, v9, s13
	v_cmp_lt_u64_e64 s13, s[22:23], v[10:11]
	s_delay_alu instid0(VALU_DEP_1) | instskip(NEXT) | instid1(VALU_DEP_1)
	v_cndmask_b32_e64 v2, 0, v2, s13
	v_dual_mul_f32 v9, v2, v8 :: v_dual_mov_b32 v11, v3
                                        ; implicit-def: $vgpr8
	s_delay_alu instid0(VALU_DEP_1) | instskip(SKIP_1) | instid1(VALU_DEP_2)
	v_and_b32_e32 v10, 0x7f800000, v9
	v_and_b32_e32 v2, 0x7fffff, v9
	v_cmp_ne_u64_e64 s13, 0x7f800000, v[10:11]
	v_lshrrev_b32_e32 v10, 24, v9
	s_and_saveexec_b32 s14, s13
	s_delay_alu instid0(SALU_CYCLE_1)
	s_xor_b32 s72, exec_lo, s14
	s_cbranch_execz .LBB2_4833
; %bb.4820:                             ;   in Loop: Header=BB2_4287 Depth=3
	v_and_b32_e32 v14, 0x7fffffff, v9
	v_mov_b32_e32 v15, v3
	v_and_b32_e32 v13, 0x80, v10
                                        ; implicit-def: $vgpr8
	s_mov_b32 s14, exec_lo
	s_delay_alu instid0(VALU_DEP_2)
	v_cmpx_gt_u64_e32 0x47600001, v[14:15]
	s_xor_b32 s73, exec_lo, s14
	s_cbranch_execz .LBB2_4830
; %bb.4821:                             ;   in Loop: Header=BB2_4287 Depth=3
	v_mov_b32_e32 v8, 0
	s_mov_b32 s74, exec_lo
	v_cmpx_ne_u32_e32 0, v9
	s_cbranch_execz .LBB2_4829
; %bb.4822:                             ;   in Loop: Header=BB2_4287 Depth=3
	v_bfe_u32 v14, v9, 23, 8
	v_or_b32_e32 v10, 0x800000, v2
	s_delay_alu instid0(VALU_DEP_2) | instskip(SKIP_1) | instid1(VALU_DEP_1)
	v_sub_nc_u32_e32 v8, 0x71, v14
	v_cmp_gt_u32_e64 s13, 0x72, v14
	v_cndmask_b32_e64 v8, 0, v8, s13
	v_cmp_eq_u32_e64 s13, 0, v14
	s_delay_alu instid0(VALU_DEP_1) | instskip(NEXT) | instid1(VALU_DEP_1)
	v_cndmask_b32_e64 v15, v8, 0x70, s13
	v_dual_cndmask_b32 v2, v10, v2, s13 :: v_dual_add_nc_u32 v8, 21, v15
	v_add_nc_u32_e32 v11, 20, v15
	s_delay_alu instid0(VALU_DEP_2) | instskip(NEXT) | instid1(VALU_DEP_2)
	v_lshlrev_b64_e64 v[8:9], v8, -1
	v_lshlrev_b64_e64 v[10:11], v11, 1
	s_delay_alu instid0(VALU_DEP_2) | instskip(NEXT) | instid1(VALU_DEP_3)
	v_bfi_b32 v91, v9, 0, 0
	v_bfi_b32 v90, v8, 0, v2
	v_lshrrev_b64 v[8:9], v15, v[2:3]
	s_delay_alu instid0(VALU_DEP_2) | instskip(NEXT) | instid1(VALU_DEP_2)
	v_cmp_eq_u64_e64 s14, v[90:91], v[10:11]
	v_mov_b64_e32 v[10:11], v[8:9]
	s_and_saveexec_b32 s75, s14
; %bb.4823:                             ;   in Loop: Header=BB2_4287 Depth=3
	v_bfe_u32 v2, v8, 21, 1
	s_delay_alu instid0(VALU_DEP_1) | instskip(NEXT) | instid1(VALU_DEP_1)
	v_add_nc_u64_e32 v[10:11], v[8:9], v[2:3]
	v_add_nc_u64_e32 v[10:11], -1, v[10:11]
; %bb.4824:                             ;   in Loop: Header=BB2_4287 Depth=3
	s_or_b32 exec_lo, exec_lo, s75
	v_add_nc_u32_e32 v2, 0xffffff81, v14
	v_lshrrev_b32_e32 v9, 23, v8
	s_mov_b32 s14, exec_lo
	s_delay_alu instid0(VALU_DEP_2) | instskip(NEXT) | instid1(VALU_DEP_1)
	v_cndmask_b32_e64 v2, v2, 0xffffff82, s13
	v_add3_u32 v11, v15, v2, v9
	v_and_b32_e32 v2, 0x1fffff, v10
                                        ; implicit-def: $vgpr10
	s_delay_alu instid0(VALU_DEP_1) | instskip(NEXT) | instid1(VALU_DEP_1)
	v_dual_add_nc_u32 v14, 14, v11 :: v_dual_add_nc_u32 v2, v2, v8
                                        ; implicit-def: $vgpr8_vgpr9
	v_cmpx_ne_u32_e32 0, v14
	s_xor_b32 s14, exec_lo, s14
; %bb.4825:                             ;   in Loop: Header=BB2_4287 Depth=3
	s_delay_alu instid0(VALU_DEP_2) | instskip(SKIP_1) | instid1(VALU_DEP_1)
	v_cmp_lt_u64_e64 s13, 0xffffff, v[2:3]
	v_add_nc_u32_e32 v8, 15, v11
	v_cndmask_b32_e64 v10, v14, v8, s13
	v_cndmask_b32_e64 v8, 0, 1, s13
	s_delay_alu instid0(VALU_DEP_1)
	v_lshrrev_b64 v[8:9], v8, v[2:3]
; %bb.4826:                             ;   in Loop: Header=BB2_4287 Depth=3
	s_and_not1_saveexec_b32 s13, s14
; %bb.4827:                             ;   in Loop: Header=BB2_4287 Depth=3
	v_mov_b64_e32 v[8:9], v[2:3]
	v_bfe_u32 v10, v2, 23, 1
; %bb.4828:                             ;   in Loop: Header=BB2_4287 Depth=3
	s_or_b32 exec_lo, exec_lo, s13
	s_delay_alu instid0(VALU_DEP_2) | instskip(NEXT) | instid1(VALU_DEP_2)
	v_lshrrev_b64 v[8:9], 21, v[8:9]
	v_cmp_gt_i32_e64 s13, 32, v10
	v_min_i32_e32 v2, 31, v10
	v_cmp_eq_u32_e64 s14, 0, v10
	s_delay_alu instid0(VALU_DEP_2) | instskip(SKIP_1) | instid1(VALU_DEP_2)
	v_dual_cndmask_b32 v9, 0, v9, s13 :: v_dual_lshlrev_b32 v2, 2, v2
	v_cndmask_b32_e64 v8, 3, v8, s13
	v_and_b32_e32 v2, 0xfc, v2
	s_delay_alu instid0(VALU_DEP_2) | instskip(NEXT) | instid1(VALU_DEP_2)
	v_cmp_eq_u64_e64 s13, 0, v[8:9]
	v_and_or_b32 v2, v8, 3, v2
	s_and_b32 s13, s14, s13
	s_delay_alu instid0(VALU_DEP_1) | instid1(SALU_CYCLE_1)
	v_cndmask_b32_e64 v2, v2, 0, s13
	s_delay_alu instid0(VALU_DEP_1)
	v_or_b32_e32 v8, v2, v13
.LBB2_4829:                             ;   in Loop: Header=BB2_4287 Depth=3
	s_or_b32 exec_lo, exec_lo, s74
                                        ; implicit-def: $vgpr13
.LBB2_4830:                             ;   in Loop: Header=BB2_4287 Depth=3
	s_and_not1_saveexec_b32 s13, s73
; %bb.4831:                             ;   in Loop: Header=BB2_4287 Depth=3
	v_or_b32_e32 v8, 0x7b, v13
; %bb.4832:                             ;   in Loop: Header=BB2_4287 Depth=3
	s_or_b32 exec_lo, exec_lo, s13
                                        ; implicit-def: $vgpr9
                                        ; implicit-def: $vgpr10
.LBB2_4833:                             ;   in Loop: Header=BB2_4287 Depth=3
	s_and_not1_saveexec_b32 s14, s72
	s_cbranch_execz .LBB2_4286
; %bb.4834:                             ;   in Loop: Header=BB2_4287 Depth=3
	v_cmp_ne_u64_e64 s13, 0, v[2:3]
                                        ; implicit-def: $vgpr8
	s_and_saveexec_b32 s72, s13
	s_delay_alu instid0(SALU_CYCLE_1)
	s_xor_b32 s13, exec_lo, s72
; %bb.4835:                             ;   in Loop: Header=BB2_4287 Depth=3
	v_or_b32_e32 v8, 0x7f, v10
                                        ; implicit-def: $vgpr9
; %bb.4836:                             ;   in Loop: Header=BB2_4287 Depth=3
	s_and_not1_saveexec_b32 s72, s13
	s_cbranch_execz .LBB2_4285
; %bb.4837:                             ;   in Loop: Header=BB2_4287 Depth=3
	v_cmp_lt_i32_e64 s13, -1, v9
	s_delay_alu instid0(VALU_DEP_1)
	v_cndmask_b32_e64 v8, 0xfc, v110, s13
	s_branch .LBB2_4285
.LBB2_4838:                             ;   in Loop: Header=BB2_4287 Depth=3
	s_or_saveexec_b32 s14, s14
	v_bfrev_b32_e32 v18, 1
	s_xor_b32 exec_lo, exec_lo, s14
	s_cbranch_execz .LBB2_4301
.LBB2_4839:                             ;   in Loop: Header=BB2_4287 Depth=3
	v_cmp_ne_u16_e64 s13, 0, v19
	v_mov_b32_e32 v18, 0
	s_and_not1_b32 s72, s72, exec_lo
	s_and_b32 s13, s13, exec_lo
	s_delay_alu instid0(SALU_CYCLE_1)
	s_or_b32 s72, s72, s13
	s_or_b32 exec_lo, exec_lo, s14
	s_and_saveexec_b32 s14, s72
	s_cbranch_execnz .LBB2_4302
	s_branch .LBB2_4303
.LBB2_4840:                             ;   in Loop: Header=BB2_4287 Depth=3
	s_or_saveexec_b32 s14, s14
	v_bfrev_b32_e32 v19, 1
	s_xor_b32 exec_lo, exec_lo, s14
	s_cbranch_execz .LBB2_4337
.LBB2_4841:                             ;   in Loop: Header=BB2_4287 Depth=3
	v_cmp_ne_u16_e64 s13, 0, v2
	v_mov_b32_e32 v19, 0
	s_and_not1_b32 s72, s72, exec_lo
	s_and_b32 s13, s13, exec_lo
	s_delay_alu instid0(SALU_CYCLE_1)
	s_or_b32 s72, s72, s13
	s_or_b32 exec_lo, exec_lo, s14
	s_and_saveexec_b32 s14, s72
	s_cbranch_execnz .LBB2_4338
	s_branch .LBB2_4339
.LBB2_4842:                             ;   in Loop: Header=BB2_4287 Depth=3
	s_or_saveexec_b32 s14, s14
	v_bfrev_b32_e32 v19, 1
	s_xor_b32 exec_lo, exec_lo, s14
	s_cbranch_execz .LBB2_4373
.LBB2_4843:                             ;   in Loop: Header=BB2_4287 Depth=3
	v_cmp_ne_u16_e64 s13, 0, v56
	v_mov_b32_e32 v19, 0
	s_and_not1_b32 s72, s72, exec_lo
	s_and_b32 s13, s13, exec_lo
	s_delay_alu instid0(SALU_CYCLE_1)
	s_or_b32 s72, s72, s13
	s_or_b32 exec_lo, exec_lo, s14
	s_and_saveexec_b32 s14, s72
	s_cbranch_execnz .LBB2_4374
	s_branch .LBB2_4375
.LBB2_4844:                             ;   in Loop: Header=BB2_4287 Depth=3
	s_or_saveexec_b32 s14, s14
	v_bfrev_b32_e32 v19, 1
	s_xor_b32 exec_lo, exec_lo, s14
	s_cbranch_execz .LBB2_4439
.LBB2_4845:                             ;   in Loop: Header=BB2_4287 Depth=3
	v_cmp_ne_u16_e64 s13, 0, v57
	v_mov_b32_e32 v19, 0
	s_and_not1_b32 s72, s72, exec_lo
	s_and_b32 s13, s13, exec_lo
	s_delay_alu instid0(SALU_CYCLE_1)
	s_or_b32 s72, s72, s13
	s_or_b32 exec_lo, exec_lo, s14
	v_mov_b32_e32 v57, v3
	s_and_saveexec_b32 s14, s72
	s_cbranch_execnz .LBB2_4440
	s_branch .LBB2_4441
.LBB2_4846:                             ;   in Loop: Header=BB2_4287 Depth=3
	s_or_saveexec_b32 s14, s14
	v_bfrev_b32_e32 v19, 1
	s_xor_b32 exec_lo, exec_lo, s14
	s_cbranch_execz .LBB2_4475
.LBB2_4847:                             ;   in Loop: Header=BB2_4287 Depth=3
	v_cmp_ne_u16_e64 s13, 0, v2
	v_mov_b32_e32 v19, 0
	s_and_not1_b32 s72, s72, exec_lo
	s_and_b32 s13, s13, exec_lo
	s_delay_alu instid0(SALU_CYCLE_1)
	s_or_b32 s72, s72, s13
	s_or_b32 exec_lo, exec_lo, s14
	s_and_saveexec_b32 s14, s72
	s_cbranch_execnz .LBB2_4476
	s_branch .LBB2_4477
.LBB2_4848:                             ;   in Loop: Header=BB2_4287 Depth=3
	s_or_saveexec_b32 s14, s14
	v_bfrev_b32_e32 v19, 1
	s_xor_b32 exec_lo, exec_lo, s14
	s_cbranch_execz .LBB2_4511
.LBB2_4849:                             ;   in Loop: Header=BB2_4287 Depth=3
	v_cmp_ne_u16_e64 s13, 0, v56
	v_mov_b32_e32 v19, 0
	s_and_not1_b32 s72, s72, exec_lo
	s_and_b32 s13, s13, exec_lo
	s_delay_alu instid0(SALU_CYCLE_1)
	s_or_b32 s72, s72, s13
	s_or_b32 exec_lo, exec_lo, s14
	s_and_saveexec_b32 s14, s72
	s_cbranch_execnz .LBB2_4512
	s_branch .LBB2_4513
.LBB2_4850:                             ;   in Loop: Header=BB2_4287 Depth=3
	s_or_saveexec_b32 s14, s14
	v_bfrev_b32_e32 v8, 1
	s_xor_b32 exec_lo, exec_lo, s14
	s_cbranch_execz .LBB2_4577
.LBB2_4851:                             ;   in Loop: Header=BB2_4287 Depth=3
	v_cmp_ne_u16_e64 s13, 0, v9
	v_mov_b32_e32 v8, 0
	s_and_not1_b32 s72, s72, exec_lo
	s_and_b32 s13, s13, exec_lo
	s_delay_alu instid0(SALU_CYCLE_1)
	s_or_b32 s72, s72, s13
	s_or_b32 exec_lo, exec_lo, s14
	s_and_saveexec_b32 s14, s72
	s_cbranch_execnz .LBB2_4578
	s_branch .LBB2_4579
.LBB2_4852:                             ;   in Loop: Header=BB2_4287 Depth=3
	s_or_saveexec_b32 s14, s14
	v_bfrev_b32_e32 v9, 1
	s_xor_b32 exec_lo, exec_lo, s14
	s_cbranch_execz .LBB2_4613
.LBB2_4853:                             ;   in Loop: Header=BB2_4287 Depth=3
	v_cmp_ne_u16_e64 s13, 0, v2
	v_mov_b32_e32 v9, 0
	s_and_not1_b32 s72, s72, exec_lo
	s_and_b32 s13, s13, exec_lo
	s_delay_alu instid0(SALU_CYCLE_1)
	s_or_b32 s72, s72, s13
	s_or_b32 exec_lo, exec_lo, s14
	s_and_saveexec_b32 s14, s72
	s_cbranch_execnz .LBB2_4614
	s_branch .LBB2_4615
.LBB2_4854:                             ;   in Loop: Header=BB2_4287 Depth=3
	s_or_saveexec_b32 s14, s14
	v_bfrev_b32_e32 v9, 1
	s_xor_b32 exec_lo, exec_lo, s14
	s_cbranch_execz .LBB2_4649
.LBB2_4855:                             ;   in Loop: Header=BB2_4287 Depth=3
	v_cmp_ne_u16_e64 s13, 0, v12
	v_mov_b32_e32 v9, 0
	s_and_not1_b32 s72, s72, exec_lo
	s_and_b32 s13, s13, exec_lo
	s_delay_alu instid0(SALU_CYCLE_1)
	s_or_b32 s72, s72, s13
	s_or_b32 exec_lo, exec_lo, s14
	s_and_saveexec_b32 s14, s72
	s_cbranch_execnz .LBB2_4650
	s_branch .LBB2_4651
.LBB2_4856:                             ;   in Loop: Header=BB2_4287 Depth=3
	s_or_saveexec_b32 s14, s14
	v_bfrev_b32_e32 v13, 1
	s_xor_b32 exec_lo, exec_lo, s14
	s_cbranch_execz .LBB2_4715
.LBB2_4857:                             ;   in Loop: Header=BB2_4287 Depth=3
	v_cmp_ne_u16_e64 s13, 0, v9
	v_mov_b32_e32 v13, 0
	s_and_not1_b32 s72, s72, exec_lo
	s_and_b32 s13, s13, exec_lo
	s_delay_alu instid0(SALU_CYCLE_1)
	s_or_b32 s72, s72, s13
	s_or_b32 exec_lo, exec_lo, s14
	v_mov_b32_e32 v9, v3
	s_and_saveexec_b32 s14, s72
	s_cbranch_execnz .LBB2_4716
	s_branch .LBB2_4717
.LBB2_4858:                             ;   in Loop: Header=BB2_4287 Depth=3
	s_or_saveexec_b32 s14, s14
	v_bfrev_b32_e32 v12, 1
	s_xor_b32 exec_lo, exec_lo, s14
	s_cbranch_execz .LBB2_4751
.LBB2_4859:                             ;   in Loop: Header=BB2_4287 Depth=3
	v_cmp_ne_u16_e64 s13, 0, v2
	v_mov_b32_e32 v12, 0
	s_and_not1_b32 s72, s72, exec_lo
	s_and_b32 s13, s13, exec_lo
	s_delay_alu instid0(SALU_CYCLE_1)
	s_or_b32 s72, s72, s13
	s_or_b32 exec_lo, exec_lo, s14
	s_and_saveexec_b32 s14, s72
	s_cbranch_execnz .LBB2_4752
	s_branch .LBB2_4753
.LBB2_4860:                             ;   in Loop: Header=BB2_4287 Depth=3
	s_or_saveexec_b32 s14, s14
	v_bfrev_b32_e32 v9, 1
	s_xor_b32 exec_lo, exec_lo, s14
	s_cbranch_execz .LBB2_4787
.LBB2_4861:                             ;   in Loop: Header=BB2_4287 Depth=3
	v_cmp_ne_u16_e64 s13, 0, v12
	v_mov_b32_e32 v9, 0
	s_and_not1_b32 s72, s72, exec_lo
	s_and_b32 s13, s13, exec_lo
	s_delay_alu instid0(SALU_CYCLE_1)
	s_or_b32 s72, s72, s13
	s_or_b32 exec_lo, exec_lo, s14
	s_and_saveexec_b32 s14, s72
	s_cbranch_execnz .LBB2_4788
	s_branch .LBB2_4789
.LBB2_4862:                             ;   in Loop: Header=BB2_2043 Depth=2
	s_or_b32 exec_lo, exec_lo, s43
.LBB2_4863:                             ;   in Loop: Header=BB2_2043 Depth=2
	s_delay_alu instid0(SALU_CYCLE_1) | instskip(SKIP_3) | instid1(VALU_DEP_1)
	s_or_b32 exec_lo, exec_lo, s42
	v_dual_mov_b32 v92, 0 :: v_dual_bitop2_b32 v8, 15, v115 bitop3:0x40
	s_mov_b32 s14, 0
	s_mov_b32 s42, exec_lo
                                        ; implicit-def: $vgpr94
                                        ; implicit-def: $vgpr2
	v_cndmask_b32_e32 v93, v63, v8, vcc_lo
	s_delay_alu instid0(VALU_DEP_1)
	v_cmpx_ne_u32_e32 0, v93
	s_cbranch_execz .LBB2_4865
; %bb.4864:                             ;   in Loop: Header=BB2_2043 Depth=2
	v_cmp_lt_i32_e64 s13, 0, v74
	s_mov_b32 s14, exec_lo
	v_sub_nc_u32_e32 v8, v63, v8
	v_cndmask_b32_e64 v2, 0, v36, s13
	s_delay_alu instid0(VALU_DEP_1) | instskip(NEXT) | instid1(VALU_DEP_1)
	v_dual_cndmask_b32 v8, 0, v8, vcc_lo :: v_dual_sub_nc_u32 v2, v2, v74
	v_add3_u32 v92, v72, v62, v8
	s_delay_alu instid0(VALU_DEP_2) | instskip(NEXT) | instid1(VALU_DEP_1)
	v_lshl_add_u32 v94, v2, 5, v73
	v_ashrrev_i32_e32 v2, 31, v94
	s_delay_alu instid0(VALU_DEP_1) | instskip(NEXT) | instid1(VALU_DEP_1)
	v_lshrrev_b32_e32 v2, 27, v2
	v_add_nc_u32_e32 v2, v94, v2
	s_delay_alu instid0(VALU_DEP_1)
	v_ashrrev_i32_e32 v2, 5, v2
.LBB2_4865:                             ;   in Loop: Header=BB2_2043 Depth=2
	s_or_b32 exec_lo, exec_lo, s42
	s_delay_alu instid0(SALU_CYCLE_1)
	s_and_b32 s42, s14, exec_lo
.LBB2_4866:                             ;   in Loop: Header=BB2_2043 Depth=2
	s_or_b32 exec_lo, exec_lo, s15
	s_and_saveexec_b32 s14, s42
	s_cbranch_execz .LBB2_5271
.LBB2_4867:                             ;   in Loop: Header=BB2_2043 Depth=2
	v_ashrrev_i32_e32 v8, 31, v93
	s_mov_b32 s15, exec_lo
	s_delay_alu instid0(VALU_DEP_1) | instskip(NEXT) | instid1(VALU_DEP_1)
	v_lshrrev_b32_e32 v8, 24, v8
	v_add_nc_u32_e32 v8, v93, v8
	s_delay_alu instid0(VALU_DEP_1) | instskip(NEXT) | instid1(VALU_DEP_1)
	v_dual_ashrrev_i32 v115, 8, v8 :: v_dual_ashrrev_i32 v8, 31, v94
	v_dual_sub_nc_u32 v18, v115, v2 :: v_dual_lshrrev_b32 v19, 27, v8
	s_delay_alu instid0(VALU_DEP_1)
	v_cmpx_lt_i32_e32 0, v18
	s_cbranch_execz .LBB2_5223
; %bb.4868:                             ;   in Loop: Header=BB2_2043 Depth=2
	s_delay_alu instid0(VALU_DEP_2)
	v_dual_add_nc_u32 v8, v94, v19 :: v_dual_lshlrev_b32 v2, 8, v2
	s_trap 2
	ds_load_b64 v[10:11], v0
	v_add_nc_u64_e32 v[14:15], 0xe0, v[40:41]
	v_and_b32_e32 v8, 0xffffffe0, v8
	s_mov_b32 s42, 0
	s_delay_alu instid0(VALU_DEP_1) | instskip(NEXT) | instid1(VALU_DEP_1)
	v_sub_nc_u32_e32 v8, v94, v8
	v_add3_u32 v12, v92, v8, v2
	s_delay_alu instid0(VALU_DEP_1) | instskip(NEXT) | instid1(VALU_DEP_1)
	v_ashrrev_i32_e32 v13, 31, v12
	v_add_nc_u64_e32 v[8:9], v[12:13], v[118:119]
	s_wait_dscnt 0x0
	v_add_nc_u64_e32 v[10:11], v[10:11], v[12:13]
	v_add_nc_u64_e32 v[12:13], v[14:15], v[12:13]
	s_branch .LBB2_4871
.LBB2_4869:                             ;   in Loop: Header=BB2_4871 Depth=3
	s_or_b32 exec_lo, exec_lo, s43
.LBB2_4870:                             ;   in Loop: Header=BB2_4871 Depth=3
	s_delay_alu instid0(SALU_CYCLE_1)
	s_or_b32 exec_lo, exec_lo, s13
	v_sub_nc_u32_e32 v18, v18, v36
	s_clause 0x7
	flat_store_b8 v[12:13], v89 offset:-224 th:TH_STORE_NT
	flat_store_b8 v[12:13], v77 offset:-192 th:TH_STORE_NT
	;; [unrolled: 1-line block ×7, first 2 shown]
	flat_store_b8 v[12:13], v15 th:TH_STORE_NT
	v_add_nc_u64_e32 v[8:9], v[8:9], v[68:69]
	v_add_nc_u64_e32 v[10:11], v[10:11], v[68:69]
	s_wait_xcnt 0x0
	v_add_nc_u64_e32 v[12:13], v[12:13], v[68:69]
	v_cmp_gt_i32_e32 vcc_lo, 1, v18
	s_or_b32 s42, vcc_lo, s42
	s_delay_alu instid0(SALU_CYCLE_1)
	s_and_not1_b32 exec_lo, exec_lo, s42
	s_cbranch_execz .LBB2_5222
.LBB2_4871:                             ;   Parent Loop BB2_47 Depth=1
                                        ;     Parent Loop BB2_2043 Depth=2
                                        ; =>    This Inner Loop Header: Depth=3
	s_clause 0x7
	flat_load_i8 v2, v[8:9] th:TH_LOAD_NT
	flat_load_i8 v78, v[8:9] offset:32 th:TH_LOAD_NT
	flat_load_i8 v74, v[8:9] offset:64 th:TH_LOAD_NT
	flat_load_i8 v62, v[8:9] offset:96 th:TH_LOAD_NT
	flat_load_i8 v58, v[8:9] offset:128 th:TH_LOAD_NT
	flat_load_i8 v46, v[8:9] offset:160 th:TH_LOAD_NT
	flat_load_i8 v42, v[8:9] offset:192 th:TH_LOAD_NT
	flat_load_i8 v118, v[8:9] offset:224 th:TH_LOAD_NT
	s_clause 0x7
	flat_load_i8 v88, v[10:11] th:TH_LOAD_NT
	flat_load_i8 v76, v[10:11] offset:32 th:TH_LOAD_NT
	flat_load_i8 v72, v[10:11] offset:64 th:TH_LOAD_NT
	;; [unrolled: 1-line block ×7, first 2 shown]
	v_dual_mov_b32 v15, 0 :: v_dual_mov_b32 v119, 0
	s_mov_b32 s13, exec_lo
	s_wait_loadcnt_dscnt 0xf0f
	s_wait_xcnt 0x0
	v_cmpx_ne_u16_e32 0, v2
	s_cbranch_execz .LBB2_4881
; %bb.4872:                             ;   in Loop: Header=BB2_4871 Depth=3
	v_bfrev_b32_e32 v119, 1
	s_mov_b32 s43, exec_lo
	v_cmpx_ne_u16_e32 0xff80, v2
	s_cbranch_execz .LBB2_4880
; %bb.4873:                             ;   in Loop: Header=BB2_4871 Depth=3
	v_and_b32_e32 v20, 0x7c, v2
	v_and_b32_e32 v41, 3, v2
	s_mov_b32 s72, exec_lo
                                        ; implicit-def: $vgpr119
	s_delay_alu instid0(VALU_DEP_2)
	v_cmpx_ne_u32_e32 0x7c, v20
	s_xor_b32 s72, exec_lo, s72
	s_cbranch_execz .LBB2_4877
; %bb.4874:                             ;   in Loop: Header=BB2_4871 Depth=3
	v_and_b32_e32 v20, 0xff, v2
	s_mov_b32 s73, exec_lo
	s_delay_alu instid0(VALU_DEP_1) | instskip(NEXT) | instid1(VALU_DEP_1)
	v_bfe_u32 v119, v20, 2, 5
	v_cmpx_eq_u32_e32 0, v119
; %bb.4875:                             ;   in Loop: Header=BB2_4871 Depth=3
	v_clz_i32_u32_e32 v20, v41
	s_delay_alu instid0(VALU_DEP_1) | instskip(NEXT) | instid1(VALU_DEP_1)
	v_min_u32_e32 v20, 32, v20
	v_subrev_nc_u32_e32 v21, 29, v20
	s_delay_alu instid0(VALU_DEP_1) | instskip(NEXT) | instid1(VALU_DEP_1)
	v_lshlrev_b64_e32 v[90:91], v21, v[2:3]
	v_dual_sub_nc_u32 v119, 30, v20 :: v_dual_bitop2_b32 v41, 3, v90 bitop3:0x40
; %bb.4876:                             ;   in Loop: Header=BB2_4871 Depth=3
	s_or_b32 exec_lo, exec_lo, s73
	v_bfe_i32 v2, v2, 0, 16
	s_delay_alu instid0(VALU_DEP_1) | instskip(NEXT) | instid1(VALU_DEP_1)
	v_and_b32_e32 v2, 0x80000000, v2
	v_lshl_add_u32 v2, v119, 23, v2
	s_delay_alu instid0(VALU_DEP_1) | instskip(NEXT) | instid1(VALU_DEP_1)
	v_lshl_or_b32 v2, v41, 21, v2
                                        ; implicit-def: $vgpr41
	v_add_nc_u32_e32 v119, 0x38000000, v2
.LBB2_4877:                             ;   in Loop: Header=BB2_4871 Depth=3
	s_and_not1_saveexec_b32 s72, s72
; %bb.4878:                             ;   in Loop: Header=BB2_4871 Depth=3
	v_cmp_lt_i16_e32 vcc_lo, -1, v2
	v_cndmask_b32_e32 v2, 0xff800000, v109, vcc_lo
	v_cmp_eq_u32_e32 vcc_lo, 0, v41
	s_delay_alu instid0(VALU_DEP_2)
	v_cndmask_b32_e32 v119, 0x7f800001, v2, vcc_lo
; %bb.4879:                             ;   in Loop: Header=BB2_4871 Depth=3
	s_or_b32 exec_lo, exec_lo, s72
.LBB2_4880:                             ;   in Loop: Header=BB2_4871 Depth=3
	s_delay_alu instid0(SALU_CYCLE_1)
	s_or_b32 exec_lo, exec_lo, s43
.LBB2_4881:                             ;   in Loop: Header=BB2_4871 Depth=3
	s_delay_alu instid0(SALU_CYCLE_1) | instskip(NEXT) | instid1(SALU_CYCLE_1)
	s_or_b32 exec_lo, exec_lo, s13
	s_mov_b32 s13, exec_lo
	s_wait_loadcnt_dscnt 0x707
	v_cmpx_ne_u16_e32 0, v88
	s_cbranch_execz .LBB2_4891
; %bb.4882:                             ;   in Loop: Header=BB2_4871 Depth=3
	v_bfrev_b32_e32 v15, 1
	s_mov_b32 s43, exec_lo
	v_cmpx_ne_u16_e32 0xff80, v88
	s_cbranch_execz .LBB2_4890
; %bb.4883:                             ;   in Loop: Header=BB2_4871 Depth=3
	v_and_b32_e32 v15, 0x7c, v88
	v_and_b32_e32 v2, 3, v88
	s_delay_alu instid0(VALU_DEP_2) | instskip(SKIP_1) | instid1(SALU_CYCLE_1)
	v_cmp_ne_u32_e32 vcc_lo, 0x7c, v15
                                        ; implicit-def: $vgpr15
	s_and_saveexec_b32 s72, vcc_lo
	s_xor_b32 s72, exec_lo, s72
	s_cbranch_execz .LBB2_4887
; %bb.4884:                             ;   in Loop: Header=BB2_4871 Depth=3
	v_and_b32_e32 v15, 0xff, v88
	s_mov_b32 s73, exec_lo
	s_delay_alu instid0(VALU_DEP_1) | instskip(NEXT) | instid1(VALU_DEP_1)
	v_bfe_u32 v15, v15, 2, 5
	v_cmpx_eq_u32_e32 0, v15
	s_cbranch_execz .LBB2_4886
; %bb.4885:                             ;   in Loop: Header=BB2_4871 Depth=3
	v_clz_i32_u32_e32 v2, v2
	s_delay_alu instid0(VALU_DEP_1) | instskip(SKIP_1) | instid1(VALU_DEP_2)
	v_min_u32_e32 v2, 32, v2
	v_mov_b32_e32 v89, v3
	v_subrev_nc_u32_e32 v15, 29, v2
	s_delay_alu instid0(VALU_DEP_1) | instskip(SKIP_1) | instid1(VALU_DEP_2)
	v_lshlrev_b64_e32 v[90:91], v15, v[88:89]
	v_sub_nc_u32_e32 v15, 30, v2
	v_and_b32_e32 v2, 3, v90
.LBB2_4886:                             ;   in Loop: Header=BB2_4871 Depth=3
	s_or_b32 exec_lo, exec_lo, s73
	v_bfe_i32 v20, v88, 0, 16
                                        ; implicit-def: $vgpr88
	s_delay_alu instid0(VALU_DEP_1) | instskip(NEXT) | instid1(VALU_DEP_1)
	v_and_b32_e32 v20, 0x80000000, v20
	v_lshl_add_u32 v15, v15, 23, v20
	s_delay_alu instid0(VALU_DEP_1) | instskip(NEXT) | instid1(VALU_DEP_1)
	v_lshl_or_b32 v2, v2, 21, v15
	v_add_nc_u32_e32 v15, 0x38000000, v2
                                        ; implicit-def: $vgpr2
.LBB2_4887:                             ;   in Loop: Header=BB2_4871 Depth=3
	s_and_not1_saveexec_b32 s72, s72
; %bb.4888:                             ;   in Loop: Header=BB2_4871 Depth=3
	v_cmp_lt_i16_e32 vcc_lo, -1, v88
	v_cndmask_b32_e32 v15, 0xff800000, v109, vcc_lo
	v_cmp_eq_u32_e32 vcc_lo, 0, v2
	s_delay_alu instid0(VALU_DEP_2)
	v_cndmask_b32_e32 v15, 0x7f800001, v15, vcc_lo
; %bb.4889:                             ;   in Loop: Header=BB2_4871 Depth=3
	s_or_b32 exec_lo, exec_lo, s72
.LBB2_4890:                             ;   in Loop: Header=BB2_4871 Depth=3
	s_delay_alu instid0(SALU_CYCLE_1)
	s_or_b32 exec_lo, exec_lo, s43
.LBB2_4891:                             ;   in Loop: Header=BB2_4871 Depth=3
	s_delay_alu instid0(SALU_CYCLE_1) | instskip(NEXT) | instid1(VALU_DEP_1)
	s_or_b32 exec_lo, exec_lo, s13
	v_mul_f32_e32 v119, v119, v15
	v_mov_b32_e32 v89, v3
	s_delay_alu instid0(VALU_DEP_2) | instskip(SKIP_1) | instid1(VALU_DEP_2)
	v_and_b32_e32 v88, 0x7f800000, v119
	v_and_b32_e32 v2, 0x7fffff, v119
	v_cmp_ne_u64_e32 vcc_lo, 0x7f800000, v[88:89]
                                        ; implicit-def: $vgpr89
	s_and_saveexec_b32 s13, vcc_lo
	s_delay_alu instid0(SALU_CYCLE_1)
	s_xor_b32 s43, exec_lo, s13
	s_cbranch_execz .LBB2_4909
; %bb.4892:                             ;   in Loop: Header=BB2_4871 Depth=3
	v_and_b32_e32 v88, 0x7fffffff, v119
	v_dual_mov_b32 v89, v3 :: v_dual_lshrrev_b32 v15, 24, v119
	s_delay_alu instid0(VALU_DEP_1) | instskip(NEXT) | instid1(VALU_DEP_2)
	v_cmp_gt_u64_e32 vcc_lo, 0x47600001, v[88:89]
	v_and_b32_e32 v15, 0x80, v15
                                        ; implicit-def: $vgpr89
	s_and_saveexec_b32 s13, vcc_lo
	s_delay_alu instid0(SALU_CYCLE_1)
	s_xor_b32 s72, exec_lo, s13
	s_cbranch_execz .LBB2_4906
; %bb.4893:                             ;   in Loop: Header=BB2_4871 Depth=3
	v_mov_b32_e32 v89, 0
	s_mov_b32 s73, exec_lo
	v_cmpx_ne_u32_e32 0, v119
	s_cbranch_execz .LBB2_4905
; %bb.4894:                             ;   in Loop: Header=BB2_4871 Depth=3
	v_bfe_u32 v119, v119, 23, 8
	v_or_b32_e32 v21, 0x800000, v2
	s_delay_alu instid0(VALU_DEP_2) | instskip(SKIP_1) | instid1(VALU_DEP_2)
	v_sub_nc_u32_e32 v20, 0x71, v119
	v_cmp_gt_u32_e32 vcc_lo, 0x72, v119
	v_cndmask_b32_e32 v20, 0, v20, vcc_lo
	v_cmp_eq_u32_e32 vcc_lo, 0, v119
	v_cndmask_b32_e32 v2, v21, v2, vcc_lo
	s_delay_alu instid0(VALU_DEP_3) | instskip(NEXT) | instid1(VALU_DEP_1)
	v_cndmask_b32_e64 v41, v20, 0x70, vcc_lo
	v_add_nc_u32_e32 v20, 21, v41
	s_delay_alu instid0(VALU_DEP_1) | instskip(SKIP_1) | instid1(VALU_DEP_1)
	v_lshlrev_b64_e64 v[88:89], v20, -1
	v_add_nc_u32_e32 v20, 20, v41
	v_lshlrev_b64_e64 v[90:91], v20, 1
	s_delay_alu instid0(VALU_DEP_3) | instskip(NEXT) | instid1(VALU_DEP_4)
	v_bfi_b32 v105, v89, 0, 0
	v_bfi_b32 v104, v88, 0, v2
	v_lshrrev_b64 v[88:89], v41, v[2:3]
	s_delay_alu instid0(VALU_DEP_2) | instskip(NEXT) | instid1(VALU_DEP_2)
	v_cmp_eq_u64_e64 s13, v[104:105], v[90:91]
	v_mov_b64_e32 v[90:91], v[88:89]
	s_and_saveexec_b32 s74, s13
; %bb.4895:                             ;   in Loop: Header=BB2_4871 Depth=3
	v_bfe_u32 v2, v88, 21, 1
	s_delay_alu instid0(VALU_DEP_1) | instskip(NEXT) | instid1(VALU_DEP_1)
	v_add_nc_u64_e32 v[90:91], v[88:89], v[2:3]
	v_add_nc_u64_e32 v[90:91], -1, v[90:91]
; %bb.4896:                             ;   in Loop: Header=BB2_4871 Depth=3
	s_or_b32 exec_lo, exec_lo, s74
	v_add_nc_u32_e32 v2, 0xffffff81, v119
	v_lshrrev_b32_e32 v20, 23, v88
	s_mov_b32 s13, exec_lo
                                        ; implicit-def: $vgpr119
	s_delay_alu instid0(VALU_DEP_2) | instskip(NEXT) | instid1(VALU_DEP_1)
	v_cndmask_b32_e64 v2, v2, 0xffffff82, vcc_lo
	v_add3_u32 v41, v41, v2, v20
	v_and_b32_e32 v2, 0x1fffff, v90
	s_delay_alu instid0(VALU_DEP_1) | instskip(NEXT) | instid1(VALU_DEP_1)
	v_dual_add_nc_u32 v43, 14, v41 :: v_dual_add_nc_u32 v2, v2, v88
                                        ; implicit-def: $vgpr88_vgpr89
	v_cmpx_ne_u32_e32 0, v43
	s_xor_b32 s13, exec_lo, s13
; %bb.4897:                             ;   in Loop: Header=BB2_4871 Depth=3
	s_delay_alu instid0(VALU_DEP_2) | instskip(SKIP_1) | instid1(VALU_DEP_1)
	v_cmp_lt_u64_e32 vcc_lo, 0xffffff, v[2:3]
	v_add_nc_u32_e32 v20, 15, v41
	v_cndmask_b32_e32 v119, v43, v20, vcc_lo
	v_cndmask_b32_e64 v20, 0, 1, vcc_lo
	s_delay_alu instid0(VALU_DEP_1)
	v_lshrrev_b64 v[88:89], v20, v[2:3]
; %bb.4898:                             ;   in Loop: Header=BB2_4871 Depth=3
	s_and_not1_saveexec_b32 s13, s13
; %bb.4899:                             ;   in Loop: Header=BB2_4871 Depth=3
	v_mov_b64_e32 v[88:89], v[2:3]
	v_bfe_u32 v119, v2, 23, 1
; %bb.4900:                             ;   in Loop: Header=BB2_4871 Depth=3
	s_or_b32 exec_lo, exec_lo, s13
	s_delay_alu instid0(VALU_DEP_2) | instskip(NEXT) | instid1(VALU_DEP_2)
	v_lshrrev_b64 v[88:89], 21, v[88:89]
	v_cmp_gt_i32_e32 vcc_lo, 32, v119
	v_cmp_ne_u32_e64 s13, 0, v119
	s_delay_alu instid0(VALU_DEP_3) | instskip(NEXT) | instid1(VALU_DEP_1)
	v_dual_cndmask_b32 v89, 0, v89 :: v_dual_cndmask_b32 v88, 3, v88
	v_cmp_ne_u64_e32 vcc_lo, 0, v[88:89]
                                        ; implicit-def: $vgpr89
	s_or_b32 s13, s13, vcc_lo
	s_delay_alu instid0(SALU_CYCLE_1) | instskip(NEXT) | instid1(SALU_CYCLE_1)
	s_and_saveexec_b32 s74, s13
	s_xor_b32 s13, exec_lo, s74
; %bb.4901:                             ;   in Loop: Header=BB2_4871 Depth=3
	v_min_i32_e32 v2, 31, v119
	s_delay_alu instid0(VALU_DEP_1) | instskip(NEXT) | instid1(VALU_DEP_1)
	v_lshl_or_b32 v2, v2, 2, v15
                                        ; implicit-def: $vgpr15
	v_and_or_b32 v89, v88, 3, v2
; %bb.4902:                             ;   in Loop: Header=BB2_4871 Depth=3
	s_and_not1_saveexec_b32 s13, s13
; %bb.4903:                             ;   in Loop: Header=BB2_4871 Depth=3
	v_mov_b32_e32 v89, v15
; %bb.4904:                             ;   in Loop: Header=BB2_4871 Depth=3
	s_or_b32 exec_lo, exec_lo, s13
.LBB2_4905:                             ;   in Loop: Header=BB2_4871 Depth=3
	s_delay_alu instid0(SALU_CYCLE_1)
	s_or_b32 exec_lo, exec_lo, s73
                                        ; implicit-def: $vgpr15
.LBB2_4906:                             ;   in Loop: Header=BB2_4871 Depth=3
	s_and_not1_saveexec_b32 s13, s72
; %bb.4907:                             ;   in Loop: Header=BB2_4871 Depth=3
	v_or_b32_e32 v89, 0x7b, v15
; %bb.4908:                             ;   in Loop: Header=BB2_4871 Depth=3
	s_or_b32 exec_lo, exec_lo, s13
                                        ; implicit-def: $vgpr119
.LBB2_4909:                             ;   in Loop: Header=BB2_4871 Depth=3
	s_and_not1_saveexec_b32 s13, s43
	s_cbranch_execz .LBB2_4915
; %bb.4910:                             ;   in Loop: Header=BB2_4871 Depth=3
	s_mov_b32 s43, exec_lo
                                        ; implicit-def: $vgpr89
	v_cmpx_ne_u64_e32 0, v[2:3]
	s_xor_b32 s43, exec_lo, s43
; %bb.4911:                             ;   in Loop: Header=BB2_4871 Depth=3
	v_lshrrev_b32_e32 v2, 24, v119
                                        ; implicit-def: $vgpr119
	s_delay_alu instid0(VALU_DEP_1)
	v_or_b32_e32 v89, 0x7f, v2
; %bb.4912:                             ;   in Loop: Header=BB2_4871 Depth=3
	s_and_not1_saveexec_b32 s43, s43
; %bb.4913:                             ;   in Loop: Header=BB2_4871 Depth=3
	v_cmp_lt_i32_e32 vcc_lo, -1, v119
	v_cndmask_b32_e64 v89, -4, 0x7c, vcc_lo
; %bb.4914:                             ;   in Loop: Header=BB2_4871 Depth=3
	s_or_b32 exec_lo, exec_lo, s43
.LBB2_4915:                             ;   in Loop: Header=BB2_4871 Depth=3
	s_delay_alu instid0(SALU_CYCLE_1)
	s_or_b32 exec_lo, exec_lo, s13
	v_dual_mov_b32 v2, 0 :: v_dual_mov_b32 v15, 0
	s_mov_b32 s13, exec_lo
	v_cmpx_ne_u16_e32 0, v78
	s_cbranch_execz .LBB2_4925
; %bb.4916:                             ;   in Loop: Header=BB2_4871 Depth=3
	v_bfrev_b32_e32 v15, 1
	s_mov_b32 s43, exec_lo
	v_cmpx_ne_u16_e32 0xff80, v78
	s_cbranch_execz .LBB2_4924
; %bb.4917:                             ;   in Loop: Header=BB2_4871 Depth=3
	v_and_b32_e32 v15, 0x7c, v78
	v_and_b32_e32 v119, 3, v78
	s_delay_alu instid0(VALU_DEP_2) | instskip(SKIP_1) | instid1(SALU_CYCLE_1)
	v_cmp_ne_u32_e32 vcc_lo, 0x7c, v15
                                        ; implicit-def: $vgpr15
	s_and_saveexec_b32 s72, vcc_lo
	s_xor_b32 s72, exec_lo, s72
	s_cbranch_execz .LBB2_4921
; %bb.4918:                             ;   in Loop: Header=BB2_4871 Depth=3
	v_and_b32_e32 v15, 0xff, v78
	s_mov_b32 s73, exec_lo
	s_delay_alu instid0(VALU_DEP_1) | instskip(NEXT) | instid1(VALU_DEP_1)
	v_bfe_u32 v15, v15, 2, 5
	v_cmpx_eq_u32_e32 0, v15
	s_cbranch_execz .LBB2_4920
; %bb.4919:                             ;   in Loop: Header=BB2_4871 Depth=3
	v_clz_i32_u32_e32 v15, v119
	s_delay_alu instid0(VALU_DEP_1) | instskip(SKIP_1) | instid1(VALU_DEP_2)
	v_min_u32_e32 v15, 32, v15
	v_mov_b32_e32 v79, v3
	v_subrev_nc_u32_e32 v20, 29, v15
	v_sub_nc_u32_e32 v15, 30, v15
	s_delay_alu instid0(VALU_DEP_2) | instskip(NEXT) | instid1(VALU_DEP_1)
	v_lshlrev_b64_e32 v[90:91], v20, v[78:79]
	v_and_b32_e32 v119, 3, v90
.LBB2_4920:                             ;   in Loop: Header=BB2_4871 Depth=3
	s_or_b32 exec_lo, exec_lo, s73
	v_bfe_i32 v20, v78, 0, 16
                                        ; implicit-def: $vgpr78
	s_delay_alu instid0(VALU_DEP_1) | instskip(NEXT) | instid1(VALU_DEP_1)
	v_and_b32_e32 v20, 0x80000000, v20
	v_lshl_add_u32 v15, v15, 23, v20
	s_delay_alu instid0(VALU_DEP_1) | instskip(NEXT) | instid1(VALU_DEP_1)
	v_lshl_or_b32 v15, v119, 21, v15
                                        ; implicit-def: $vgpr119
	v_add_nc_u32_e32 v15, 0x38000000, v15
.LBB2_4921:                             ;   in Loop: Header=BB2_4871 Depth=3
	s_and_not1_saveexec_b32 s72, s72
; %bb.4922:                             ;   in Loop: Header=BB2_4871 Depth=3
	v_cmp_lt_i16_e32 vcc_lo, -1, v78
	v_cndmask_b32_e32 v15, 0xff800000, v109, vcc_lo
	v_cmp_eq_u32_e32 vcc_lo, 0, v119
	s_delay_alu instid0(VALU_DEP_2)
	v_cndmask_b32_e32 v15, 0x7f800001, v15, vcc_lo
; %bb.4923:                             ;   in Loop: Header=BB2_4871 Depth=3
	s_or_b32 exec_lo, exec_lo, s72
.LBB2_4924:                             ;   in Loop: Header=BB2_4871 Depth=3
	s_delay_alu instid0(SALU_CYCLE_1)
	s_or_b32 exec_lo, exec_lo, s43
.LBB2_4925:                             ;   in Loop: Header=BB2_4871 Depth=3
	s_delay_alu instid0(SALU_CYCLE_1) | instskip(NEXT) | instid1(SALU_CYCLE_1)
	s_or_b32 exec_lo, exec_lo, s13
	s_mov_b32 s13, exec_lo
	s_wait_loadcnt_dscnt 0x606
	v_cmpx_ne_u16_e32 0, v76
	s_cbranch_execz .LBB2_4935
; %bb.4926:                             ;   in Loop: Header=BB2_4871 Depth=3
	v_bfrev_b32_e32 v2, 1
	s_mov_b32 s43, exec_lo
	v_cmpx_ne_u16_e32 0xff80, v76
	s_cbranch_execz .LBB2_4934
; %bb.4927:                             ;   in Loop: Header=BB2_4871 Depth=3
	v_and_b32_e32 v2, 0x7c, v76
	v_and_b32_e32 v119, 3, v76
	s_delay_alu instid0(VALU_DEP_2) | instskip(SKIP_1) | instid1(SALU_CYCLE_1)
	v_cmp_ne_u32_e32 vcc_lo, 0x7c, v2
                                        ; implicit-def: $vgpr2
	s_and_saveexec_b32 s72, vcc_lo
	s_xor_b32 s72, exec_lo, s72
	s_cbranch_execz .LBB2_4931
; %bb.4928:                             ;   in Loop: Header=BB2_4871 Depth=3
	v_and_b32_e32 v2, 0xff, v76
	s_mov_b32 s73, exec_lo
	s_delay_alu instid0(VALU_DEP_1) | instskip(NEXT) | instid1(VALU_DEP_1)
	v_bfe_u32 v2, v2, 2, 5
	v_cmpx_eq_u32_e32 0, v2
	s_cbranch_execz .LBB2_4930
; %bb.4929:                             ;   in Loop: Header=BB2_4871 Depth=3
	v_clz_i32_u32_e32 v2, v119
	s_delay_alu instid0(VALU_DEP_1) | instskip(SKIP_1) | instid1(VALU_DEP_2)
	v_min_u32_e32 v2, 32, v2
	v_mov_b32_e32 v77, v3
	v_subrev_nc_u32_e32 v20, 29, v2
	v_sub_nc_u32_e32 v2, 30, v2
	s_delay_alu instid0(VALU_DEP_2) | instskip(NEXT) | instid1(VALU_DEP_1)
	v_lshlrev_b64_e32 v[78:79], v20, v[76:77]
	v_and_b32_e32 v119, 3, v78
.LBB2_4930:                             ;   in Loop: Header=BB2_4871 Depth=3
	s_or_b32 exec_lo, exec_lo, s73
	v_bfe_i32 v20, v76, 0, 16
                                        ; implicit-def: $vgpr76
	s_delay_alu instid0(VALU_DEP_1) | instskip(NEXT) | instid1(VALU_DEP_1)
	v_and_b32_e32 v20, 0x80000000, v20
	v_lshl_add_u32 v2, v2, 23, v20
	s_delay_alu instid0(VALU_DEP_1) | instskip(NEXT) | instid1(VALU_DEP_1)
	v_lshl_or_b32 v2, v119, 21, v2
                                        ; implicit-def: $vgpr119
	v_add_nc_u32_e32 v2, 0x38000000, v2
.LBB2_4931:                             ;   in Loop: Header=BB2_4871 Depth=3
	s_and_not1_saveexec_b32 s72, s72
; %bb.4932:                             ;   in Loop: Header=BB2_4871 Depth=3
	v_cmp_lt_i16_e32 vcc_lo, -1, v76
	v_cndmask_b32_e32 v2, 0xff800000, v109, vcc_lo
	v_cmp_eq_u32_e32 vcc_lo, 0, v119
	s_delay_alu instid0(VALU_DEP_2)
	v_cndmask_b32_e32 v2, 0x7f800001, v2, vcc_lo
; %bb.4933:                             ;   in Loop: Header=BB2_4871 Depth=3
	s_or_b32 exec_lo, exec_lo, s72
.LBB2_4934:                             ;   in Loop: Header=BB2_4871 Depth=3
	s_delay_alu instid0(SALU_CYCLE_1)
	s_or_b32 exec_lo, exec_lo, s43
.LBB2_4935:                             ;   in Loop: Header=BB2_4871 Depth=3
	s_delay_alu instid0(SALU_CYCLE_1) | instskip(NEXT) | instid1(VALU_DEP_1)
	s_or_b32 exec_lo, exec_lo, s13
	v_mul_f32_e32 v119, v15, v2
	v_mov_b32_e32 v77, v3
	s_delay_alu instid0(VALU_DEP_2) | instskip(SKIP_1) | instid1(VALU_DEP_2)
	v_and_b32_e32 v76, 0x7f800000, v119
	v_and_b32_e32 v2, 0x7fffff, v119
	v_cmp_ne_u64_e32 vcc_lo, 0x7f800000, v[76:77]
                                        ; implicit-def: $vgpr77
	s_and_saveexec_b32 s13, vcc_lo
	s_delay_alu instid0(SALU_CYCLE_1)
	s_xor_b32 s43, exec_lo, s13
	s_cbranch_execz .LBB2_4953
; %bb.4936:                             ;   in Loop: Header=BB2_4871 Depth=3
	v_and_b32_e32 v76, 0x7fffffff, v119
	v_dual_mov_b32 v77, v3 :: v_dual_lshrrev_b32 v15, 24, v119
	s_delay_alu instid0(VALU_DEP_1) | instskip(NEXT) | instid1(VALU_DEP_2)
	v_cmp_gt_u64_e32 vcc_lo, 0x47600001, v[76:77]
	v_and_b32_e32 v15, 0x80, v15
                                        ; implicit-def: $vgpr77
	s_and_saveexec_b32 s13, vcc_lo
	s_delay_alu instid0(SALU_CYCLE_1)
	s_xor_b32 s72, exec_lo, s13
	s_cbranch_execz .LBB2_4950
; %bb.4937:                             ;   in Loop: Header=BB2_4871 Depth=3
	v_mov_b32_e32 v77, 0
	s_mov_b32 s73, exec_lo
	v_cmpx_ne_u32_e32 0, v119
	s_cbranch_execz .LBB2_4949
; %bb.4938:                             ;   in Loop: Header=BB2_4871 Depth=3
	v_bfe_u32 v119, v119, 23, 8
	v_or_b32_e32 v21, 0x800000, v2
	s_delay_alu instid0(VALU_DEP_2) | instskip(SKIP_1) | instid1(VALU_DEP_2)
	v_sub_nc_u32_e32 v20, 0x71, v119
	v_cmp_gt_u32_e32 vcc_lo, 0x72, v119
	v_cndmask_b32_e32 v20, 0, v20, vcc_lo
	v_cmp_eq_u32_e32 vcc_lo, 0, v119
	v_cndmask_b32_e32 v2, v21, v2, vcc_lo
	s_delay_alu instid0(VALU_DEP_3) | instskip(NEXT) | instid1(VALU_DEP_1)
	v_cndmask_b32_e64 v41, v20, 0x70, vcc_lo
	v_add_nc_u32_e32 v20, 21, v41
	s_delay_alu instid0(VALU_DEP_1) | instskip(SKIP_1) | instid1(VALU_DEP_1)
	v_lshlrev_b64_e64 v[76:77], v20, -1
	v_add_nc_u32_e32 v20, 20, v41
	v_lshlrev_b64_e64 v[78:79], v20, 1
	s_delay_alu instid0(VALU_DEP_3) | instskip(NEXT) | instid1(VALU_DEP_4)
	v_bfi_b32 v91, v77, 0, 0
	v_bfi_b32 v90, v76, 0, v2
	v_lshrrev_b64 v[76:77], v41, v[2:3]
	s_delay_alu instid0(VALU_DEP_2) | instskip(NEXT) | instid1(VALU_DEP_2)
	v_cmp_eq_u64_e64 s13, v[90:91], v[78:79]
	v_mov_b64_e32 v[78:79], v[76:77]
	s_and_saveexec_b32 s74, s13
; %bb.4939:                             ;   in Loop: Header=BB2_4871 Depth=3
	v_bfe_u32 v2, v76, 21, 1
	s_delay_alu instid0(VALU_DEP_1) | instskip(NEXT) | instid1(VALU_DEP_1)
	v_add_nc_u64_e32 v[78:79], v[76:77], v[2:3]
	v_add_nc_u64_e32 v[78:79], -1, v[78:79]
; %bb.4940:                             ;   in Loop: Header=BB2_4871 Depth=3
	s_or_b32 exec_lo, exec_lo, s74
	v_add_nc_u32_e32 v2, 0xffffff81, v119
	v_lshrrev_b32_e32 v20, 23, v76
	s_mov_b32 s13, exec_lo
                                        ; implicit-def: $vgpr119
	s_delay_alu instid0(VALU_DEP_2) | instskip(NEXT) | instid1(VALU_DEP_1)
	v_cndmask_b32_e64 v2, v2, 0xffffff82, vcc_lo
	v_add3_u32 v41, v41, v2, v20
	v_and_b32_e32 v2, 0x1fffff, v78
	s_delay_alu instid0(VALU_DEP_1) | instskip(NEXT) | instid1(VALU_DEP_1)
	v_dual_add_nc_u32 v43, 14, v41 :: v_dual_add_nc_u32 v2, v2, v76
                                        ; implicit-def: $vgpr76_vgpr77
	v_cmpx_ne_u32_e32 0, v43
	s_xor_b32 s13, exec_lo, s13
; %bb.4941:                             ;   in Loop: Header=BB2_4871 Depth=3
	s_delay_alu instid0(VALU_DEP_2) | instskip(SKIP_1) | instid1(VALU_DEP_1)
	v_cmp_lt_u64_e32 vcc_lo, 0xffffff, v[2:3]
	v_add_nc_u32_e32 v20, 15, v41
	v_cndmask_b32_e32 v119, v43, v20, vcc_lo
	v_cndmask_b32_e64 v20, 0, 1, vcc_lo
	s_delay_alu instid0(VALU_DEP_1)
	v_lshrrev_b64 v[76:77], v20, v[2:3]
; %bb.4942:                             ;   in Loop: Header=BB2_4871 Depth=3
	s_and_not1_saveexec_b32 s13, s13
; %bb.4943:                             ;   in Loop: Header=BB2_4871 Depth=3
	v_mov_b64_e32 v[76:77], v[2:3]
	v_bfe_u32 v119, v2, 23, 1
; %bb.4944:                             ;   in Loop: Header=BB2_4871 Depth=3
	s_or_b32 exec_lo, exec_lo, s13
	s_delay_alu instid0(VALU_DEP_2) | instskip(NEXT) | instid1(VALU_DEP_2)
	v_lshrrev_b64 v[76:77], 21, v[76:77]
	v_cmp_gt_i32_e32 vcc_lo, 32, v119
	v_cmp_ne_u32_e64 s13, 0, v119
	s_delay_alu instid0(VALU_DEP_3) | instskip(NEXT) | instid1(VALU_DEP_1)
	v_dual_cndmask_b32 v77, 0, v77 :: v_dual_cndmask_b32 v76, 3, v76
	v_cmp_ne_u64_e32 vcc_lo, 0, v[76:77]
                                        ; implicit-def: $vgpr77
	s_or_b32 s13, s13, vcc_lo
	s_delay_alu instid0(SALU_CYCLE_1) | instskip(NEXT) | instid1(SALU_CYCLE_1)
	s_and_saveexec_b32 s74, s13
	s_xor_b32 s13, exec_lo, s74
; %bb.4945:                             ;   in Loop: Header=BB2_4871 Depth=3
	v_min_i32_e32 v2, 31, v119
	s_delay_alu instid0(VALU_DEP_1) | instskip(NEXT) | instid1(VALU_DEP_1)
	v_lshl_or_b32 v2, v2, 2, v15
                                        ; implicit-def: $vgpr15
	v_and_or_b32 v77, v76, 3, v2
; %bb.4946:                             ;   in Loop: Header=BB2_4871 Depth=3
	s_and_not1_saveexec_b32 s13, s13
; %bb.4947:                             ;   in Loop: Header=BB2_4871 Depth=3
	v_mov_b32_e32 v77, v15
; %bb.4948:                             ;   in Loop: Header=BB2_4871 Depth=3
	s_or_b32 exec_lo, exec_lo, s13
.LBB2_4949:                             ;   in Loop: Header=BB2_4871 Depth=3
	s_delay_alu instid0(SALU_CYCLE_1)
	s_or_b32 exec_lo, exec_lo, s73
                                        ; implicit-def: $vgpr15
.LBB2_4950:                             ;   in Loop: Header=BB2_4871 Depth=3
	s_and_not1_saveexec_b32 s13, s72
; %bb.4951:                             ;   in Loop: Header=BB2_4871 Depth=3
	v_or_b32_e32 v77, 0x7b, v15
; %bb.4952:                             ;   in Loop: Header=BB2_4871 Depth=3
	s_or_b32 exec_lo, exec_lo, s13
                                        ; implicit-def: $vgpr119
.LBB2_4953:                             ;   in Loop: Header=BB2_4871 Depth=3
	s_and_not1_saveexec_b32 s13, s43
	s_cbranch_execz .LBB2_4959
; %bb.4954:                             ;   in Loop: Header=BB2_4871 Depth=3
	s_mov_b32 s43, exec_lo
                                        ; implicit-def: $vgpr77
	v_cmpx_ne_u64_e32 0, v[2:3]
	s_xor_b32 s43, exec_lo, s43
; %bb.4955:                             ;   in Loop: Header=BB2_4871 Depth=3
	v_lshrrev_b32_e32 v2, 24, v119
                                        ; implicit-def: $vgpr119
	s_delay_alu instid0(VALU_DEP_1)
	v_or_b32_e32 v77, 0x7f, v2
; %bb.4956:                             ;   in Loop: Header=BB2_4871 Depth=3
	s_and_not1_saveexec_b32 s43, s43
; %bb.4957:                             ;   in Loop: Header=BB2_4871 Depth=3
	v_cmp_lt_i32_e32 vcc_lo, -1, v119
	v_cndmask_b32_e64 v77, -4, 0x7c, vcc_lo
; %bb.4958:                             ;   in Loop: Header=BB2_4871 Depth=3
	s_or_b32 exec_lo, exec_lo, s43
.LBB2_4959:                             ;   in Loop: Header=BB2_4871 Depth=3
	s_delay_alu instid0(SALU_CYCLE_1)
	s_or_b32 exec_lo, exec_lo, s13
	v_dual_mov_b32 v2, 0 :: v_dual_mov_b32 v15, 0
	s_mov_b32 s13, exec_lo
	v_cmpx_ne_u16_e32 0, v74
	s_cbranch_execz .LBB2_4969
; %bb.4960:                             ;   in Loop: Header=BB2_4871 Depth=3
	v_bfrev_b32_e32 v15, 1
	s_mov_b32 s43, exec_lo
	v_cmpx_ne_u16_e32 0xff80, v74
	s_cbranch_execz .LBB2_4968
; %bb.4961:                             ;   in Loop: Header=BB2_4871 Depth=3
	v_and_b32_e32 v15, 0x7c, v74
	v_and_b32_e32 v119, 3, v74
	s_delay_alu instid0(VALU_DEP_2) | instskip(SKIP_1) | instid1(SALU_CYCLE_1)
	v_cmp_ne_u32_e32 vcc_lo, 0x7c, v15
                                        ; implicit-def: $vgpr15
	s_and_saveexec_b32 s72, vcc_lo
	s_xor_b32 s72, exec_lo, s72
	s_cbranch_execz .LBB2_4965
; %bb.4962:                             ;   in Loop: Header=BB2_4871 Depth=3
	v_and_b32_e32 v15, 0xff, v74
	s_mov_b32 s73, exec_lo
	s_delay_alu instid0(VALU_DEP_1) | instskip(NEXT) | instid1(VALU_DEP_1)
	v_bfe_u32 v15, v15, 2, 5
	v_cmpx_eq_u32_e32 0, v15
	s_cbranch_execz .LBB2_4964
; %bb.4963:                             ;   in Loop: Header=BB2_4871 Depth=3
	v_clz_i32_u32_e32 v15, v119
	s_delay_alu instid0(VALU_DEP_1) | instskip(SKIP_1) | instid1(VALU_DEP_2)
	v_min_u32_e32 v15, 32, v15
	v_mov_b32_e32 v75, v3
	v_subrev_nc_u32_e32 v20, 29, v15
	v_sub_nc_u32_e32 v15, 30, v15
	s_delay_alu instid0(VALU_DEP_2) | instskip(NEXT) | instid1(VALU_DEP_1)
	v_lshlrev_b64_e32 v[78:79], v20, v[74:75]
	v_and_b32_e32 v119, 3, v78
.LBB2_4964:                             ;   in Loop: Header=BB2_4871 Depth=3
	s_or_b32 exec_lo, exec_lo, s73
	v_bfe_i32 v20, v74, 0, 16
                                        ; implicit-def: $vgpr74
	s_delay_alu instid0(VALU_DEP_1) | instskip(NEXT) | instid1(VALU_DEP_1)
	v_and_b32_e32 v20, 0x80000000, v20
	v_lshl_add_u32 v15, v15, 23, v20
	s_delay_alu instid0(VALU_DEP_1) | instskip(NEXT) | instid1(VALU_DEP_1)
	v_lshl_or_b32 v15, v119, 21, v15
                                        ; implicit-def: $vgpr119
	v_add_nc_u32_e32 v15, 0x38000000, v15
.LBB2_4965:                             ;   in Loop: Header=BB2_4871 Depth=3
	s_and_not1_saveexec_b32 s72, s72
; %bb.4966:                             ;   in Loop: Header=BB2_4871 Depth=3
	v_cmp_lt_i16_e32 vcc_lo, -1, v74
	v_cndmask_b32_e32 v15, 0xff800000, v109, vcc_lo
	v_cmp_eq_u32_e32 vcc_lo, 0, v119
	s_delay_alu instid0(VALU_DEP_2)
	v_cndmask_b32_e32 v15, 0x7f800001, v15, vcc_lo
; %bb.4967:                             ;   in Loop: Header=BB2_4871 Depth=3
	s_or_b32 exec_lo, exec_lo, s72
.LBB2_4968:                             ;   in Loop: Header=BB2_4871 Depth=3
	s_delay_alu instid0(SALU_CYCLE_1)
	s_or_b32 exec_lo, exec_lo, s43
.LBB2_4969:                             ;   in Loop: Header=BB2_4871 Depth=3
	s_delay_alu instid0(SALU_CYCLE_1) | instskip(NEXT) | instid1(SALU_CYCLE_1)
	s_or_b32 exec_lo, exec_lo, s13
	s_mov_b32 s13, exec_lo
	s_wait_loadcnt_dscnt 0x505
	v_cmpx_ne_u16_e32 0, v72
	s_cbranch_execz .LBB2_4979
; %bb.4970:                             ;   in Loop: Header=BB2_4871 Depth=3
	v_bfrev_b32_e32 v2, 1
	s_mov_b32 s43, exec_lo
	v_cmpx_ne_u16_e32 0xff80, v72
	s_cbranch_execz .LBB2_4978
; %bb.4971:                             ;   in Loop: Header=BB2_4871 Depth=3
	v_and_b32_e32 v2, 0x7c, v72
	v_and_b32_e32 v119, 3, v72
	s_delay_alu instid0(VALU_DEP_2) | instskip(SKIP_1) | instid1(SALU_CYCLE_1)
	v_cmp_ne_u32_e32 vcc_lo, 0x7c, v2
                                        ; implicit-def: $vgpr2
	s_and_saveexec_b32 s72, vcc_lo
	s_xor_b32 s72, exec_lo, s72
	s_cbranch_execz .LBB2_4975
; %bb.4972:                             ;   in Loop: Header=BB2_4871 Depth=3
	v_and_b32_e32 v2, 0xff, v72
	s_mov_b32 s73, exec_lo
	s_delay_alu instid0(VALU_DEP_1) | instskip(NEXT) | instid1(VALU_DEP_1)
	v_bfe_u32 v2, v2, 2, 5
	v_cmpx_eq_u32_e32 0, v2
	s_cbranch_execz .LBB2_4974
; %bb.4973:                             ;   in Loop: Header=BB2_4871 Depth=3
	v_clz_i32_u32_e32 v2, v119
	s_delay_alu instid0(VALU_DEP_1) | instskip(SKIP_1) | instid1(VALU_DEP_2)
	v_min_u32_e32 v2, 32, v2
	v_mov_b32_e32 v73, v3
	v_subrev_nc_u32_e32 v20, 29, v2
	v_sub_nc_u32_e32 v2, 30, v2
	s_delay_alu instid0(VALU_DEP_2) | instskip(NEXT) | instid1(VALU_DEP_1)
	v_lshlrev_b64_e32 v[74:75], v20, v[72:73]
	v_and_b32_e32 v119, 3, v74
.LBB2_4974:                             ;   in Loop: Header=BB2_4871 Depth=3
	s_or_b32 exec_lo, exec_lo, s73
	v_bfe_i32 v20, v72, 0, 16
                                        ; implicit-def: $vgpr72
	s_delay_alu instid0(VALU_DEP_1) | instskip(NEXT) | instid1(VALU_DEP_1)
	v_and_b32_e32 v20, 0x80000000, v20
	v_lshl_add_u32 v2, v2, 23, v20
	s_delay_alu instid0(VALU_DEP_1) | instskip(NEXT) | instid1(VALU_DEP_1)
	v_lshl_or_b32 v2, v119, 21, v2
                                        ; implicit-def: $vgpr119
	v_add_nc_u32_e32 v2, 0x38000000, v2
.LBB2_4975:                             ;   in Loop: Header=BB2_4871 Depth=3
	s_and_not1_saveexec_b32 s72, s72
; %bb.4976:                             ;   in Loop: Header=BB2_4871 Depth=3
	v_cmp_lt_i16_e32 vcc_lo, -1, v72
	v_cndmask_b32_e32 v2, 0xff800000, v109, vcc_lo
	v_cmp_eq_u32_e32 vcc_lo, 0, v119
	s_delay_alu instid0(VALU_DEP_2)
	v_cndmask_b32_e32 v2, 0x7f800001, v2, vcc_lo
; %bb.4977:                             ;   in Loop: Header=BB2_4871 Depth=3
	s_or_b32 exec_lo, exec_lo, s72
.LBB2_4978:                             ;   in Loop: Header=BB2_4871 Depth=3
	s_delay_alu instid0(SALU_CYCLE_1)
	s_or_b32 exec_lo, exec_lo, s43
.LBB2_4979:                             ;   in Loop: Header=BB2_4871 Depth=3
	s_delay_alu instid0(SALU_CYCLE_1) | instskip(NEXT) | instid1(VALU_DEP_1)
	s_or_b32 exec_lo, exec_lo, s13
	v_mul_f32_e32 v119, v15, v2
	v_mov_b32_e32 v73, v3
	s_delay_alu instid0(VALU_DEP_2) | instskip(SKIP_1) | instid1(VALU_DEP_2)
	v_and_b32_e32 v72, 0x7f800000, v119
	v_and_b32_e32 v2, 0x7fffff, v119
	v_cmp_ne_u64_e32 vcc_lo, 0x7f800000, v[72:73]
                                        ; implicit-def: $vgpr73
	s_and_saveexec_b32 s13, vcc_lo
	s_delay_alu instid0(SALU_CYCLE_1)
	s_xor_b32 s43, exec_lo, s13
	s_cbranch_execz .LBB2_4997
; %bb.4980:                             ;   in Loop: Header=BB2_4871 Depth=3
	v_and_b32_e32 v72, 0x7fffffff, v119
	v_dual_mov_b32 v73, v3 :: v_dual_lshrrev_b32 v15, 24, v119
	s_delay_alu instid0(VALU_DEP_1) | instskip(NEXT) | instid1(VALU_DEP_2)
	v_cmp_gt_u64_e32 vcc_lo, 0x47600001, v[72:73]
	v_and_b32_e32 v15, 0x80, v15
                                        ; implicit-def: $vgpr73
	s_and_saveexec_b32 s13, vcc_lo
	s_delay_alu instid0(SALU_CYCLE_1)
	s_xor_b32 s72, exec_lo, s13
	s_cbranch_execz .LBB2_4994
; %bb.4981:                             ;   in Loop: Header=BB2_4871 Depth=3
	v_mov_b32_e32 v73, 0
	s_mov_b32 s73, exec_lo
	v_cmpx_ne_u32_e32 0, v119
	s_cbranch_execz .LBB2_4993
; %bb.4982:                             ;   in Loop: Header=BB2_4871 Depth=3
	v_bfe_u32 v119, v119, 23, 8
	v_or_b32_e32 v21, 0x800000, v2
	s_delay_alu instid0(VALU_DEP_2) | instskip(SKIP_1) | instid1(VALU_DEP_2)
	v_sub_nc_u32_e32 v20, 0x71, v119
	v_cmp_gt_u32_e32 vcc_lo, 0x72, v119
	v_cndmask_b32_e32 v20, 0, v20, vcc_lo
	v_cmp_eq_u32_e32 vcc_lo, 0, v119
	v_cndmask_b32_e32 v2, v21, v2, vcc_lo
	s_delay_alu instid0(VALU_DEP_3) | instskip(NEXT) | instid1(VALU_DEP_1)
	v_cndmask_b32_e64 v41, v20, 0x70, vcc_lo
	v_add_nc_u32_e32 v20, 21, v41
	s_delay_alu instid0(VALU_DEP_1) | instskip(SKIP_1) | instid1(VALU_DEP_1)
	v_lshlrev_b64_e64 v[72:73], v20, -1
	v_add_nc_u32_e32 v20, 20, v41
	v_lshlrev_b64_e64 v[74:75], v20, 1
	s_delay_alu instid0(VALU_DEP_3) | instskip(NEXT) | instid1(VALU_DEP_4)
	v_bfi_b32 v79, v73, 0, 0
	v_bfi_b32 v78, v72, 0, v2
	v_lshrrev_b64 v[72:73], v41, v[2:3]
	s_delay_alu instid0(VALU_DEP_2) | instskip(NEXT) | instid1(VALU_DEP_2)
	v_cmp_eq_u64_e64 s13, v[78:79], v[74:75]
	v_mov_b64_e32 v[74:75], v[72:73]
	s_and_saveexec_b32 s74, s13
; %bb.4983:                             ;   in Loop: Header=BB2_4871 Depth=3
	v_bfe_u32 v2, v72, 21, 1
	s_delay_alu instid0(VALU_DEP_1) | instskip(NEXT) | instid1(VALU_DEP_1)
	v_add_nc_u64_e32 v[74:75], v[72:73], v[2:3]
	v_add_nc_u64_e32 v[74:75], -1, v[74:75]
; %bb.4984:                             ;   in Loop: Header=BB2_4871 Depth=3
	s_or_b32 exec_lo, exec_lo, s74
	v_add_nc_u32_e32 v2, 0xffffff81, v119
	v_lshrrev_b32_e32 v20, 23, v72
	s_mov_b32 s13, exec_lo
                                        ; implicit-def: $vgpr119
	s_delay_alu instid0(VALU_DEP_2) | instskip(NEXT) | instid1(VALU_DEP_1)
	v_cndmask_b32_e64 v2, v2, 0xffffff82, vcc_lo
	v_add3_u32 v41, v41, v2, v20
	v_and_b32_e32 v2, 0x1fffff, v74
	s_delay_alu instid0(VALU_DEP_1) | instskip(NEXT) | instid1(VALU_DEP_1)
	v_dual_add_nc_u32 v43, 14, v41 :: v_dual_add_nc_u32 v2, v2, v72
                                        ; implicit-def: $vgpr72_vgpr73
	v_cmpx_ne_u32_e32 0, v43
	s_xor_b32 s13, exec_lo, s13
; %bb.4985:                             ;   in Loop: Header=BB2_4871 Depth=3
	s_delay_alu instid0(VALU_DEP_2) | instskip(SKIP_1) | instid1(VALU_DEP_1)
	v_cmp_lt_u64_e32 vcc_lo, 0xffffff, v[2:3]
	v_add_nc_u32_e32 v20, 15, v41
	v_cndmask_b32_e32 v119, v43, v20, vcc_lo
	v_cndmask_b32_e64 v20, 0, 1, vcc_lo
	s_delay_alu instid0(VALU_DEP_1)
	v_lshrrev_b64 v[72:73], v20, v[2:3]
; %bb.4986:                             ;   in Loop: Header=BB2_4871 Depth=3
	s_and_not1_saveexec_b32 s13, s13
; %bb.4987:                             ;   in Loop: Header=BB2_4871 Depth=3
	v_mov_b64_e32 v[72:73], v[2:3]
	v_bfe_u32 v119, v2, 23, 1
; %bb.4988:                             ;   in Loop: Header=BB2_4871 Depth=3
	s_or_b32 exec_lo, exec_lo, s13
	s_delay_alu instid0(VALU_DEP_2) | instskip(NEXT) | instid1(VALU_DEP_2)
	v_lshrrev_b64 v[72:73], 21, v[72:73]
	v_cmp_gt_i32_e32 vcc_lo, 32, v119
	v_cmp_ne_u32_e64 s13, 0, v119
	s_delay_alu instid0(VALU_DEP_3) | instskip(NEXT) | instid1(VALU_DEP_1)
	v_dual_cndmask_b32 v73, 0, v73 :: v_dual_cndmask_b32 v72, 3, v72
	v_cmp_ne_u64_e32 vcc_lo, 0, v[72:73]
                                        ; implicit-def: $vgpr73
	s_or_b32 s13, s13, vcc_lo
	s_delay_alu instid0(SALU_CYCLE_1) | instskip(NEXT) | instid1(SALU_CYCLE_1)
	s_and_saveexec_b32 s74, s13
	s_xor_b32 s13, exec_lo, s74
; %bb.4989:                             ;   in Loop: Header=BB2_4871 Depth=3
	v_min_i32_e32 v2, 31, v119
	s_delay_alu instid0(VALU_DEP_1) | instskip(NEXT) | instid1(VALU_DEP_1)
	v_lshl_or_b32 v2, v2, 2, v15
                                        ; implicit-def: $vgpr15
	v_and_or_b32 v73, v72, 3, v2
; %bb.4990:                             ;   in Loop: Header=BB2_4871 Depth=3
	s_and_not1_saveexec_b32 s13, s13
; %bb.4991:                             ;   in Loop: Header=BB2_4871 Depth=3
	v_mov_b32_e32 v73, v15
; %bb.4992:                             ;   in Loop: Header=BB2_4871 Depth=3
	s_or_b32 exec_lo, exec_lo, s13
.LBB2_4993:                             ;   in Loop: Header=BB2_4871 Depth=3
	s_delay_alu instid0(SALU_CYCLE_1)
	s_or_b32 exec_lo, exec_lo, s73
                                        ; implicit-def: $vgpr15
.LBB2_4994:                             ;   in Loop: Header=BB2_4871 Depth=3
	s_and_not1_saveexec_b32 s13, s72
; %bb.4995:                             ;   in Loop: Header=BB2_4871 Depth=3
	v_or_b32_e32 v73, 0x7b, v15
; %bb.4996:                             ;   in Loop: Header=BB2_4871 Depth=3
	s_or_b32 exec_lo, exec_lo, s13
                                        ; implicit-def: $vgpr119
.LBB2_4997:                             ;   in Loop: Header=BB2_4871 Depth=3
	s_and_not1_saveexec_b32 s13, s43
	s_cbranch_execz .LBB2_5003
; %bb.4998:                             ;   in Loop: Header=BB2_4871 Depth=3
	s_mov_b32 s43, exec_lo
                                        ; implicit-def: $vgpr73
	v_cmpx_ne_u64_e32 0, v[2:3]
	s_xor_b32 s43, exec_lo, s43
; %bb.4999:                             ;   in Loop: Header=BB2_4871 Depth=3
	v_lshrrev_b32_e32 v2, 24, v119
                                        ; implicit-def: $vgpr119
	s_delay_alu instid0(VALU_DEP_1)
	v_or_b32_e32 v73, 0x7f, v2
; %bb.5000:                             ;   in Loop: Header=BB2_4871 Depth=3
	s_and_not1_saveexec_b32 s43, s43
; %bb.5001:                             ;   in Loop: Header=BB2_4871 Depth=3
	v_cmp_lt_i32_e32 vcc_lo, -1, v119
	v_cndmask_b32_e64 v73, -4, 0x7c, vcc_lo
; %bb.5002:                             ;   in Loop: Header=BB2_4871 Depth=3
	s_or_b32 exec_lo, exec_lo, s43
.LBB2_5003:                             ;   in Loop: Header=BB2_4871 Depth=3
	s_delay_alu instid0(SALU_CYCLE_1)
	s_or_b32 exec_lo, exec_lo, s13
	v_dual_mov_b32 v2, 0 :: v_dual_mov_b32 v15, 0
	s_mov_b32 s13, exec_lo
	v_cmpx_ne_u16_e32 0, v62
	s_cbranch_execz .LBB2_5013
; %bb.5004:                             ;   in Loop: Header=BB2_4871 Depth=3
	v_bfrev_b32_e32 v15, 1
	s_mov_b32 s43, exec_lo
	v_cmpx_ne_u16_e32 0xff80, v62
	s_cbranch_execz .LBB2_5012
; %bb.5005:                             ;   in Loop: Header=BB2_4871 Depth=3
	v_and_b32_e32 v15, 0x7c, v62
	v_and_b32_e32 v119, 3, v62
	s_delay_alu instid0(VALU_DEP_2) | instskip(SKIP_1) | instid1(SALU_CYCLE_1)
	v_cmp_ne_u32_e32 vcc_lo, 0x7c, v15
                                        ; implicit-def: $vgpr15
	s_and_saveexec_b32 s72, vcc_lo
	s_xor_b32 s72, exec_lo, s72
	s_cbranch_execz .LBB2_5009
; %bb.5006:                             ;   in Loop: Header=BB2_4871 Depth=3
	v_and_b32_e32 v15, 0xff, v62
	s_mov_b32 s73, exec_lo
	s_delay_alu instid0(VALU_DEP_1) | instskip(NEXT) | instid1(VALU_DEP_1)
	v_bfe_u32 v15, v15, 2, 5
	v_cmpx_eq_u32_e32 0, v15
	s_cbranch_execz .LBB2_5008
; %bb.5007:                             ;   in Loop: Header=BB2_4871 Depth=3
	v_clz_i32_u32_e32 v15, v119
	s_delay_alu instid0(VALU_DEP_1) | instskip(SKIP_1) | instid1(VALU_DEP_2)
	v_min_u32_e32 v15, 32, v15
	v_mov_b32_e32 v63, v3
	v_subrev_nc_u32_e32 v20, 29, v15
	v_sub_nc_u32_e32 v15, 30, v15
	s_delay_alu instid0(VALU_DEP_2) | instskip(NEXT) | instid1(VALU_DEP_1)
	v_lshlrev_b64_e32 v[74:75], v20, v[62:63]
	v_and_b32_e32 v119, 3, v74
.LBB2_5008:                             ;   in Loop: Header=BB2_4871 Depth=3
	s_or_b32 exec_lo, exec_lo, s73
	v_bfe_i32 v20, v62, 0, 16
                                        ; implicit-def: $vgpr62
	s_delay_alu instid0(VALU_DEP_1) | instskip(NEXT) | instid1(VALU_DEP_1)
	v_and_b32_e32 v20, 0x80000000, v20
	v_lshl_add_u32 v15, v15, 23, v20
	s_delay_alu instid0(VALU_DEP_1) | instskip(NEXT) | instid1(VALU_DEP_1)
	v_lshl_or_b32 v15, v119, 21, v15
                                        ; implicit-def: $vgpr119
	v_add_nc_u32_e32 v15, 0x38000000, v15
.LBB2_5009:                             ;   in Loop: Header=BB2_4871 Depth=3
	s_and_not1_saveexec_b32 s72, s72
; %bb.5010:                             ;   in Loop: Header=BB2_4871 Depth=3
	v_cmp_lt_i16_e32 vcc_lo, -1, v62
	v_cndmask_b32_e32 v15, 0xff800000, v109, vcc_lo
	v_cmp_eq_u32_e32 vcc_lo, 0, v119
	s_delay_alu instid0(VALU_DEP_2)
	v_cndmask_b32_e32 v15, 0x7f800001, v15, vcc_lo
; %bb.5011:                             ;   in Loop: Header=BB2_4871 Depth=3
	s_or_b32 exec_lo, exec_lo, s72
.LBB2_5012:                             ;   in Loop: Header=BB2_4871 Depth=3
	s_delay_alu instid0(SALU_CYCLE_1)
	s_or_b32 exec_lo, exec_lo, s43
.LBB2_5013:                             ;   in Loop: Header=BB2_4871 Depth=3
	s_delay_alu instid0(SALU_CYCLE_1) | instskip(NEXT) | instid1(SALU_CYCLE_1)
	s_or_b32 exec_lo, exec_lo, s13
	s_mov_b32 s13, exec_lo
	s_wait_loadcnt_dscnt 0x404
	v_cmpx_ne_u16_e32 0, v60
	s_cbranch_execz .LBB2_5023
; %bb.5014:                             ;   in Loop: Header=BB2_4871 Depth=3
	v_bfrev_b32_e32 v2, 1
	s_mov_b32 s43, exec_lo
	v_cmpx_ne_u16_e32 0xff80, v60
	s_cbranch_execz .LBB2_5022
; %bb.5015:                             ;   in Loop: Header=BB2_4871 Depth=3
	v_and_b32_e32 v2, 0x7c, v60
	v_and_b32_e32 v119, 3, v60
	s_delay_alu instid0(VALU_DEP_2) | instskip(SKIP_1) | instid1(SALU_CYCLE_1)
	v_cmp_ne_u32_e32 vcc_lo, 0x7c, v2
                                        ; implicit-def: $vgpr2
	s_and_saveexec_b32 s72, vcc_lo
	s_xor_b32 s72, exec_lo, s72
	s_cbranch_execz .LBB2_5019
; %bb.5016:                             ;   in Loop: Header=BB2_4871 Depth=3
	v_and_b32_e32 v2, 0xff, v60
	s_mov_b32 s73, exec_lo
	s_delay_alu instid0(VALU_DEP_1) | instskip(NEXT) | instid1(VALU_DEP_1)
	v_bfe_u32 v2, v2, 2, 5
	v_cmpx_eq_u32_e32 0, v2
	s_cbranch_execz .LBB2_5018
; %bb.5017:                             ;   in Loop: Header=BB2_4871 Depth=3
	v_clz_i32_u32_e32 v2, v119
	s_delay_alu instid0(VALU_DEP_1) | instskip(SKIP_1) | instid1(VALU_DEP_2)
	v_min_u32_e32 v2, 32, v2
	v_mov_b32_e32 v61, v3
	v_subrev_nc_u32_e32 v20, 29, v2
	v_sub_nc_u32_e32 v2, 30, v2
	s_delay_alu instid0(VALU_DEP_2) | instskip(NEXT) | instid1(VALU_DEP_1)
	v_lshlrev_b64_e32 v[62:63], v20, v[60:61]
	v_and_b32_e32 v119, 3, v62
.LBB2_5018:                             ;   in Loop: Header=BB2_4871 Depth=3
	s_or_b32 exec_lo, exec_lo, s73
	v_bfe_i32 v20, v60, 0, 16
                                        ; implicit-def: $vgpr60
	s_delay_alu instid0(VALU_DEP_1) | instskip(NEXT) | instid1(VALU_DEP_1)
	v_and_b32_e32 v20, 0x80000000, v20
	v_lshl_add_u32 v2, v2, 23, v20
	s_delay_alu instid0(VALU_DEP_1) | instskip(NEXT) | instid1(VALU_DEP_1)
	v_lshl_or_b32 v2, v119, 21, v2
                                        ; implicit-def: $vgpr119
	v_add_nc_u32_e32 v2, 0x38000000, v2
.LBB2_5019:                             ;   in Loop: Header=BB2_4871 Depth=3
	s_and_not1_saveexec_b32 s72, s72
; %bb.5020:                             ;   in Loop: Header=BB2_4871 Depth=3
	v_cmp_lt_i16_e32 vcc_lo, -1, v60
	v_cndmask_b32_e32 v2, 0xff800000, v109, vcc_lo
	v_cmp_eq_u32_e32 vcc_lo, 0, v119
	s_delay_alu instid0(VALU_DEP_2)
	v_cndmask_b32_e32 v2, 0x7f800001, v2, vcc_lo
; %bb.5021:                             ;   in Loop: Header=BB2_4871 Depth=3
	s_or_b32 exec_lo, exec_lo, s72
.LBB2_5022:                             ;   in Loop: Header=BB2_4871 Depth=3
	s_delay_alu instid0(SALU_CYCLE_1)
	s_or_b32 exec_lo, exec_lo, s43
.LBB2_5023:                             ;   in Loop: Header=BB2_4871 Depth=3
	s_delay_alu instid0(SALU_CYCLE_1) | instskip(NEXT) | instid1(VALU_DEP_1)
	s_or_b32 exec_lo, exec_lo, s13
	v_mul_f32_e32 v119, v15, v2
	v_mov_b32_e32 v61, v3
	s_delay_alu instid0(VALU_DEP_2) | instskip(SKIP_1) | instid1(VALU_DEP_2)
	v_and_b32_e32 v60, 0x7f800000, v119
	v_and_b32_e32 v2, 0x7fffff, v119
	v_cmp_ne_u64_e32 vcc_lo, 0x7f800000, v[60:61]
                                        ; implicit-def: $vgpr61
	s_and_saveexec_b32 s13, vcc_lo
	s_delay_alu instid0(SALU_CYCLE_1)
	s_xor_b32 s43, exec_lo, s13
	s_cbranch_execz .LBB2_5041
; %bb.5024:                             ;   in Loop: Header=BB2_4871 Depth=3
	v_and_b32_e32 v60, 0x7fffffff, v119
	v_dual_mov_b32 v61, v3 :: v_dual_lshrrev_b32 v15, 24, v119
	s_delay_alu instid0(VALU_DEP_1) | instskip(NEXT) | instid1(VALU_DEP_2)
	v_cmp_gt_u64_e32 vcc_lo, 0x47600001, v[60:61]
	v_and_b32_e32 v15, 0x80, v15
                                        ; implicit-def: $vgpr61
	s_and_saveexec_b32 s13, vcc_lo
	s_delay_alu instid0(SALU_CYCLE_1)
	s_xor_b32 s72, exec_lo, s13
	s_cbranch_execz .LBB2_5038
; %bb.5025:                             ;   in Loop: Header=BB2_4871 Depth=3
	v_mov_b32_e32 v61, 0
	s_mov_b32 s73, exec_lo
	v_cmpx_ne_u32_e32 0, v119
	s_cbranch_execz .LBB2_5037
; %bb.5026:                             ;   in Loop: Header=BB2_4871 Depth=3
	v_bfe_u32 v119, v119, 23, 8
	v_or_b32_e32 v21, 0x800000, v2
	s_delay_alu instid0(VALU_DEP_2) | instskip(SKIP_1) | instid1(VALU_DEP_2)
	v_sub_nc_u32_e32 v20, 0x71, v119
	v_cmp_gt_u32_e32 vcc_lo, 0x72, v119
	v_cndmask_b32_e32 v20, 0, v20, vcc_lo
	v_cmp_eq_u32_e32 vcc_lo, 0, v119
	v_cndmask_b32_e32 v2, v21, v2, vcc_lo
	s_delay_alu instid0(VALU_DEP_3) | instskip(NEXT) | instid1(VALU_DEP_1)
	v_cndmask_b32_e64 v41, v20, 0x70, vcc_lo
	v_add_nc_u32_e32 v20, 21, v41
	s_delay_alu instid0(VALU_DEP_1) | instskip(SKIP_1) | instid1(VALU_DEP_1)
	v_lshlrev_b64_e64 v[60:61], v20, -1
	v_add_nc_u32_e32 v20, 20, v41
	v_lshlrev_b64_e64 v[62:63], v20, 1
	s_delay_alu instid0(VALU_DEP_3) | instskip(NEXT) | instid1(VALU_DEP_4)
	v_bfi_b32 v75, v61, 0, 0
	v_bfi_b32 v74, v60, 0, v2
	v_lshrrev_b64 v[60:61], v41, v[2:3]
	s_delay_alu instid0(VALU_DEP_2) | instskip(NEXT) | instid1(VALU_DEP_2)
	v_cmp_eq_u64_e64 s13, v[74:75], v[62:63]
	v_mov_b64_e32 v[62:63], v[60:61]
	s_and_saveexec_b32 s74, s13
; %bb.5027:                             ;   in Loop: Header=BB2_4871 Depth=3
	v_bfe_u32 v2, v60, 21, 1
	s_delay_alu instid0(VALU_DEP_1) | instskip(NEXT) | instid1(VALU_DEP_1)
	v_add_nc_u64_e32 v[62:63], v[60:61], v[2:3]
	v_add_nc_u64_e32 v[62:63], -1, v[62:63]
; %bb.5028:                             ;   in Loop: Header=BB2_4871 Depth=3
	s_or_b32 exec_lo, exec_lo, s74
	v_add_nc_u32_e32 v2, 0xffffff81, v119
	v_lshrrev_b32_e32 v20, 23, v60
	s_mov_b32 s13, exec_lo
                                        ; implicit-def: $vgpr119
	s_delay_alu instid0(VALU_DEP_2) | instskip(NEXT) | instid1(VALU_DEP_1)
	v_cndmask_b32_e64 v2, v2, 0xffffff82, vcc_lo
	v_add3_u32 v41, v41, v2, v20
	v_and_b32_e32 v2, 0x1fffff, v62
	s_delay_alu instid0(VALU_DEP_1) | instskip(NEXT) | instid1(VALU_DEP_1)
	v_dual_add_nc_u32 v43, 14, v41 :: v_dual_add_nc_u32 v2, v2, v60
                                        ; implicit-def: $vgpr60_vgpr61
	v_cmpx_ne_u32_e32 0, v43
	s_xor_b32 s13, exec_lo, s13
; %bb.5029:                             ;   in Loop: Header=BB2_4871 Depth=3
	s_delay_alu instid0(VALU_DEP_2) | instskip(SKIP_1) | instid1(VALU_DEP_1)
	v_cmp_lt_u64_e32 vcc_lo, 0xffffff, v[2:3]
	v_add_nc_u32_e32 v20, 15, v41
	v_cndmask_b32_e32 v119, v43, v20, vcc_lo
	v_cndmask_b32_e64 v20, 0, 1, vcc_lo
	s_delay_alu instid0(VALU_DEP_1)
	v_lshrrev_b64 v[60:61], v20, v[2:3]
; %bb.5030:                             ;   in Loop: Header=BB2_4871 Depth=3
	s_and_not1_saveexec_b32 s13, s13
; %bb.5031:                             ;   in Loop: Header=BB2_4871 Depth=3
	v_mov_b64_e32 v[60:61], v[2:3]
	v_bfe_u32 v119, v2, 23, 1
; %bb.5032:                             ;   in Loop: Header=BB2_4871 Depth=3
	s_or_b32 exec_lo, exec_lo, s13
	s_delay_alu instid0(VALU_DEP_2) | instskip(NEXT) | instid1(VALU_DEP_2)
	v_lshrrev_b64 v[60:61], 21, v[60:61]
	v_cmp_gt_i32_e32 vcc_lo, 32, v119
	v_cmp_ne_u32_e64 s13, 0, v119
	s_delay_alu instid0(VALU_DEP_3) | instskip(NEXT) | instid1(VALU_DEP_1)
	v_dual_cndmask_b32 v61, 0, v61 :: v_dual_cndmask_b32 v60, 3, v60
	v_cmp_ne_u64_e32 vcc_lo, 0, v[60:61]
                                        ; implicit-def: $vgpr61
	s_or_b32 s13, s13, vcc_lo
	s_delay_alu instid0(SALU_CYCLE_1) | instskip(NEXT) | instid1(SALU_CYCLE_1)
	s_and_saveexec_b32 s74, s13
	s_xor_b32 s13, exec_lo, s74
; %bb.5033:                             ;   in Loop: Header=BB2_4871 Depth=3
	v_min_i32_e32 v2, 31, v119
	s_delay_alu instid0(VALU_DEP_1) | instskip(NEXT) | instid1(VALU_DEP_1)
	v_lshl_or_b32 v2, v2, 2, v15
                                        ; implicit-def: $vgpr15
	v_and_or_b32 v61, v60, 3, v2
; %bb.5034:                             ;   in Loop: Header=BB2_4871 Depth=3
	s_and_not1_saveexec_b32 s13, s13
; %bb.5035:                             ;   in Loop: Header=BB2_4871 Depth=3
	v_mov_b32_e32 v61, v15
; %bb.5036:                             ;   in Loop: Header=BB2_4871 Depth=3
	s_or_b32 exec_lo, exec_lo, s13
.LBB2_5037:                             ;   in Loop: Header=BB2_4871 Depth=3
	s_delay_alu instid0(SALU_CYCLE_1)
	s_or_b32 exec_lo, exec_lo, s73
                                        ; implicit-def: $vgpr15
.LBB2_5038:                             ;   in Loop: Header=BB2_4871 Depth=3
	s_and_not1_saveexec_b32 s13, s72
; %bb.5039:                             ;   in Loop: Header=BB2_4871 Depth=3
	v_or_b32_e32 v61, 0x7b, v15
; %bb.5040:                             ;   in Loop: Header=BB2_4871 Depth=3
	s_or_b32 exec_lo, exec_lo, s13
                                        ; implicit-def: $vgpr119
.LBB2_5041:                             ;   in Loop: Header=BB2_4871 Depth=3
	s_and_not1_saveexec_b32 s13, s43
	s_cbranch_execz .LBB2_5047
; %bb.5042:                             ;   in Loop: Header=BB2_4871 Depth=3
	s_mov_b32 s43, exec_lo
                                        ; implicit-def: $vgpr61
	v_cmpx_ne_u64_e32 0, v[2:3]
	s_xor_b32 s43, exec_lo, s43
; %bb.5043:                             ;   in Loop: Header=BB2_4871 Depth=3
	v_lshrrev_b32_e32 v2, 24, v119
                                        ; implicit-def: $vgpr119
	s_delay_alu instid0(VALU_DEP_1)
	v_or_b32_e32 v61, 0x7f, v2
; %bb.5044:                             ;   in Loop: Header=BB2_4871 Depth=3
	s_and_not1_saveexec_b32 s43, s43
; %bb.5045:                             ;   in Loop: Header=BB2_4871 Depth=3
	v_cmp_lt_i32_e32 vcc_lo, -1, v119
	v_cndmask_b32_e64 v61, -4, 0x7c, vcc_lo
; %bb.5046:                             ;   in Loop: Header=BB2_4871 Depth=3
	s_or_b32 exec_lo, exec_lo, s43
.LBB2_5047:                             ;   in Loop: Header=BB2_4871 Depth=3
	s_delay_alu instid0(SALU_CYCLE_1)
	s_or_b32 exec_lo, exec_lo, s13
	v_dual_mov_b32 v2, 0 :: v_dual_mov_b32 v15, 0
	s_mov_b32 s13, exec_lo
	v_cmpx_ne_u16_e32 0, v58
	s_cbranch_execz .LBB2_5057
; %bb.5048:                             ;   in Loop: Header=BB2_4871 Depth=3
	v_bfrev_b32_e32 v15, 1
	s_mov_b32 s43, exec_lo
	v_cmpx_ne_u16_e32 0xff80, v58
	s_cbranch_execz .LBB2_5056
; %bb.5049:                             ;   in Loop: Header=BB2_4871 Depth=3
	v_and_b32_e32 v15, 0x7c, v58
	v_and_b32_e32 v119, 3, v58
	s_delay_alu instid0(VALU_DEP_2) | instskip(SKIP_1) | instid1(SALU_CYCLE_1)
	v_cmp_ne_u32_e32 vcc_lo, 0x7c, v15
                                        ; implicit-def: $vgpr15
	s_and_saveexec_b32 s72, vcc_lo
	s_xor_b32 s72, exec_lo, s72
	s_cbranch_execz .LBB2_5053
; %bb.5050:                             ;   in Loop: Header=BB2_4871 Depth=3
	v_and_b32_e32 v15, 0xff, v58
	s_mov_b32 s73, exec_lo
	s_delay_alu instid0(VALU_DEP_1) | instskip(NEXT) | instid1(VALU_DEP_1)
	v_bfe_u32 v15, v15, 2, 5
	v_cmpx_eq_u32_e32 0, v15
	s_cbranch_execz .LBB2_5052
; %bb.5051:                             ;   in Loop: Header=BB2_4871 Depth=3
	v_clz_i32_u32_e32 v15, v119
	s_delay_alu instid0(VALU_DEP_1) | instskip(SKIP_1) | instid1(VALU_DEP_2)
	v_min_u32_e32 v15, 32, v15
	v_mov_b32_e32 v59, v3
	v_subrev_nc_u32_e32 v20, 29, v15
	v_sub_nc_u32_e32 v15, 30, v15
	s_delay_alu instid0(VALU_DEP_2) | instskip(NEXT) | instid1(VALU_DEP_1)
	v_lshlrev_b64_e32 v[62:63], v20, v[58:59]
	v_and_b32_e32 v119, 3, v62
.LBB2_5052:                             ;   in Loop: Header=BB2_4871 Depth=3
	s_or_b32 exec_lo, exec_lo, s73
	v_bfe_i32 v20, v58, 0, 16
                                        ; implicit-def: $vgpr58
	s_delay_alu instid0(VALU_DEP_1) | instskip(NEXT) | instid1(VALU_DEP_1)
	v_and_b32_e32 v20, 0x80000000, v20
	v_lshl_add_u32 v15, v15, 23, v20
	s_delay_alu instid0(VALU_DEP_1) | instskip(NEXT) | instid1(VALU_DEP_1)
	v_lshl_or_b32 v15, v119, 21, v15
                                        ; implicit-def: $vgpr119
	v_add_nc_u32_e32 v15, 0x38000000, v15
.LBB2_5053:                             ;   in Loop: Header=BB2_4871 Depth=3
	s_and_not1_saveexec_b32 s72, s72
; %bb.5054:                             ;   in Loop: Header=BB2_4871 Depth=3
	v_cmp_lt_i16_e32 vcc_lo, -1, v58
	v_cndmask_b32_e32 v15, 0xff800000, v109, vcc_lo
	v_cmp_eq_u32_e32 vcc_lo, 0, v119
	s_delay_alu instid0(VALU_DEP_2)
	v_cndmask_b32_e32 v15, 0x7f800001, v15, vcc_lo
; %bb.5055:                             ;   in Loop: Header=BB2_4871 Depth=3
	s_or_b32 exec_lo, exec_lo, s72
.LBB2_5056:                             ;   in Loop: Header=BB2_4871 Depth=3
	s_delay_alu instid0(SALU_CYCLE_1)
	s_or_b32 exec_lo, exec_lo, s43
.LBB2_5057:                             ;   in Loop: Header=BB2_4871 Depth=3
	s_delay_alu instid0(SALU_CYCLE_1) | instskip(NEXT) | instid1(SALU_CYCLE_1)
	s_or_b32 exec_lo, exec_lo, s13
	s_mov_b32 s13, exec_lo
	s_wait_loadcnt_dscnt 0x303
	v_cmpx_ne_u16_e32 0, v56
	s_cbranch_execz .LBB2_5067
; %bb.5058:                             ;   in Loop: Header=BB2_4871 Depth=3
	v_bfrev_b32_e32 v2, 1
	s_mov_b32 s43, exec_lo
	v_cmpx_ne_u16_e32 0xff80, v56
	s_cbranch_execz .LBB2_5066
; %bb.5059:                             ;   in Loop: Header=BB2_4871 Depth=3
	v_and_b32_e32 v2, 0x7c, v56
	v_and_b32_e32 v119, 3, v56
	s_delay_alu instid0(VALU_DEP_2) | instskip(SKIP_1) | instid1(SALU_CYCLE_1)
	v_cmp_ne_u32_e32 vcc_lo, 0x7c, v2
                                        ; implicit-def: $vgpr2
	s_and_saveexec_b32 s72, vcc_lo
	s_xor_b32 s72, exec_lo, s72
	s_cbranch_execz .LBB2_5063
; %bb.5060:                             ;   in Loop: Header=BB2_4871 Depth=3
	v_and_b32_e32 v2, 0xff, v56
	s_mov_b32 s73, exec_lo
	s_delay_alu instid0(VALU_DEP_1) | instskip(NEXT) | instid1(VALU_DEP_1)
	v_bfe_u32 v2, v2, 2, 5
	v_cmpx_eq_u32_e32 0, v2
	s_cbranch_execz .LBB2_5062
; %bb.5061:                             ;   in Loop: Header=BB2_4871 Depth=3
	v_clz_i32_u32_e32 v2, v119
	s_delay_alu instid0(VALU_DEP_1) | instskip(SKIP_1) | instid1(VALU_DEP_2)
	v_min_u32_e32 v2, 32, v2
	v_mov_b32_e32 v57, v3
	v_subrev_nc_u32_e32 v20, 29, v2
	v_sub_nc_u32_e32 v2, 30, v2
	s_delay_alu instid0(VALU_DEP_2) | instskip(NEXT) | instid1(VALU_DEP_1)
	v_lshlrev_b64_e32 v[58:59], v20, v[56:57]
	v_and_b32_e32 v119, 3, v58
.LBB2_5062:                             ;   in Loop: Header=BB2_4871 Depth=3
	s_or_b32 exec_lo, exec_lo, s73
	v_bfe_i32 v20, v56, 0, 16
                                        ; implicit-def: $vgpr56
	s_delay_alu instid0(VALU_DEP_1) | instskip(NEXT) | instid1(VALU_DEP_1)
	v_and_b32_e32 v20, 0x80000000, v20
	v_lshl_add_u32 v2, v2, 23, v20
	s_delay_alu instid0(VALU_DEP_1) | instskip(NEXT) | instid1(VALU_DEP_1)
	v_lshl_or_b32 v2, v119, 21, v2
                                        ; implicit-def: $vgpr119
	v_add_nc_u32_e32 v2, 0x38000000, v2
.LBB2_5063:                             ;   in Loop: Header=BB2_4871 Depth=3
	s_and_not1_saveexec_b32 s72, s72
; %bb.5064:                             ;   in Loop: Header=BB2_4871 Depth=3
	v_cmp_lt_i16_e32 vcc_lo, -1, v56
	v_cndmask_b32_e32 v2, 0xff800000, v109, vcc_lo
	v_cmp_eq_u32_e32 vcc_lo, 0, v119
	s_delay_alu instid0(VALU_DEP_2)
	v_cndmask_b32_e32 v2, 0x7f800001, v2, vcc_lo
; %bb.5065:                             ;   in Loop: Header=BB2_4871 Depth=3
	s_or_b32 exec_lo, exec_lo, s72
.LBB2_5066:                             ;   in Loop: Header=BB2_4871 Depth=3
	s_delay_alu instid0(SALU_CYCLE_1)
	s_or_b32 exec_lo, exec_lo, s43
.LBB2_5067:                             ;   in Loop: Header=BB2_4871 Depth=3
	s_delay_alu instid0(SALU_CYCLE_1) | instskip(NEXT) | instid1(VALU_DEP_1)
	s_or_b32 exec_lo, exec_lo, s13
	v_mul_f32_e32 v119, v15, v2
	v_mov_b32_e32 v57, v3
	s_delay_alu instid0(VALU_DEP_2) | instskip(SKIP_1) | instid1(VALU_DEP_2)
	v_and_b32_e32 v56, 0x7f800000, v119
	v_and_b32_e32 v2, 0x7fffff, v119
	v_cmp_ne_u64_e32 vcc_lo, 0x7f800000, v[56:57]
                                        ; implicit-def: $vgpr57
	s_and_saveexec_b32 s13, vcc_lo
	s_delay_alu instid0(SALU_CYCLE_1)
	s_xor_b32 s43, exec_lo, s13
	s_cbranch_execz .LBB2_5085
; %bb.5068:                             ;   in Loop: Header=BB2_4871 Depth=3
	v_and_b32_e32 v56, 0x7fffffff, v119
	v_dual_mov_b32 v57, v3 :: v_dual_lshrrev_b32 v15, 24, v119
	s_delay_alu instid0(VALU_DEP_1) | instskip(NEXT) | instid1(VALU_DEP_2)
	v_cmp_gt_u64_e32 vcc_lo, 0x47600001, v[56:57]
	v_and_b32_e32 v15, 0x80, v15
                                        ; implicit-def: $vgpr57
	s_and_saveexec_b32 s13, vcc_lo
	s_delay_alu instid0(SALU_CYCLE_1)
	s_xor_b32 s72, exec_lo, s13
	s_cbranch_execz .LBB2_5082
; %bb.5069:                             ;   in Loop: Header=BB2_4871 Depth=3
	v_mov_b32_e32 v57, 0
	s_mov_b32 s73, exec_lo
	v_cmpx_ne_u32_e32 0, v119
	s_cbranch_execz .LBB2_5081
; %bb.5070:                             ;   in Loop: Header=BB2_4871 Depth=3
	v_bfe_u32 v119, v119, 23, 8
	v_or_b32_e32 v21, 0x800000, v2
	s_delay_alu instid0(VALU_DEP_2) | instskip(SKIP_1) | instid1(VALU_DEP_2)
	v_sub_nc_u32_e32 v20, 0x71, v119
	v_cmp_gt_u32_e32 vcc_lo, 0x72, v119
	v_cndmask_b32_e32 v20, 0, v20, vcc_lo
	v_cmp_eq_u32_e32 vcc_lo, 0, v119
	v_cndmask_b32_e32 v2, v21, v2, vcc_lo
	s_delay_alu instid0(VALU_DEP_3) | instskip(NEXT) | instid1(VALU_DEP_1)
	v_cndmask_b32_e64 v41, v20, 0x70, vcc_lo
	v_add_nc_u32_e32 v20, 21, v41
	s_delay_alu instid0(VALU_DEP_1) | instskip(SKIP_1) | instid1(VALU_DEP_1)
	v_lshlrev_b64_e64 v[56:57], v20, -1
	v_add_nc_u32_e32 v20, 20, v41
	v_lshlrev_b64_e64 v[58:59], v20, 1
	s_delay_alu instid0(VALU_DEP_3) | instskip(NEXT) | instid1(VALU_DEP_4)
	v_bfi_b32 v63, v57, 0, 0
	v_bfi_b32 v62, v56, 0, v2
	v_lshrrev_b64 v[56:57], v41, v[2:3]
	s_delay_alu instid0(VALU_DEP_2) | instskip(NEXT) | instid1(VALU_DEP_2)
	v_cmp_eq_u64_e64 s13, v[62:63], v[58:59]
	v_mov_b64_e32 v[58:59], v[56:57]
	s_and_saveexec_b32 s74, s13
; %bb.5071:                             ;   in Loop: Header=BB2_4871 Depth=3
	v_bfe_u32 v2, v56, 21, 1
	s_delay_alu instid0(VALU_DEP_1) | instskip(NEXT) | instid1(VALU_DEP_1)
	v_add_nc_u64_e32 v[58:59], v[56:57], v[2:3]
	v_add_nc_u64_e32 v[58:59], -1, v[58:59]
; %bb.5072:                             ;   in Loop: Header=BB2_4871 Depth=3
	s_or_b32 exec_lo, exec_lo, s74
	v_add_nc_u32_e32 v2, 0xffffff81, v119
	v_lshrrev_b32_e32 v20, 23, v56
	s_mov_b32 s13, exec_lo
                                        ; implicit-def: $vgpr119
	s_delay_alu instid0(VALU_DEP_2) | instskip(NEXT) | instid1(VALU_DEP_1)
	v_cndmask_b32_e64 v2, v2, 0xffffff82, vcc_lo
	v_add3_u32 v41, v41, v2, v20
	v_and_b32_e32 v2, 0x1fffff, v58
	s_delay_alu instid0(VALU_DEP_1) | instskip(NEXT) | instid1(VALU_DEP_1)
	v_dual_add_nc_u32 v43, 14, v41 :: v_dual_add_nc_u32 v2, v2, v56
                                        ; implicit-def: $vgpr56_vgpr57
	v_cmpx_ne_u32_e32 0, v43
	s_xor_b32 s13, exec_lo, s13
; %bb.5073:                             ;   in Loop: Header=BB2_4871 Depth=3
	s_delay_alu instid0(VALU_DEP_2) | instskip(SKIP_1) | instid1(VALU_DEP_1)
	v_cmp_lt_u64_e32 vcc_lo, 0xffffff, v[2:3]
	v_add_nc_u32_e32 v20, 15, v41
	v_cndmask_b32_e32 v119, v43, v20, vcc_lo
	v_cndmask_b32_e64 v20, 0, 1, vcc_lo
	s_delay_alu instid0(VALU_DEP_1)
	v_lshrrev_b64 v[56:57], v20, v[2:3]
; %bb.5074:                             ;   in Loop: Header=BB2_4871 Depth=3
	s_and_not1_saveexec_b32 s13, s13
; %bb.5075:                             ;   in Loop: Header=BB2_4871 Depth=3
	v_mov_b64_e32 v[56:57], v[2:3]
	v_bfe_u32 v119, v2, 23, 1
; %bb.5076:                             ;   in Loop: Header=BB2_4871 Depth=3
	s_or_b32 exec_lo, exec_lo, s13
	s_delay_alu instid0(VALU_DEP_2) | instskip(NEXT) | instid1(VALU_DEP_2)
	v_lshrrev_b64 v[56:57], 21, v[56:57]
	v_cmp_gt_i32_e32 vcc_lo, 32, v119
	v_cmp_ne_u32_e64 s13, 0, v119
	s_delay_alu instid0(VALU_DEP_3) | instskip(NEXT) | instid1(VALU_DEP_1)
	v_dual_cndmask_b32 v57, 0, v57 :: v_dual_cndmask_b32 v56, 3, v56
	v_cmp_ne_u64_e32 vcc_lo, 0, v[56:57]
                                        ; implicit-def: $vgpr57
	s_or_b32 s13, s13, vcc_lo
	s_delay_alu instid0(SALU_CYCLE_1) | instskip(NEXT) | instid1(SALU_CYCLE_1)
	s_and_saveexec_b32 s74, s13
	s_xor_b32 s13, exec_lo, s74
; %bb.5077:                             ;   in Loop: Header=BB2_4871 Depth=3
	v_min_i32_e32 v2, 31, v119
	s_delay_alu instid0(VALU_DEP_1) | instskip(NEXT) | instid1(VALU_DEP_1)
	v_lshl_or_b32 v2, v2, 2, v15
                                        ; implicit-def: $vgpr15
	v_and_or_b32 v57, v56, 3, v2
; %bb.5078:                             ;   in Loop: Header=BB2_4871 Depth=3
	s_and_not1_saveexec_b32 s13, s13
; %bb.5079:                             ;   in Loop: Header=BB2_4871 Depth=3
	v_mov_b32_e32 v57, v15
; %bb.5080:                             ;   in Loop: Header=BB2_4871 Depth=3
	s_or_b32 exec_lo, exec_lo, s13
.LBB2_5081:                             ;   in Loop: Header=BB2_4871 Depth=3
	s_delay_alu instid0(SALU_CYCLE_1)
	s_or_b32 exec_lo, exec_lo, s73
                                        ; implicit-def: $vgpr15
.LBB2_5082:                             ;   in Loop: Header=BB2_4871 Depth=3
	s_and_not1_saveexec_b32 s13, s72
; %bb.5083:                             ;   in Loop: Header=BB2_4871 Depth=3
	v_or_b32_e32 v57, 0x7b, v15
; %bb.5084:                             ;   in Loop: Header=BB2_4871 Depth=3
	s_or_b32 exec_lo, exec_lo, s13
                                        ; implicit-def: $vgpr119
.LBB2_5085:                             ;   in Loop: Header=BB2_4871 Depth=3
	s_and_not1_saveexec_b32 s13, s43
	s_cbranch_execz .LBB2_5091
; %bb.5086:                             ;   in Loop: Header=BB2_4871 Depth=3
	s_mov_b32 s43, exec_lo
                                        ; implicit-def: $vgpr57
	v_cmpx_ne_u64_e32 0, v[2:3]
	s_xor_b32 s43, exec_lo, s43
; %bb.5087:                             ;   in Loop: Header=BB2_4871 Depth=3
	v_lshrrev_b32_e32 v2, 24, v119
                                        ; implicit-def: $vgpr119
	s_delay_alu instid0(VALU_DEP_1)
	v_or_b32_e32 v57, 0x7f, v2
; %bb.5088:                             ;   in Loop: Header=BB2_4871 Depth=3
	s_and_not1_saveexec_b32 s43, s43
; %bb.5089:                             ;   in Loop: Header=BB2_4871 Depth=3
	v_cmp_lt_i32_e32 vcc_lo, -1, v119
	v_cndmask_b32_e64 v57, -4, 0x7c, vcc_lo
; %bb.5090:                             ;   in Loop: Header=BB2_4871 Depth=3
	s_or_b32 exec_lo, exec_lo, s43
.LBB2_5091:                             ;   in Loop: Header=BB2_4871 Depth=3
	s_delay_alu instid0(SALU_CYCLE_1)
	s_or_b32 exec_lo, exec_lo, s13
	v_dual_mov_b32 v2, 0 :: v_dual_mov_b32 v15, 0
	s_mov_b32 s13, exec_lo
	v_cmpx_ne_u16_e32 0, v46
	s_cbranch_execz .LBB2_5101
; %bb.5092:                             ;   in Loop: Header=BB2_4871 Depth=3
	v_bfrev_b32_e32 v15, 1
	s_mov_b32 s43, exec_lo
	v_cmpx_ne_u16_e32 0xff80, v46
	s_cbranch_execz .LBB2_5100
; %bb.5093:                             ;   in Loop: Header=BB2_4871 Depth=3
	v_and_b32_e32 v15, 0x7c, v46
	v_and_b32_e32 v119, 3, v46
	s_delay_alu instid0(VALU_DEP_2) | instskip(SKIP_1) | instid1(SALU_CYCLE_1)
	v_cmp_ne_u32_e32 vcc_lo, 0x7c, v15
                                        ; implicit-def: $vgpr15
	s_and_saveexec_b32 s72, vcc_lo
	s_xor_b32 s72, exec_lo, s72
	s_cbranch_execz .LBB2_5097
; %bb.5094:                             ;   in Loop: Header=BB2_4871 Depth=3
	v_and_b32_e32 v15, 0xff, v46
	s_mov_b32 s73, exec_lo
	s_delay_alu instid0(VALU_DEP_1) | instskip(NEXT) | instid1(VALU_DEP_1)
	v_bfe_u32 v15, v15, 2, 5
	v_cmpx_eq_u32_e32 0, v15
	s_cbranch_execz .LBB2_5096
; %bb.5095:                             ;   in Loop: Header=BB2_4871 Depth=3
	v_clz_i32_u32_e32 v15, v119
	s_delay_alu instid0(VALU_DEP_1) | instskip(SKIP_1) | instid1(VALU_DEP_2)
	v_min_u32_e32 v15, 32, v15
	v_mov_b32_e32 v47, v3
	v_subrev_nc_u32_e32 v20, 29, v15
	v_sub_nc_u32_e32 v15, 30, v15
	s_delay_alu instid0(VALU_DEP_2) | instskip(NEXT) | instid1(VALU_DEP_1)
	v_lshlrev_b64_e32 v[58:59], v20, v[46:47]
	v_and_b32_e32 v119, 3, v58
.LBB2_5096:                             ;   in Loop: Header=BB2_4871 Depth=3
	s_or_b32 exec_lo, exec_lo, s73
	v_bfe_i32 v20, v46, 0, 16
                                        ; implicit-def: $vgpr46
	s_delay_alu instid0(VALU_DEP_1) | instskip(NEXT) | instid1(VALU_DEP_1)
	v_and_b32_e32 v20, 0x80000000, v20
	v_lshl_add_u32 v15, v15, 23, v20
	s_delay_alu instid0(VALU_DEP_1) | instskip(NEXT) | instid1(VALU_DEP_1)
	v_lshl_or_b32 v15, v119, 21, v15
                                        ; implicit-def: $vgpr119
	v_add_nc_u32_e32 v15, 0x38000000, v15
.LBB2_5097:                             ;   in Loop: Header=BB2_4871 Depth=3
	s_and_not1_saveexec_b32 s72, s72
; %bb.5098:                             ;   in Loop: Header=BB2_4871 Depth=3
	v_cmp_lt_i16_e32 vcc_lo, -1, v46
	v_cndmask_b32_e32 v15, 0xff800000, v109, vcc_lo
	v_cmp_eq_u32_e32 vcc_lo, 0, v119
	s_delay_alu instid0(VALU_DEP_2)
	v_cndmask_b32_e32 v15, 0x7f800001, v15, vcc_lo
; %bb.5099:                             ;   in Loop: Header=BB2_4871 Depth=3
	s_or_b32 exec_lo, exec_lo, s72
.LBB2_5100:                             ;   in Loop: Header=BB2_4871 Depth=3
	s_delay_alu instid0(SALU_CYCLE_1)
	s_or_b32 exec_lo, exec_lo, s43
.LBB2_5101:                             ;   in Loop: Header=BB2_4871 Depth=3
	s_delay_alu instid0(SALU_CYCLE_1) | instskip(NEXT) | instid1(SALU_CYCLE_1)
	s_or_b32 exec_lo, exec_lo, s13
	s_mov_b32 s13, exec_lo
	s_wait_loadcnt_dscnt 0x202
	v_cmpx_ne_u16_e32 0, v44
	s_cbranch_execz .LBB2_5111
; %bb.5102:                             ;   in Loop: Header=BB2_4871 Depth=3
	v_bfrev_b32_e32 v2, 1
	s_mov_b32 s43, exec_lo
	v_cmpx_ne_u16_e32 0xff80, v44
	s_cbranch_execz .LBB2_5110
; %bb.5103:                             ;   in Loop: Header=BB2_4871 Depth=3
	v_and_b32_e32 v2, 0x7c, v44
	v_and_b32_e32 v119, 3, v44
	s_delay_alu instid0(VALU_DEP_2) | instskip(SKIP_1) | instid1(SALU_CYCLE_1)
	v_cmp_ne_u32_e32 vcc_lo, 0x7c, v2
                                        ; implicit-def: $vgpr2
	s_and_saveexec_b32 s72, vcc_lo
	s_xor_b32 s72, exec_lo, s72
	s_cbranch_execz .LBB2_5107
; %bb.5104:                             ;   in Loop: Header=BB2_4871 Depth=3
	v_and_b32_e32 v2, 0xff, v44
	s_mov_b32 s73, exec_lo
	s_delay_alu instid0(VALU_DEP_1) | instskip(NEXT) | instid1(VALU_DEP_1)
	v_bfe_u32 v2, v2, 2, 5
	v_cmpx_eq_u32_e32 0, v2
	s_cbranch_execz .LBB2_5106
; %bb.5105:                             ;   in Loop: Header=BB2_4871 Depth=3
	v_clz_i32_u32_e32 v2, v119
	s_delay_alu instid0(VALU_DEP_1) | instskip(SKIP_1) | instid1(VALU_DEP_2)
	v_min_u32_e32 v2, 32, v2
	v_mov_b32_e32 v45, v3
	v_subrev_nc_u32_e32 v20, 29, v2
	v_sub_nc_u32_e32 v2, 30, v2
	s_delay_alu instid0(VALU_DEP_2) | instskip(NEXT) | instid1(VALU_DEP_1)
	v_lshlrev_b64_e32 v[46:47], v20, v[44:45]
	v_and_b32_e32 v119, 3, v46
.LBB2_5106:                             ;   in Loop: Header=BB2_4871 Depth=3
	s_or_b32 exec_lo, exec_lo, s73
	v_bfe_i32 v20, v44, 0, 16
                                        ; implicit-def: $vgpr44
	s_delay_alu instid0(VALU_DEP_1) | instskip(NEXT) | instid1(VALU_DEP_1)
	v_and_b32_e32 v20, 0x80000000, v20
	v_lshl_add_u32 v2, v2, 23, v20
	s_delay_alu instid0(VALU_DEP_1) | instskip(NEXT) | instid1(VALU_DEP_1)
	v_lshl_or_b32 v2, v119, 21, v2
                                        ; implicit-def: $vgpr119
	v_add_nc_u32_e32 v2, 0x38000000, v2
.LBB2_5107:                             ;   in Loop: Header=BB2_4871 Depth=3
	s_and_not1_saveexec_b32 s72, s72
; %bb.5108:                             ;   in Loop: Header=BB2_4871 Depth=3
	v_cmp_lt_i16_e32 vcc_lo, -1, v44
	v_cndmask_b32_e32 v2, 0xff800000, v109, vcc_lo
	v_cmp_eq_u32_e32 vcc_lo, 0, v119
	s_delay_alu instid0(VALU_DEP_2)
	v_cndmask_b32_e32 v2, 0x7f800001, v2, vcc_lo
; %bb.5109:                             ;   in Loop: Header=BB2_4871 Depth=3
	s_or_b32 exec_lo, exec_lo, s72
.LBB2_5110:                             ;   in Loop: Header=BB2_4871 Depth=3
	s_delay_alu instid0(SALU_CYCLE_1)
	s_or_b32 exec_lo, exec_lo, s43
.LBB2_5111:                             ;   in Loop: Header=BB2_4871 Depth=3
	s_delay_alu instid0(SALU_CYCLE_1) | instskip(NEXT) | instid1(VALU_DEP_1)
	s_or_b32 exec_lo, exec_lo, s13
	v_mul_f32_e32 v119, v15, v2
	v_mov_b32_e32 v45, v3
	s_delay_alu instid0(VALU_DEP_2) | instskip(SKIP_1) | instid1(VALU_DEP_2)
	v_and_b32_e32 v44, 0x7f800000, v119
	v_and_b32_e32 v2, 0x7fffff, v119
	v_cmp_ne_u64_e32 vcc_lo, 0x7f800000, v[44:45]
                                        ; implicit-def: $vgpr45
	s_and_saveexec_b32 s13, vcc_lo
	s_delay_alu instid0(SALU_CYCLE_1)
	s_xor_b32 s43, exec_lo, s13
	s_cbranch_execz .LBB2_5129
; %bb.5112:                             ;   in Loop: Header=BB2_4871 Depth=3
	v_and_b32_e32 v44, 0x7fffffff, v119
	v_dual_mov_b32 v45, v3 :: v_dual_lshrrev_b32 v15, 24, v119
	s_delay_alu instid0(VALU_DEP_1) | instskip(NEXT) | instid1(VALU_DEP_2)
	v_cmp_gt_u64_e32 vcc_lo, 0x47600001, v[44:45]
	v_and_b32_e32 v15, 0x80, v15
                                        ; implicit-def: $vgpr45
	s_and_saveexec_b32 s13, vcc_lo
	s_delay_alu instid0(SALU_CYCLE_1)
	s_xor_b32 s72, exec_lo, s13
	s_cbranch_execz .LBB2_5126
; %bb.5113:                             ;   in Loop: Header=BB2_4871 Depth=3
	v_mov_b32_e32 v45, 0
	s_mov_b32 s73, exec_lo
	v_cmpx_ne_u32_e32 0, v119
	s_cbranch_execz .LBB2_5125
; %bb.5114:                             ;   in Loop: Header=BB2_4871 Depth=3
	v_bfe_u32 v119, v119, 23, 8
	v_or_b32_e32 v21, 0x800000, v2
	s_delay_alu instid0(VALU_DEP_2) | instskip(SKIP_1) | instid1(VALU_DEP_2)
	v_sub_nc_u32_e32 v20, 0x71, v119
	v_cmp_gt_u32_e32 vcc_lo, 0x72, v119
	v_cndmask_b32_e32 v20, 0, v20, vcc_lo
	v_cmp_eq_u32_e32 vcc_lo, 0, v119
	v_cndmask_b32_e32 v2, v21, v2, vcc_lo
	s_delay_alu instid0(VALU_DEP_3) | instskip(NEXT) | instid1(VALU_DEP_1)
	v_cndmask_b32_e64 v41, v20, 0x70, vcc_lo
	v_add_nc_u32_e32 v20, 21, v41
	s_delay_alu instid0(VALU_DEP_1) | instskip(SKIP_1) | instid1(VALU_DEP_1)
	v_lshlrev_b64_e64 v[44:45], v20, -1
	v_add_nc_u32_e32 v20, 20, v41
	v_lshlrev_b64_e64 v[46:47], v20, 1
	s_delay_alu instid0(VALU_DEP_3) | instskip(NEXT) | instid1(VALU_DEP_4)
	v_bfi_b32 v59, v45, 0, 0
	v_bfi_b32 v58, v44, 0, v2
	v_lshrrev_b64 v[44:45], v41, v[2:3]
	s_delay_alu instid0(VALU_DEP_2) | instskip(NEXT) | instid1(VALU_DEP_2)
	v_cmp_eq_u64_e64 s13, v[58:59], v[46:47]
	v_mov_b64_e32 v[46:47], v[44:45]
	s_and_saveexec_b32 s74, s13
; %bb.5115:                             ;   in Loop: Header=BB2_4871 Depth=3
	v_bfe_u32 v2, v44, 21, 1
	s_delay_alu instid0(VALU_DEP_1) | instskip(NEXT) | instid1(VALU_DEP_1)
	v_add_nc_u64_e32 v[46:47], v[44:45], v[2:3]
	v_add_nc_u64_e32 v[46:47], -1, v[46:47]
; %bb.5116:                             ;   in Loop: Header=BB2_4871 Depth=3
	s_or_b32 exec_lo, exec_lo, s74
	v_add_nc_u32_e32 v2, 0xffffff81, v119
	v_lshrrev_b32_e32 v20, 23, v44
	s_mov_b32 s13, exec_lo
                                        ; implicit-def: $vgpr119
	s_delay_alu instid0(VALU_DEP_2) | instskip(NEXT) | instid1(VALU_DEP_1)
	v_cndmask_b32_e64 v2, v2, 0xffffff82, vcc_lo
	v_add3_u32 v41, v41, v2, v20
	v_and_b32_e32 v2, 0x1fffff, v46
	s_delay_alu instid0(VALU_DEP_1) | instskip(NEXT) | instid1(VALU_DEP_1)
	v_dual_add_nc_u32 v43, 14, v41 :: v_dual_add_nc_u32 v2, v2, v44
                                        ; implicit-def: $vgpr44_vgpr45
	v_cmpx_ne_u32_e32 0, v43
	s_xor_b32 s13, exec_lo, s13
; %bb.5117:                             ;   in Loop: Header=BB2_4871 Depth=3
	s_delay_alu instid0(VALU_DEP_2) | instskip(SKIP_1) | instid1(VALU_DEP_1)
	v_cmp_lt_u64_e32 vcc_lo, 0xffffff, v[2:3]
	v_add_nc_u32_e32 v20, 15, v41
	v_cndmask_b32_e32 v119, v43, v20, vcc_lo
	v_cndmask_b32_e64 v20, 0, 1, vcc_lo
	s_delay_alu instid0(VALU_DEP_1)
	v_lshrrev_b64 v[44:45], v20, v[2:3]
; %bb.5118:                             ;   in Loop: Header=BB2_4871 Depth=3
	s_and_not1_saveexec_b32 s13, s13
; %bb.5119:                             ;   in Loop: Header=BB2_4871 Depth=3
	v_mov_b64_e32 v[44:45], v[2:3]
	v_bfe_u32 v119, v2, 23, 1
; %bb.5120:                             ;   in Loop: Header=BB2_4871 Depth=3
	s_or_b32 exec_lo, exec_lo, s13
	s_delay_alu instid0(VALU_DEP_2) | instskip(NEXT) | instid1(VALU_DEP_2)
	v_lshrrev_b64 v[44:45], 21, v[44:45]
	v_cmp_gt_i32_e32 vcc_lo, 32, v119
	v_cmp_ne_u32_e64 s13, 0, v119
	s_delay_alu instid0(VALU_DEP_3) | instskip(NEXT) | instid1(VALU_DEP_1)
	v_dual_cndmask_b32 v45, 0, v45 :: v_dual_cndmask_b32 v44, 3, v44
	v_cmp_ne_u64_e32 vcc_lo, 0, v[44:45]
                                        ; implicit-def: $vgpr45
	s_or_b32 s13, s13, vcc_lo
	s_delay_alu instid0(SALU_CYCLE_1) | instskip(NEXT) | instid1(SALU_CYCLE_1)
	s_and_saveexec_b32 s74, s13
	s_xor_b32 s13, exec_lo, s74
; %bb.5121:                             ;   in Loop: Header=BB2_4871 Depth=3
	v_min_i32_e32 v2, 31, v119
	s_delay_alu instid0(VALU_DEP_1) | instskip(NEXT) | instid1(VALU_DEP_1)
	v_lshl_or_b32 v2, v2, 2, v15
                                        ; implicit-def: $vgpr15
	v_and_or_b32 v45, v44, 3, v2
; %bb.5122:                             ;   in Loop: Header=BB2_4871 Depth=3
	s_and_not1_saveexec_b32 s13, s13
; %bb.5123:                             ;   in Loop: Header=BB2_4871 Depth=3
	v_mov_b32_e32 v45, v15
; %bb.5124:                             ;   in Loop: Header=BB2_4871 Depth=3
	s_or_b32 exec_lo, exec_lo, s13
.LBB2_5125:                             ;   in Loop: Header=BB2_4871 Depth=3
	s_delay_alu instid0(SALU_CYCLE_1)
	s_or_b32 exec_lo, exec_lo, s73
                                        ; implicit-def: $vgpr15
.LBB2_5126:                             ;   in Loop: Header=BB2_4871 Depth=3
	s_and_not1_saveexec_b32 s13, s72
; %bb.5127:                             ;   in Loop: Header=BB2_4871 Depth=3
	v_or_b32_e32 v45, 0x7b, v15
; %bb.5128:                             ;   in Loop: Header=BB2_4871 Depth=3
	s_or_b32 exec_lo, exec_lo, s13
                                        ; implicit-def: $vgpr119
.LBB2_5129:                             ;   in Loop: Header=BB2_4871 Depth=3
	s_and_not1_saveexec_b32 s13, s43
	s_cbranch_execz .LBB2_5135
; %bb.5130:                             ;   in Loop: Header=BB2_4871 Depth=3
	s_mov_b32 s43, exec_lo
                                        ; implicit-def: $vgpr45
	v_cmpx_ne_u64_e32 0, v[2:3]
	s_xor_b32 s43, exec_lo, s43
; %bb.5131:                             ;   in Loop: Header=BB2_4871 Depth=3
	v_lshrrev_b32_e32 v2, 24, v119
                                        ; implicit-def: $vgpr119
	s_delay_alu instid0(VALU_DEP_1)
	v_or_b32_e32 v45, 0x7f, v2
; %bb.5132:                             ;   in Loop: Header=BB2_4871 Depth=3
	s_and_not1_saveexec_b32 s43, s43
; %bb.5133:                             ;   in Loop: Header=BB2_4871 Depth=3
	v_cmp_lt_i32_e32 vcc_lo, -1, v119
	v_cndmask_b32_e64 v45, -4, 0x7c, vcc_lo
; %bb.5134:                             ;   in Loop: Header=BB2_4871 Depth=3
	s_or_b32 exec_lo, exec_lo, s43
.LBB2_5135:                             ;   in Loop: Header=BB2_4871 Depth=3
	s_delay_alu instid0(SALU_CYCLE_1)
	s_or_b32 exec_lo, exec_lo, s13
	v_dual_mov_b32 v2, 0 :: v_dual_mov_b32 v15, 0
	s_mov_b32 s13, exec_lo
	v_cmpx_ne_u16_e32 0, v42
	s_cbranch_execz .LBB2_5145
; %bb.5136:                             ;   in Loop: Header=BB2_4871 Depth=3
	v_bfrev_b32_e32 v15, 1
	s_mov_b32 s43, exec_lo
	v_cmpx_ne_u16_e32 0xff80, v42
	s_cbranch_execz .LBB2_5144
; %bb.5137:                             ;   in Loop: Header=BB2_4871 Depth=3
	v_and_b32_e32 v15, 0x7c, v42
	v_and_b32_e32 v119, 3, v42
	s_delay_alu instid0(VALU_DEP_2) | instskip(SKIP_1) | instid1(SALU_CYCLE_1)
	v_cmp_ne_u32_e32 vcc_lo, 0x7c, v15
                                        ; implicit-def: $vgpr15
	s_and_saveexec_b32 s72, vcc_lo
	s_xor_b32 s72, exec_lo, s72
	s_cbranch_execz .LBB2_5141
; %bb.5138:                             ;   in Loop: Header=BB2_4871 Depth=3
	v_and_b32_e32 v15, 0xff, v42
	s_mov_b32 s73, exec_lo
	s_delay_alu instid0(VALU_DEP_1) | instskip(NEXT) | instid1(VALU_DEP_1)
	v_bfe_u32 v15, v15, 2, 5
	v_cmpx_eq_u32_e32 0, v15
	s_cbranch_execz .LBB2_5140
; %bb.5139:                             ;   in Loop: Header=BB2_4871 Depth=3
	v_clz_i32_u32_e32 v15, v119
	s_delay_alu instid0(VALU_DEP_1) | instskip(SKIP_1) | instid1(VALU_DEP_2)
	v_min_u32_e32 v15, 32, v15
	v_mov_b32_e32 v43, v3
	v_subrev_nc_u32_e32 v20, 29, v15
	v_sub_nc_u32_e32 v15, 30, v15
	s_delay_alu instid0(VALU_DEP_2) | instskip(NEXT) | instid1(VALU_DEP_1)
	v_lshlrev_b64_e32 v[46:47], v20, v[42:43]
	v_and_b32_e32 v119, 3, v46
.LBB2_5140:                             ;   in Loop: Header=BB2_4871 Depth=3
	s_or_b32 exec_lo, exec_lo, s73
	v_bfe_i32 v20, v42, 0, 16
                                        ; implicit-def: $vgpr42
	s_delay_alu instid0(VALU_DEP_1) | instskip(NEXT) | instid1(VALU_DEP_1)
	v_and_b32_e32 v20, 0x80000000, v20
	v_lshl_add_u32 v15, v15, 23, v20
	s_delay_alu instid0(VALU_DEP_1) | instskip(NEXT) | instid1(VALU_DEP_1)
	v_lshl_or_b32 v15, v119, 21, v15
                                        ; implicit-def: $vgpr119
	v_add_nc_u32_e32 v15, 0x38000000, v15
.LBB2_5141:                             ;   in Loop: Header=BB2_4871 Depth=3
	s_and_not1_saveexec_b32 s72, s72
; %bb.5142:                             ;   in Loop: Header=BB2_4871 Depth=3
	v_cmp_lt_i16_e32 vcc_lo, -1, v42
	v_cndmask_b32_e32 v15, 0xff800000, v109, vcc_lo
	v_cmp_eq_u32_e32 vcc_lo, 0, v119
	s_delay_alu instid0(VALU_DEP_2)
	v_cndmask_b32_e32 v15, 0x7f800001, v15, vcc_lo
; %bb.5143:                             ;   in Loop: Header=BB2_4871 Depth=3
	s_or_b32 exec_lo, exec_lo, s72
.LBB2_5144:                             ;   in Loop: Header=BB2_4871 Depth=3
	s_delay_alu instid0(SALU_CYCLE_1)
	s_or_b32 exec_lo, exec_lo, s43
.LBB2_5145:                             ;   in Loop: Header=BB2_4871 Depth=3
	s_delay_alu instid0(SALU_CYCLE_1) | instskip(NEXT) | instid1(SALU_CYCLE_1)
	s_or_b32 exec_lo, exec_lo, s13
	s_mov_b32 s13, exec_lo
	s_wait_loadcnt_dscnt 0x101
	v_cmpx_ne_u16_e32 0, v40
	s_cbranch_execz .LBB2_5155
; %bb.5146:                             ;   in Loop: Header=BB2_4871 Depth=3
	v_bfrev_b32_e32 v2, 1
	s_mov_b32 s43, exec_lo
	v_cmpx_ne_u16_e32 0xff80, v40
	s_cbranch_execz .LBB2_5154
; %bb.5147:                             ;   in Loop: Header=BB2_4871 Depth=3
	v_and_b32_e32 v2, 0x7c, v40
	v_and_b32_e32 v119, 3, v40
	s_delay_alu instid0(VALU_DEP_2) | instskip(SKIP_1) | instid1(SALU_CYCLE_1)
	v_cmp_ne_u32_e32 vcc_lo, 0x7c, v2
                                        ; implicit-def: $vgpr2
	s_and_saveexec_b32 s72, vcc_lo
	s_xor_b32 s72, exec_lo, s72
	s_cbranch_execz .LBB2_5151
; %bb.5148:                             ;   in Loop: Header=BB2_4871 Depth=3
	v_and_b32_e32 v2, 0xff, v40
	s_mov_b32 s73, exec_lo
	s_delay_alu instid0(VALU_DEP_1) | instskip(NEXT) | instid1(VALU_DEP_1)
	v_bfe_u32 v2, v2, 2, 5
	v_cmpx_eq_u32_e32 0, v2
	s_cbranch_execz .LBB2_5150
; %bb.5149:                             ;   in Loop: Header=BB2_4871 Depth=3
	v_clz_i32_u32_e32 v2, v119
	s_delay_alu instid0(VALU_DEP_1) | instskip(SKIP_1) | instid1(VALU_DEP_2)
	v_min_u32_e32 v2, 32, v2
	v_mov_b32_e32 v41, v3
	v_subrev_nc_u32_e32 v20, 29, v2
	v_sub_nc_u32_e32 v2, 30, v2
	s_delay_alu instid0(VALU_DEP_2) | instskip(NEXT) | instid1(VALU_DEP_1)
	v_lshlrev_b64_e32 v[42:43], v20, v[40:41]
	v_and_b32_e32 v119, 3, v42
.LBB2_5150:                             ;   in Loop: Header=BB2_4871 Depth=3
	s_or_b32 exec_lo, exec_lo, s73
	v_bfe_i32 v20, v40, 0, 16
                                        ; implicit-def: $vgpr40
	s_delay_alu instid0(VALU_DEP_1) | instskip(NEXT) | instid1(VALU_DEP_1)
	v_and_b32_e32 v20, 0x80000000, v20
	v_lshl_add_u32 v2, v2, 23, v20
	s_delay_alu instid0(VALU_DEP_1) | instskip(NEXT) | instid1(VALU_DEP_1)
	v_lshl_or_b32 v2, v119, 21, v2
                                        ; implicit-def: $vgpr119
	v_add_nc_u32_e32 v2, 0x38000000, v2
.LBB2_5151:                             ;   in Loop: Header=BB2_4871 Depth=3
	s_and_not1_saveexec_b32 s72, s72
; %bb.5152:                             ;   in Loop: Header=BB2_4871 Depth=3
	v_cmp_lt_i16_e32 vcc_lo, -1, v40
	v_cndmask_b32_e32 v2, 0xff800000, v109, vcc_lo
	v_cmp_eq_u32_e32 vcc_lo, 0, v119
	s_delay_alu instid0(VALU_DEP_2)
	v_cndmask_b32_e32 v2, 0x7f800001, v2, vcc_lo
; %bb.5153:                             ;   in Loop: Header=BB2_4871 Depth=3
	s_or_b32 exec_lo, exec_lo, s72
.LBB2_5154:                             ;   in Loop: Header=BB2_4871 Depth=3
	s_delay_alu instid0(SALU_CYCLE_1)
	s_or_b32 exec_lo, exec_lo, s43
.LBB2_5155:                             ;   in Loop: Header=BB2_4871 Depth=3
	s_delay_alu instid0(SALU_CYCLE_1) | instskip(NEXT) | instid1(VALU_DEP_1)
	s_or_b32 exec_lo, exec_lo, s13
	v_mul_f32_e32 v119, v15, v2
	v_mov_b32_e32 v41, v3
	s_delay_alu instid0(VALU_DEP_2) | instskip(SKIP_1) | instid1(VALU_DEP_2)
	v_and_b32_e32 v40, 0x7f800000, v119
	v_and_b32_e32 v2, 0x7fffff, v119
	v_cmp_ne_u64_e32 vcc_lo, 0x7f800000, v[40:41]
                                        ; implicit-def: $vgpr41
	s_and_saveexec_b32 s13, vcc_lo
	s_delay_alu instid0(SALU_CYCLE_1)
	s_xor_b32 s43, exec_lo, s13
	s_cbranch_execz .LBB2_5173
; %bb.5156:                             ;   in Loop: Header=BB2_4871 Depth=3
	v_and_b32_e32 v40, 0x7fffffff, v119
	v_dual_mov_b32 v41, v3 :: v_dual_lshrrev_b32 v15, 24, v119
	s_delay_alu instid0(VALU_DEP_1) | instskip(NEXT) | instid1(VALU_DEP_2)
	v_cmp_gt_u64_e32 vcc_lo, 0x47600001, v[40:41]
	v_and_b32_e32 v15, 0x80, v15
                                        ; implicit-def: $vgpr41
	s_and_saveexec_b32 s13, vcc_lo
	s_delay_alu instid0(SALU_CYCLE_1)
	s_xor_b32 s72, exec_lo, s13
	s_cbranch_execz .LBB2_5170
; %bb.5157:                             ;   in Loop: Header=BB2_4871 Depth=3
	v_mov_b32_e32 v41, 0
	s_mov_b32 s73, exec_lo
	v_cmpx_ne_u32_e32 0, v119
	s_cbranch_execz .LBB2_5169
; %bb.5158:                             ;   in Loop: Header=BB2_4871 Depth=3
	v_bfe_u32 v119, v119, 23, 8
	v_or_b32_e32 v21, 0x800000, v2
	s_delay_alu instid0(VALU_DEP_2) | instskip(SKIP_1) | instid1(VALU_DEP_2)
	v_sub_nc_u32_e32 v20, 0x71, v119
	v_cmp_gt_u32_e32 vcc_lo, 0x72, v119
	v_cndmask_b32_e32 v20, 0, v20, vcc_lo
	v_cmp_eq_u32_e32 vcc_lo, 0, v119
	v_cndmask_b32_e32 v2, v21, v2, vcc_lo
	s_delay_alu instid0(VALU_DEP_3) | instskip(NEXT) | instid1(VALU_DEP_1)
	v_cndmask_b32_e64 v44, v20, 0x70, vcc_lo
	v_add_nc_u32_e32 v20, 21, v44
	s_delay_alu instid0(VALU_DEP_1) | instskip(SKIP_1) | instid1(VALU_DEP_1)
	v_lshlrev_b64_e64 v[40:41], v20, -1
	v_add_nc_u32_e32 v20, 20, v44
	v_lshlrev_b64_e64 v[42:43], v20, 1
	s_delay_alu instid0(VALU_DEP_3) | instskip(NEXT) | instid1(VALU_DEP_4)
	v_bfi_b32 v47, v41, 0, 0
	v_bfi_b32 v46, v40, 0, v2
	v_lshrrev_b64 v[40:41], v44, v[2:3]
	s_delay_alu instid0(VALU_DEP_2) | instskip(NEXT) | instid1(VALU_DEP_2)
	v_cmp_eq_u64_e64 s13, v[46:47], v[42:43]
	v_mov_b64_e32 v[42:43], v[40:41]
	s_and_saveexec_b32 s74, s13
; %bb.5159:                             ;   in Loop: Header=BB2_4871 Depth=3
	v_bfe_u32 v2, v40, 21, 1
	s_delay_alu instid0(VALU_DEP_1) | instskip(NEXT) | instid1(VALU_DEP_1)
	v_add_nc_u64_e32 v[42:43], v[40:41], v[2:3]
	v_add_nc_u64_e32 v[42:43], -1, v[42:43]
; %bb.5160:                             ;   in Loop: Header=BB2_4871 Depth=3
	s_or_b32 exec_lo, exec_lo, s74
	v_add_nc_u32_e32 v2, 0xffffff81, v119
	v_lshrrev_b32_e32 v20, 23, v40
	s_mov_b32 s13, exec_lo
                                        ; implicit-def: $vgpr119
	s_delay_alu instid0(VALU_DEP_2) | instskip(NEXT) | instid1(VALU_DEP_1)
	v_cndmask_b32_e64 v2, v2, 0xffffff82, vcc_lo
	v_add3_u32 v43, v44, v2, v20
	v_and_b32_e32 v2, 0x1fffff, v42
	s_delay_alu instid0(VALU_DEP_1) | instskip(NEXT) | instid1(VALU_DEP_1)
	v_dual_add_nc_u32 v42, 14, v43 :: v_dual_add_nc_u32 v2, v2, v40
                                        ; implicit-def: $vgpr40_vgpr41
	v_cmpx_ne_u32_e32 0, v42
	s_xor_b32 s13, exec_lo, s13
; %bb.5161:                             ;   in Loop: Header=BB2_4871 Depth=3
	s_delay_alu instid0(VALU_DEP_2) | instskip(SKIP_1) | instid1(VALU_DEP_1)
	v_cmp_lt_u64_e32 vcc_lo, 0xffffff, v[2:3]
	v_add_nc_u32_e32 v20, 15, v43
	v_cndmask_b32_e32 v119, v42, v20, vcc_lo
	v_cndmask_b32_e64 v20, 0, 1, vcc_lo
	s_delay_alu instid0(VALU_DEP_1)
	v_lshrrev_b64 v[40:41], v20, v[2:3]
; %bb.5162:                             ;   in Loop: Header=BB2_4871 Depth=3
	s_and_not1_saveexec_b32 s13, s13
; %bb.5163:                             ;   in Loop: Header=BB2_4871 Depth=3
	v_mov_b64_e32 v[40:41], v[2:3]
	v_bfe_u32 v119, v2, 23, 1
; %bb.5164:                             ;   in Loop: Header=BB2_4871 Depth=3
	s_or_b32 exec_lo, exec_lo, s13
	s_delay_alu instid0(VALU_DEP_2) | instskip(NEXT) | instid1(VALU_DEP_2)
	v_lshrrev_b64 v[40:41], 21, v[40:41]
	v_cmp_gt_i32_e32 vcc_lo, 32, v119
	v_cmp_ne_u32_e64 s13, 0, v119
	s_delay_alu instid0(VALU_DEP_3) | instskip(NEXT) | instid1(VALU_DEP_1)
	v_dual_cndmask_b32 v41, 0, v41 :: v_dual_cndmask_b32 v40, 3, v40
	v_cmp_ne_u64_e32 vcc_lo, 0, v[40:41]
                                        ; implicit-def: $vgpr41
	s_or_b32 s13, s13, vcc_lo
	s_delay_alu instid0(SALU_CYCLE_1) | instskip(NEXT) | instid1(SALU_CYCLE_1)
	s_and_saveexec_b32 s74, s13
	s_xor_b32 s13, exec_lo, s74
; %bb.5165:                             ;   in Loop: Header=BB2_4871 Depth=3
	v_min_i32_e32 v2, 31, v119
	s_delay_alu instid0(VALU_DEP_1) | instskip(NEXT) | instid1(VALU_DEP_1)
	v_lshl_or_b32 v2, v2, 2, v15
                                        ; implicit-def: $vgpr15
	v_and_or_b32 v41, v40, 3, v2
; %bb.5166:                             ;   in Loop: Header=BB2_4871 Depth=3
	s_and_not1_saveexec_b32 s13, s13
; %bb.5167:                             ;   in Loop: Header=BB2_4871 Depth=3
	v_mov_b32_e32 v41, v15
; %bb.5168:                             ;   in Loop: Header=BB2_4871 Depth=3
	s_or_b32 exec_lo, exec_lo, s13
.LBB2_5169:                             ;   in Loop: Header=BB2_4871 Depth=3
	s_delay_alu instid0(SALU_CYCLE_1)
	s_or_b32 exec_lo, exec_lo, s73
                                        ; implicit-def: $vgpr15
.LBB2_5170:                             ;   in Loop: Header=BB2_4871 Depth=3
	s_and_not1_saveexec_b32 s13, s72
; %bb.5171:                             ;   in Loop: Header=BB2_4871 Depth=3
	v_or_b32_e32 v41, 0x7b, v15
; %bb.5172:                             ;   in Loop: Header=BB2_4871 Depth=3
	s_or_b32 exec_lo, exec_lo, s13
                                        ; implicit-def: $vgpr119
.LBB2_5173:                             ;   in Loop: Header=BB2_4871 Depth=3
	s_and_not1_saveexec_b32 s13, s43
	s_cbranch_execz .LBB2_5179
; %bb.5174:                             ;   in Loop: Header=BB2_4871 Depth=3
	s_mov_b32 s43, exec_lo
                                        ; implicit-def: $vgpr41
	v_cmpx_ne_u64_e32 0, v[2:3]
	s_xor_b32 s43, exec_lo, s43
; %bb.5175:                             ;   in Loop: Header=BB2_4871 Depth=3
	v_lshrrev_b32_e32 v2, 24, v119
                                        ; implicit-def: $vgpr119
	s_delay_alu instid0(VALU_DEP_1)
	v_or_b32_e32 v41, 0x7f, v2
; %bb.5176:                             ;   in Loop: Header=BB2_4871 Depth=3
	s_and_not1_saveexec_b32 s43, s43
; %bb.5177:                             ;   in Loop: Header=BB2_4871 Depth=3
	v_cmp_lt_i32_e32 vcc_lo, -1, v119
	v_cndmask_b32_e64 v41, -4, 0x7c, vcc_lo
; %bb.5178:                             ;   in Loop: Header=BB2_4871 Depth=3
	s_or_b32 exec_lo, exec_lo, s43
.LBB2_5179:                             ;   in Loop: Header=BB2_4871 Depth=3
	s_delay_alu instid0(SALU_CYCLE_1)
	s_or_b32 exec_lo, exec_lo, s13
	v_dual_mov_b32 v2, 0 :: v_dual_mov_b32 v119, 0
	s_mov_b32 s13, exec_lo
	v_cmpx_ne_u16_e32 0, v118
	s_cbranch_execz .LBB2_5189
; %bb.5180:                             ;   in Loop: Header=BB2_4871 Depth=3
	v_bfrev_b32_e32 v119, 1
	s_mov_b32 s43, exec_lo
	v_cmpx_ne_u16_e32 0xff80, v118
	s_cbranch_execz .LBB2_5188
; %bb.5181:                             ;   in Loop: Header=BB2_4871 Depth=3
	v_and_b32_e32 v20, 0x7c, v118
	v_and_b32_e32 v15, 3, v118
	s_mov_b32 s72, exec_lo
                                        ; implicit-def: $vgpr119
	s_delay_alu instid0(VALU_DEP_2)
	v_cmpx_ne_u32_e32 0x7c, v20
	s_xor_b32 s72, exec_lo, s72
	s_cbranch_execz .LBB2_5185
; %bb.5182:                             ;   in Loop: Header=BB2_4871 Depth=3
	v_and_b32_e32 v20, 0xff, v118
	s_mov_b32 s73, exec_lo
	s_delay_alu instid0(VALU_DEP_1) | instskip(NEXT) | instid1(VALU_DEP_1)
	v_bfe_u32 v119, v20, 2, 5
	v_cmpx_eq_u32_e32 0, v119
; %bb.5183:                             ;   in Loop: Header=BB2_4871 Depth=3
	v_clz_i32_u32_e32 v15, v15
	v_mov_b32_e32 v119, v3
	s_delay_alu instid0(VALU_DEP_2) | instskip(NEXT) | instid1(VALU_DEP_1)
	v_min_u32_e32 v15, 32, v15
	v_subrev_nc_u32_e32 v20, 29, v15
	s_delay_alu instid0(VALU_DEP_1) | instskip(NEXT) | instid1(VALU_DEP_1)
	v_lshlrev_b64_e32 v[42:43], v20, v[118:119]
	v_dual_sub_nc_u32 v119, 30, v15 :: v_dual_bitop2_b32 v15, 3, v42 bitop3:0x40
; %bb.5184:                             ;   in Loop: Header=BB2_4871 Depth=3
	s_or_b32 exec_lo, exec_lo, s73
	v_bfe_i32 v20, v118, 0, 16
                                        ; implicit-def: $vgpr118
	s_delay_alu instid0(VALU_DEP_1) | instskip(NEXT) | instid1(VALU_DEP_1)
	v_and_b32_e32 v20, 0x80000000, v20
	v_lshl_add_u32 v20, v119, 23, v20
	s_delay_alu instid0(VALU_DEP_1) | instskip(NEXT) | instid1(VALU_DEP_1)
	v_lshl_or_b32 v15, v15, 21, v20
	v_add_nc_u32_e32 v119, 0x38000000, v15
                                        ; implicit-def: $vgpr15
.LBB2_5185:                             ;   in Loop: Header=BB2_4871 Depth=3
	s_and_not1_saveexec_b32 s72, s72
; %bb.5186:                             ;   in Loop: Header=BB2_4871 Depth=3
	v_cmp_lt_i16_e32 vcc_lo, -1, v118
	v_cndmask_b32_e32 v20, 0xff800000, v109, vcc_lo
	v_cmp_eq_u32_e32 vcc_lo, 0, v15
	s_delay_alu instid0(VALU_DEP_2)
	v_cndmask_b32_e32 v119, 0x7f800001, v20, vcc_lo
; %bb.5187:                             ;   in Loop: Header=BB2_4871 Depth=3
	s_or_b32 exec_lo, exec_lo, s72
.LBB2_5188:                             ;   in Loop: Header=BB2_4871 Depth=3
	s_delay_alu instid0(SALU_CYCLE_1)
	s_or_b32 exec_lo, exec_lo, s43
.LBB2_5189:                             ;   in Loop: Header=BB2_4871 Depth=3
	s_delay_alu instid0(SALU_CYCLE_1) | instskip(NEXT) | instid1(SALU_CYCLE_1)
	s_or_b32 exec_lo, exec_lo, s13
	s_mov_b32 s13, exec_lo
	s_wait_loadcnt_dscnt 0x0
	v_cmpx_ne_u16_e32 0, v14
	s_cbranch_execz .LBB2_5199
; %bb.5190:                             ;   in Loop: Header=BB2_4871 Depth=3
	v_bfrev_b32_e32 v2, 1
	s_mov_b32 s43, exec_lo
	v_cmpx_ne_u16_e32 0xff80, v14
	s_cbranch_execz .LBB2_5198
; %bb.5191:                             ;   in Loop: Header=BB2_4871 Depth=3
	v_and_b32_e32 v2, 0x7c, v14
	v_and_b32_e32 v15, 3, v14
	s_delay_alu instid0(VALU_DEP_2) | instskip(SKIP_1) | instid1(SALU_CYCLE_1)
	v_cmp_ne_u32_e32 vcc_lo, 0x7c, v2
                                        ; implicit-def: $vgpr2
	s_and_saveexec_b32 s72, vcc_lo
	s_xor_b32 s72, exec_lo, s72
	s_cbranch_execz .LBB2_5195
; %bb.5192:                             ;   in Loop: Header=BB2_4871 Depth=3
	v_and_b32_e32 v2, 0xff, v14
	s_mov_b32 s73, exec_lo
	s_delay_alu instid0(VALU_DEP_1) | instskip(NEXT) | instid1(VALU_DEP_1)
	v_bfe_u32 v2, v2, 2, 5
	v_cmpx_eq_u32_e32 0, v2
	s_cbranch_execz .LBB2_5194
; %bb.5193:                             ;   in Loop: Header=BB2_4871 Depth=3
	v_clz_i32_u32_e32 v2, v15
	s_delay_alu instid0(VALU_DEP_1) | instskip(SKIP_1) | instid1(VALU_DEP_2)
	v_min_u32_e32 v2, 32, v2
	v_mov_b32_e32 v15, v3
	v_subrev_nc_u32_e32 v20, 29, v2
	v_sub_nc_u32_e32 v2, 30, v2
	s_delay_alu instid0(VALU_DEP_2) | instskip(NEXT) | instid1(VALU_DEP_1)
	v_lshlrev_b64_e32 v[42:43], v20, v[14:15]
	v_and_b32_e32 v15, 3, v42
.LBB2_5194:                             ;   in Loop: Header=BB2_4871 Depth=3
	s_or_b32 exec_lo, exec_lo, s73
	v_bfe_i32 v14, v14, 0, 16
	s_delay_alu instid0(VALU_DEP_1) | instskip(NEXT) | instid1(VALU_DEP_1)
	v_and_b32_e32 v14, 0x80000000, v14
	v_lshl_add_u32 v2, v2, 23, v14
                                        ; implicit-def: $vgpr14
	s_delay_alu instid0(VALU_DEP_1) | instskip(NEXT) | instid1(VALU_DEP_1)
	v_lshl_or_b32 v2, v15, 21, v2
                                        ; implicit-def: $vgpr15
	v_add_nc_u32_e32 v2, 0x38000000, v2
.LBB2_5195:                             ;   in Loop: Header=BB2_4871 Depth=3
	s_and_not1_saveexec_b32 s72, s72
; %bb.5196:                             ;   in Loop: Header=BB2_4871 Depth=3
	v_cmp_lt_i16_e32 vcc_lo, -1, v14
	v_cndmask_b32_e32 v2, 0xff800000, v109, vcc_lo
	v_cmp_eq_u32_e32 vcc_lo, 0, v15
	s_delay_alu instid0(VALU_DEP_2)
	v_cndmask_b32_e32 v2, 0x7f800001, v2, vcc_lo
; %bb.5197:                             ;   in Loop: Header=BB2_4871 Depth=3
	s_or_b32 exec_lo, exec_lo, s72
.LBB2_5198:                             ;   in Loop: Header=BB2_4871 Depth=3
	s_delay_alu instid0(SALU_CYCLE_1)
	s_or_b32 exec_lo, exec_lo, s43
.LBB2_5199:                             ;   in Loop: Header=BB2_4871 Depth=3
	s_delay_alu instid0(SALU_CYCLE_1) | instskip(NEXT) | instid1(VALU_DEP_1)
	s_or_b32 exec_lo, exec_lo, s13
	v_mul_f32_e32 v14, v119, v2
	v_mov_b32_e32 v119, v3
                                        ; implicit-def: $vgpr15
	s_mov_b32 s13, exec_lo
	s_delay_alu instid0(VALU_DEP_2) | instskip(SKIP_1) | instid1(VALU_DEP_2)
	v_and_b32_e32 v118, 0x7f800000, v14
	v_and_b32_e32 v2, 0x7fffff, v14
	v_cmpx_ne_u64_e32 0x7f800000, v[118:119]
	s_xor_b32 s43, exec_lo, s13
	s_cbranch_execz .LBB2_5217
; %bb.5200:                             ;   in Loop: Header=BB2_4871 Depth=3
	v_dual_mov_b32 v119, v3 :: v_dual_lshrrev_b32 v15, 24, v14
	v_and_b32_e32 v118, 0x7fffffff, v14
	s_mov_b32 s13, exec_lo
	s_delay_alu instid0(VALU_DEP_2) | instskip(NEXT) | instid1(VALU_DEP_2)
	v_and_b32_e32 v40, 0x80, v15
                                        ; implicit-def: $vgpr15
	v_cmpx_gt_u64_e32 0x47600001, v[118:119]
	s_xor_b32 s72, exec_lo, s13
	s_cbranch_execz .LBB2_5214
; %bb.5201:                             ;   in Loop: Header=BB2_4871 Depth=3
	v_mov_b32_e32 v15, 0
	s_mov_b32 s73, exec_lo
	v_cmpx_ne_u32_e32 0, v14
	s_cbranch_execz .LBB2_5213
; %bb.5202:                             ;   in Loop: Header=BB2_4871 Depth=3
	v_bfe_u32 v42, v14, 23, 8
	v_or_b32_e32 v20, 0x800000, v2
	s_delay_alu instid0(VALU_DEP_2) | instskip(SKIP_1) | instid1(VALU_DEP_2)
	v_sub_nc_u32_e32 v14, 0x71, v42
	v_cmp_gt_u32_e32 vcc_lo, 0x72, v42
	v_cndmask_b32_e32 v14, 0, v14, vcc_lo
	v_cmp_eq_u32_e32 vcc_lo, 0, v42
	s_delay_alu instid0(VALU_DEP_2) | instskip(NEXT) | instid1(VALU_DEP_1)
	v_cndmask_b32_e64 v43, v14, 0x70, vcc_lo
	v_dual_cndmask_b32 v2, v20, v2, vcc_lo :: v_dual_add_nc_u32 v14, 21, v43
	v_add_nc_u32_e32 v21, 20, v43
	s_delay_alu instid0(VALU_DEP_2) | instskip(NEXT) | instid1(VALU_DEP_2)
	v_lshlrev_b64_e64 v[14:15], v14, -1
	v_lshlrev_b64_e64 v[118:119], v21, 1
	s_delay_alu instid0(VALU_DEP_2) | instskip(NEXT) | instid1(VALU_DEP_3)
	v_bfi_b32 v47, v15, 0, 0
	v_bfi_b32 v46, v14, 0, v2
	v_lshrrev_b64 v[14:15], v43, v[2:3]
	s_delay_alu instid0(VALU_DEP_2) | instskip(NEXT) | instid1(VALU_DEP_2)
	v_cmp_eq_u64_e64 s13, v[46:47], v[118:119]
	v_mov_b64_e32 v[118:119], v[14:15]
	s_and_saveexec_b32 s74, s13
; %bb.5203:                             ;   in Loop: Header=BB2_4871 Depth=3
	v_bfe_u32 v2, v14, 21, 1
	s_delay_alu instid0(VALU_DEP_1) | instskip(NEXT) | instid1(VALU_DEP_1)
	v_add_nc_u64_e32 v[118:119], v[14:15], v[2:3]
	v_add_nc_u64_e32 v[118:119], -1, v[118:119]
; %bb.5204:                             ;   in Loop: Header=BB2_4871 Depth=3
	s_or_b32 exec_lo, exec_lo, s74
	v_add_nc_u32_e32 v2, 0xffffff81, v42
	v_lshrrev_b32_e32 v15, 23, v14
	s_mov_b32 s13, exec_lo
	s_delay_alu instid0(VALU_DEP_2) | instskip(NEXT) | instid1(VALU_DEP_1)
	v_cndmask_b32_e64 v2, v2, 0xffffff82, vcc_lo
	v_add3_u32 v119, v43, v2, v15
	v_and_b32_e32 v2, 0x1fffff, v118
                                        ; implicit-def: $vgpr118
	s_delay_alu instid0(VALU_DEP_1) | instskip(NEXT) | instid1(VALU_DEP_1)
	v_dual_add_nc_u32 v42, 14, v119 :: v_dual_add_nc_u32 v2, v2, v14
                                        ; implicit-def: $vgpr14_vgpr15
	v_cmpx_ne_u32_e32 0, v42
	s_xor_b32 s13, exec_lo, s13
; %bb.5205:                             ;   in Loop: Header=BB2_4871 Depth=3
	s_delay_alu instid0(VALU_DEP_2) | instskip(SKIP_1) | instid1(VALU_DEP_1)
	v_cmp_lt_u64_e32 vcc_lo, 0xffffff, v[2:3]
	v_add_nc_u32_e32 v14, 15, v119
	v_cndmask_b32_e32 v118, v42, v14, vcc_lo
	v_cndmask_b32_e64 v14, 0, 1, vcc_lo
	s_delay_alu instid0(VALU_DEP_1)
	v_lshrrev_b64 v[14:15], v14, v[2:3]
; %bb.5206:                             ;   in Loop: Header=BB2_4871 Depth=3
	s_and_not1_saveexec_b32 s13, s13
; %bb.5207:                             ;   in Loop: Header=BB2_4871 Depth=3
	v_mov_b64_e32 v[14:15], v[2:3]
	v_bfe_u32 v118, v2, 23, 1
; %bb.5208:                             ;   in Loop: Header=BB2_4871 Depth=3
	s_or_b32 exec_lo, exec_lo, s13
	s_delay_alu instid0(VALU_DEP_2) | instskip(NEXT) | instid1(VALU_DEP_2)
	v_lshrrev_b64 v[14:15], 21, v[14:15]
	v_cmp_gt_i32_e32 vcc_lo, 32, v118
	v_cmp_ne_u32_e64 s13, 0, v118
	s_delay_alu instid0(VALU_DEP_3) | instskip(NEXT) | instid1(VALU_DEP_1)
	v_dual_cndmask_b32 v15, 0, v15 :: v_dual_cndmask_b32 v14, 3, v14
	v_cmp_ne_u64_e32 vcc_lo, 0, v[14:15]
                                        ; implicit-def: $vgpr15
	s_or_b32 s13, s13, vcc_lo
	s_delay_alu instid0(SALU_CYCLE_1) | instskip(NEXT) | instid1(SALU_CYCLE_1)
	s_and_saveexec_b32 s74, s13
	s_xor_b32 s13, exec_lo, s74
; %bb.5209:                             ;   in Loop: Header=BB2_4871 Depth=3
	v_min_i32_e32 v2, 31, v118
	s_delay_alu instid0(VALU_DEP_1) | instskip(NEXT) | instid1(VALU_DEP_1)
	v_lshl_or_b32 v2, v2, 2, v40
                                        ; implicit-def: $vgpr40
	v_and_or_b32 v15, v14, 3, v2
; %bb.5210:                             ;   in Loop: Header=BB2_4871 Depth=3
	s_and_not1_saveexec_b32 s13, s13
; %bb.5211:                             ;   in Loop: Header=BB2_4871 Depth=3
	v_mov_b32_e32 v15, v40
; %bb.5212:                             ;   in Loop: Header=BB2_4871 Depth=3
	s_or_b32 exec_lo, exec_lo, s13
.LBB2_5213:                             ;   in Loop: Header=BB2_4871 Depth=3
	s_delay_alu instid0(SALU_CYCLE_1)
	s_or_b32 exec_lo, exec_lo, s73
                                        ; implicit-def: $vgpr40
.LBB2_5214:                             ;   in Loop: Header=BB2_4871 Depth=3
	s_and_not1_saveexec_b32 s13, s72
; %bb.5215:                             ;   in Loop: Header=BB2_4871 Depth=3
	v_or_b32_e32 v15, 0x7b, v40
; %bb.5216:                             ;   in Loop: Header=BB2_4871 Depth=3
	s_or_b32 exec_lo, exec_lo, s13
                                        ; implicit-def: $vgpr14
.LBB2_5217:                             ;   in Loop: Header=BB2_4871 Depth=3
	s_and_not1_saveexec_b32 s13, s43
	s_cbranch_execz .LBB2_4870
; %bb.5218:                             ;   in Loop: Header=BB2_4871 Depth=3
	s_mov_b32 s43, exec_lo
                                        ; implicit-def: $vgpr15
	v_cmpx_ne_u64_e32 0, v[2:3]
	s_xor_b32 s43, exec_lo, s43
; %bb.5219:                             ;   in Loop: Header=BB2_4871 Depth=3
	v_lshrrev_b32_e32 v2, 24, v14
                                        ; implicit-def: $vgpr14
	s_delay_alu instid0(VALU_DEP_1)
	v_or_b32_e32 v15, 0x7f, v2
; %bb.5220:                             ;   in Loop: Header=BB2_4871 Depth=3
	s_and_not1_saveexec_b32 s43, s43
	s_cbranch_execz .LBB2_4869
; %bb.5221:                             ;   in Loop: Header=BB2_4871 Depth=3
	v_cmp_lt_i32_e32 vcc_lo, -1, v14
	v_cndmask_b32_e64 v15, -4, 0x7c, vcc_lo
	s_branch .LBB2_4869
.LBB2_5222:                             ;   in Loop: Header=BB2_2043 Depth=2
	s_or_b32 exec_lo, exec_lo, s42
.LBB2_5223:                             ;   in Loop: Header=BB2_2043 Depth=2
	s_delay_alu instid0(SALU_CYCLE_1) | instskip(SKIP_1) | instid1(VALU_DEP_1)
	s_or_b32 exec_lo, exec_lo, s15
	v_lshlrev_b32_e32 v2, 8, v115
	v_cmp_ne_u32_e32 vcc_lo, v93, v2
	s_and_b32 exec_lo, exec_lo, vcc_lo
	s_cbranch_execz .LBB2_5271
; %bb.5224:                             ;   in Loop: Header=BB2_2043 Depth=2
	v_dual_add_nc_u32 v8, v94, v19 :: v_dual_lshlrev_b32 v9, 5, v18
	s_delay_alu instid0(VALU_DEP_1) | instskip(NEXT) | instid1(VALU_DEP_1)
	v_and_b32_e32 v8, 0xffffffe0, v8
	v_sub_nc_u32_e32 v8, v94, v8
	s_delay_alu instid0(VALU_DEP_1) | instskip(NEXT) | instid1(VALU_DEP_1)
	v_sub_nc_u32_e32 v8, v8, v9
	v_add_nc_u32_e32 v2, v2, v8
	s_delay_alu instid0(VALU_DEP_1) | instskip(NEXT) | instid1(VALU_DEP_1)
	v_sub_nc_u32_e32 v18, v93, v2
	v_cmp_lt_i32_e32 vcc_lo, 0, v18
	s_and_b32 exec_lo, exec_lo, vcc_lo
	s_cbranch_execz .LBB2_5271
; %bb.5225:                             ;   in Loop: Header=BB2_2043 Depth=2
	s_trap 2
	ds_load_b128 v[8:11], v0
	ds_load_b64 v[12:13], v0
	v_add_nc_u32_e32 v14, v2, v92
	s_mov_b32 s15, 0
	s_delay_alu instid0(VALU_DEP_1) | instskip(SKIP_1) | instid1(VALU_DEP_1)
	v_ashrrev_i32_e32 v15, 31, v14
	s_wait_dscnt 0x1
	v_add_nc_u64_e32 v[8:9], v[8:9], v[14:15]
	v_add_nc_u64_e32 v[10:11], v[10:11], v[14:15]
	s_wait_dscnt 0x0
	v_add_nc_u64_e32 v[12:13], v[12:13], v[14:15]
	s_branch .LBB2_5228
.LBB2_5226:                             ;   in Loop: Header=BB2_5228 Depth=3
	s_or_b32 exec_lo, exec_lo, s42
.LBB2_5227:                             ;   in Loop: Header=BB2_5228 Depth=3
	s_delay_alu instid0(SALU_CYCLE_1)
	s_or_b32 exec_lo, exec_lo, s13
	v_sub_nc_u32_e32 v18, v18, v38
	flat_store_b8 v[12:13], v15 th:TH_STORE_NT
	v_add_nc_u64_e32 v[8:9], v[8:9], v[38:39]
	v_add_nc_u64_e32 v[10:11], v[10:11], v[38:39]
	s_wait_xcnt 0x0
	v_add_nc_u64_e32 v[12:13], v[12:13], v[38:39]
	v_cmp_gt_i32_e32 vcc_lo, 1, v18
	s_or_b32 s15, vcc_lo, s15
	s_delay_alu instid0(SALU_CYCLE_1)
	s_and_not1_b32 exec_lo, exec_lo, s15
	s_cbranch_execz .LBB2_5271
.LBB2_5228:                             ;   Parent Loop BB2_47 Depth=1
                                        ;     Parent Loop BB2_2043 Depth=2
                                        ; =>    This Inner Loop Header: Depth=3
	flat_load_i8 v2, v[8:9] th:TH_LOAD_NT
	flat_load_i8 v14, v[10:11] th:TH_LOAD_NT
	v_dual_mov_b32 v15, 0 :: v_dual_mov_b32 v19, 0
	s_mov_b32 s13, exec_lo
	s_wait_loadcnt_dscnt 0x101
	s_wait_xcnt 0x0
	v_cmpx_ne_u16_e32 0, v2
	s_cbranch_execz .LBB2_5238
; %bb.5229:                             ;   in Loop: Header=BB2_5228 Depth=3
	v_bfrev_b32_e32 v19, 1
	s_mov_b32 s42, exec_lo
	v_cmpx_ne_u16_e32 0xff80, v2
	s_cbranch_execz .LBB2_5237
; %bb.5230:                             ;   in Loop: Header=BB2_5228 Depth=3
	v_and_b32_e32 v19, 0x7c, v2
	v_and_b32_e32 v115, 3, v2
	s_delay_alu instid0(VALU_DEP_2) | instskip(SKIP_1) | instid1(SALU_CYCLE_1)
	v_cmp_ne_u32_e32 vcc_lo, 0x7c, v19
                                        ; implicit-def: $vgpr19
	s_and_saveexec_b32 s43, vcc_lo
	s_xor_b32 s43, exec_lo, s43
	s_cbranch_execz .LBB2_5234
; %bb.5231:                             ;   in Loop: Header=BB2_5228 Depth=3
	v_and_b32_e32 v19, 0xff, v2
	s_mov_b32 s72, exec_lo
	s_delay_alu instid0(VALU_DEP_1) | instskip(NEXT) | instid1(VALU_DEP_1)
	v_bfe_u32 v19, v19, 2, 5
	v_cmpx_eq_u32_e32 0, v19
; %bb.5232:                             ;   in Loop: Header=BB2_5228 Depth=3
	v_clz_i32_u32_e32 v19, v115
	s_delay_alu instid0(VALU_DEP_1) | instskip(NEXT) | instid1(VALU_DEP_1)
	v_min_u32_e32 v19, 32, v19
	v_subrev_nc_u32_e32 v20, 29, v19
	s_delay_alu instid0(VALU_DEP_1) | instskip(NEXT) | instid1(VALU_DEP_1)
	v_lshlrev_b64_e32 v[118:119], v20, v[2:3]
	v_dual_sub_nc_u32 v19, 30, v19 :: v_dual_bitop2_b32 v115, 3, v118 bitop3:0x40
; %bb.5233:                             ;   in Loop: Header=BB2_5228 Depth=3
	s_or_b32 exec_lo, exec_lo, s72
	v_bfe_i32 v2, v2, 0, 16
	s_delay_alu instid0(VALU_DEP_1) | instskip(NEXT) | instid1(VALU_DEP_1)
	v_and_b32_e32 v2, 0x80000000, v2
	v_lshl_add_u32 v2, v19, 23, v2
	s_delay_alu instid0(VALU_DEP_1) | instskip(NEXT) | instid1(VALU_DEP_1)
	v_lshl_or_b32 v2, v115, 21, v2
                                        ; implicit-def: $vgpr115
	v_add_nc_u32_e32 v19, 0x38000000, v2
.LBB2_5234:                             ;   in Loop: Header=BB2_5228 Depth=3
	s_and_not1_saveexec_b32 s43, s43
; %bb.5235:                             ;   in Loop: Header=BB2_5228 Depth=3
	v_cmp_lt_i16_e32 vcc_lo, -1, v2
	v_cndmask_b32_e32 v2, 0xff800000, v109, vcc_lo
	v_cmp_eq_u32_e32 vcc_lo, 0, v115
	s_delay_alu instid0(VALU_DEP_2)
	v_cndmask_b32_e32 v19, 0x7f800001, v2, vcc_lo
; %bb.5236:                             ;   in Loop: Header=BB2_5228 Depth=3
	s_or_b32 exec_lo, exec_lo, s43
.LBB2_5237:                             ;   in Loop: Header=BB2_5228 Depth=3
	s_delay_alu instid0(SALU_CYCLE_1)
	s_or_b32 exec_lo, exec_lo, s42
.LBB2_5238:                             ;   in Loop: Header=BB2_5228 Depth=3
	s_delay_alu instid0(SALU_CYCLE_1) | instskip(NEXT) | instid1(SALU_CYCLE_1)
	s_or_b32 exec_lo, exec_lo, s13
	s_mov_b32 s13, exec_lo
	s_wait_loadcnt_dscnt 0x0
	v_cmpx_ne_u16_e32 0, v14
	s_cbranch_execz .LBB2_5248
; %bb.5239:                             ;   in Loop: Header=BB2_5228 Depth=3
	v_bfrev_b32_e32 v15, 1
	s_mov_b32 s42, exec_lo
	v_cmpx_ne_u16_e32 0xff80, v14
	s_cbranch_execz .LBB2_5247
; %bb.5240:                             ;   in Loop: Header=BB2_5228 Depth=3
	v_and_b32_e32 v15, 0x7c, v14
	v_and_b32_e32 v2, 3, v14
	s_delay_alu instid0(VALU_DEP_2) | instskip(SKIP_1) | instid1(SALU_CYCLE_1)
	v_cmp_ne_u32_e32 vcc_lo, 0x7c, v15
                                        ; implicit-def: $vgpr15
	s_and_saveexec_b32 s43, vcc_lo
	s_xor_b32 s43, exec_lo, s43
	s_cbranch_execz .LBB2_5244
; %bb.5241:                             ;   in Loop: Header=BB2_5228 Depth=3
	v_and_b32_e32 v15, 0xff, v14
	s_mov_b32 s72, exec_lo
	s_delay_alu instid0(VALU_DEP_1) | instskip(NEXT) | instid1(VALU_DEP_1)
	v_bfe_u32 v15, v15, 2, 5
	v_cmpx_eq_u32_e32 0, v15
	s_cbranch_execz .LBB2_5243
; %bb.5242:                             ;   in Loop: Header=BB2_5228 Depth=3
	v_clz_i32_u32_e32 v2, v2
	v_mov_b32_e32 v15, v3
	s_delay_alu instid0(VALU_DEP_2) | instskip(NEXT) | instid1(VALU_DEP_1)
	v_min_u32_e32 v2, 32, v2
	v_subrev_nc_u32_e32 v20, 29, v2
	s_delay_alu instid0(VALU_DEP_1) | instskip(SKIP_1) | instid1(VALU_DEP_2)
	v_lshlrev_b64_e32 v[118:119], v20, v[14:15]
	v_sub_nc_u32_e32 v15, 30, v2
	v_and_b32_e32 v2, 3, v118
.LBB2_5243:                             ;   in Loop: Header=BB2_5228 Depth=3
	s_or_b32 exec_lo, exec_lo, s72
	v_bfe_i32 v14, v14, 0, 16
	s_delay_alu instid0(VALU_DEP_1) | instskip(NEXT) | instid1(VALU_DEP_1)
	v_and_b32_e32 v14, 0x80000000, v14
	v_lshl_add_u32 v14, v15, 23, v14
	s_delay_alu instid0(VALU_DEP_1) | instskip(NEXT) | instid1(VALU_DEP_1)
	v_lshl_or_b32 v2, v2, 21, v14
                                        ; implicit-def: $vgpr14
	v_add_nc_u32_e32 v15, 0x38000000, v2
                                        ; implicit-def: $vgpr2
.LBB2_5244:                             ;   in Loop: Header=BB2_5228 Depth=3
	s_and_not1_saveexec_b32 s43, s43
; %bb.5245:                             ;   in Loop: Header=BB2_5228 Depth=3
	v_cmp_lt_i16_e32 vcc_lo, -1, v14
	v_cndmask_b32_e32 v14, 0xff800000, v109, vcc_lo
	v_cmp_eq_u32_e32 vcc_lo, 0, v2
	s_delay_alu instid0(VALU_DEP_2)
	v_cndmask_b32_e32 v15, 0x7f800001, v14, vcc_lo
; %bb.5246:                             ;   in Loop: Header=BB2_5228 Depth=3
	s_or_b32 exec_lo, exec_lo, s43
.LBB2_5247:                             ;   in Loop: Header=BB2_5228 Depth=3
	s_delay_alu instid0(SALU_CYCLE_1)
	s_or_b32 exec_lo, exec_lo, s42
.LBB2_5248:                             ;   in Loop: Header=BB2_5228 Depth=3
	s_delay_alu instid0(SALU_CYCLE_1) | instskip(NEXT) | instid1(VALU_DEP_1)
	s_or_b32 exec_lo, exec_lo, s13
	v_mul_f32_e32 v14, v19, v15
	v_mov_b32_e32 v119, v3
                                        ; implicit-def: $vgpr15
	s_mov_b32 s13, exec_lo
	s_delay_alu instid0(VALU_DEP_2) | instskip(SKIP_1) | instid1(VALU_DEP_2)
	v_and_b32_e32 v118, 0x7f800000, v14
	v_and_b32_e32 v2, 0x7fffff, v14
	v_cmpx_ne_u64_e32 0x7f800000, v[118:119]
	s_xor_b32 s42, exec_lo, s13
	s_cbranch_execz .LBB2_5266
; %bb.5249:                             ;   in Loop: Header=BB2_5228 Depth=3
	v_dual_mov_b32 v119, v3 :: v_dual_lshrrev_b32 v15, 24, v14
	v_and_b32_e32 v118, 0x7fffffff, v14
	s_mov_b32 s13, exec_lo
	s_delay_alu instid0(VALU_DEP_2) | instskip(NEXT) | instid1(VALU_DEP_2)
	v_and_b32_e32 v19, 0x80, v15
                                        ; implicit-def: $vgpr15
	v_cmpx_gt_u64_e32 0x47600001, v[118:119]
	s_xor_b32 s43, exec_lo, s13
	s_cbranch_execz .LBB2_5263
; %bb.5250:                             ;   in Loop: Header=BB2_5228 Depth=3
	v_mov_b32_e32 v15, 0
	s_mov_b32 s72, exec_lo
	v_cmpx_ne_u32_e32 0, v14
	s_cbranch_execz .LBB2_5262
; %bb.5251:                             ;   in Loop: Header=BB2_5228 Depth=3
	v_bfe_u32 v115, v14, 23, 8
	v_or_b32_e32 v20, 0x800000, v2
	s_delay_alu instid0(VALU_DEP_2) | instskip(SKIP_1) | instid1(VALU_DEP_2)
	v_sub_nc_u32_e32 v14, 0x71, v115
	v_cmp_gt_u32_e32 vcc_lo, 0x72, v115
	v_cndmask_b32_e32 v14, 0, v14, vcc_lo
	v_cmp_eq_u32_e32 vcc_lo, 0, v115
	s_delay_alu instid0(VALU_DEP_2) | instskip(NEXT) | instid1(VALU_DEP_1)
	v_cndmask_b32_e64 v40, v14, 0x70, vcc_lo
	v_dual_cndmask_b32 v2, v20, v2, vcc_lo :: v_dual_add_nc_u32 v14, 21, v40
	v_add_nc_u32_e32 v21, 20, v40
	s_delay_alu instid0(VALU_DEP_2) | instskip(NEXT) | instid1(VALU_DEP_2)
	v_lshlrev_b64_e64 v[14:15], v14, -1
	v_lshlrev_b64_e64 v[118:119], v21, 1
	s_delay_alu instid0(VALU_DEP_2) | instskip(NEXT) | instid1(VALU_DEP_3)
	v_bfi_b32 v43, v15, 0, 0
	v_bfi_b32 v42, v14, 0, v2
	v_lshrrev_b64 v[14:15], v40, v[2:3]
	s_delay_alu instid0(VALU_DEP_2) | instskip(NEXT) | instid1(VALU_DEP_2)
	v_cmp_eq_u64_e64 s13, v[42:43], v[118:119]
	v_mov_b64_e32 v[118:119], v[14:15]
	s_and_saveexec_b32 s73, s13
; %bb.5252:                             ;   in Loop: Header=BB2_5228 Depth=3
	v_bfe_u32 v2, v14, 21, 1
	s_delay_alu instid0(VALU_DEP_1) | instskip(NEXT) | instid1(VALU_DEP_1)
	v_add_nc_u64_e32 v[118:119], v[14:15], v[2:3]
	v_add_nc_u64_e32 v[118:119], -1, v[118:119]
; %bb.5253:                             ;   in Loop: Header=BB2_5228 Depth=3
	s_or_b32 exec_lo, exec_lo, s73
	v_add_nc_u32_e32 v2, 0xffffff81, v115
	v_lshrrev_b32_e32 v15, 23, v14
	s_mov_b32 s13, exec_lo
                                        ; implicit-def: $vgpr115
	s_delay_alu instid0(VALU_DEP_2) | instskip(NEXT) | instid1(VALU_DEP_1)
	v_cndmask_b32_e64 v2, v2, 0xffffff82, vcc_lo
	v_add3_u32 v119, v40, v2, v15
	v_and_b32_e32 v2, 0x1fffff, v118
	s_delay_alu instid0(VALU_DEP_1) | instskip(NEXT) | instid1(VALU_DEP_1)
	v_dual_add_nc_u32 v118, 14, v119 :: v_dual_add_nc_u32 v2, v2, v14
                                        ; implicit-def: $vgpr14_vgpr15
	v_cmpx_ne_u32_e32 0, v118
	s_xor_b32 s13, exec_lo, s13
; %bb.5254:                             ;   in Loop: Header=BB2_5228 Depth=3
	s_delay_alu instid0(VALU_DEP_2) | instskip(SKIP_1) | instid1(VALU_DEP_1)
	v_cmp_lt_u64_e32 vcc_lo, 0xffffff, v[2:3]
	v_add_nc_u32_e32 v14, 15, v119
	v_cndmask_b32_e32 v115, v118, v14, vcc_lo
	v_cndmask_b32_e64 v14, 0, 1, vcc_lo
	s_delay_alu instid0(VALU_DEP_1)
	v_lshrrev_b64 v[14:15], v14, v[2:3]
; %bb.5255:                             ;   in Loop: Header=BB2_5228 Depth=3
	s_and_not1_saveexec_b32 s13, s13
; %bb.5256:                             ;   in Loop: Header=BB2_5228 Depth=3
	v_mov_b64_e32 v[14:15], v[2:3]
	v_bfe_u32 v115, v2, 23, 1
; %bb.5257:                             ;   in Loop: Header=BB2_5228 Depth=3
	s_or_b32 exec_lo, exec_lo, s13
	s_delay_alu instid0(VALU_DEP_2) | instskip(NEXT) | instid1(VALU_DEP_2)
	v_lshrrev_b64 v[14:15], 21, v[14:15]
	v_cmp_gt_i32_e32 vcc_lo, 32, v115
	v_cmp_ne_u32_e64 s13, 0, v115
	s_delay_alu instid0(VALU_DEP_3) | instskip(NEXT) | instid1(VALU_DEP_1)
	v_dual_cndmask_b32 v15, 0, v15 :: v_dual_cndmask_b32 v14, 3, v14
	v_cmp_ne_u64_e32 vcc_lo, 0, v[14:15]
                                        ; implicit-def: $vgpr15
	s_or_b32 s13, s13, vcc_lo
	s_delay_alu instid0(SALU_CYCLE_1) | instskip(NEXT) | instid1(SALU_CYCLE_1)
	s_and_saveexec_b32 s73, s13
	s_xor_b32 s13, exec_lo, s73
; %bb.5258:                             ;   in Loop: Header=BB2_5228 Depth=3
	v_min_i32_e32 v2, 31, v115
	s_delay_alu instid0(VALU_DEP_1) | instskip(NEXT) | instid1(VALU_DEP_1)
	v_lshl_or_b32 v2, v2, 2, v19
                                        ; implicit-def: $vgpr19
	v_and_or_b32 v15, v14, 3, v2
; %bb.5259:                             ;   in Loop: Header=BB2_5228 Depth=3
	s_and_not1_saveexec_b32 s13, s13
; %bb.5260:                             ;   in Loop: Header=BB2_5228 Depth=3
	v_mov_b32_e32 v15, v19
; %bb.5261:                             ;   in Loop: Header=BB2_5228 Depth=3
	s_or_b32 exec_lo, exec_lo, s13
.LBB2_5262:                             ;   in Loop: Header=BB2_5228 Depth=3
	s_delay_alu instid0(SALU_CYCLE_1)
	s_or_b32 exec_lo, exec_lo, s72
                                        ; implicit-def: $vgpr19
.LBB2_5263:                             ;   in Loop: Header=BB2_5228 Depth=3
	s_and_not1_saveexec_b32 s13, s43
; %bb.5264:                             ;   in Loop: Header=BB2_5228 Depth=3
	v_or_b32_e32 v15, 0x7b, v19
; %bb.5265:                             ;   in Loop: Header=BB2_5228 Depth=3
	s_or_b32 exec_lo, exec_lo, s13
                                        ; implicit-def: $vgpr14
.LBB2_5266:                             ;   in Loop: Header=BB2_5228 Depth=3
	s_and_not1_saveexec_b32 s13, s42
	s_cbranch_execz .LBB2_5227
; %bb.5267:                             ;   in Loop: Header=BB2_5228 Depth=3
	s_mov_b32 s42, exec_lo
                                        ; implicit-def: $vgpr15
	v_cmpx_ne_u64_e32 0, v[2:3]
	s_xor_b32 s42, exec_lo, s42
; %bb.5268:                             ;   in Loop: Header=BB2_5228 Depth=3
	v_lshrrev_b32_e32 v2, 24, v14
                                        ; implicit-def: $vgpr14
	s_delay_alu instid0(VALU_DEP_1)
	v_or_b32_e32 v15, 0x7f, v2
; %bb.5269:                             ;   in Loop: Header=BB2_5228 Depth=3
	s_and_not1_saveexec_b32 s42, s42
	s_cbranch_execz .LBB2_5226
; %bb.5270:                             ;   in Loop: Header=BB2_5228 Depth=3
	v_cmp_lt_i32_e32 vcc_lo, -1, v14
	v_cndmask_b32_e64 v15, -4, 0x7c, vcc_lo
	s_branch .LBB2_5226
.LBB2_5271:                             ;   in Loop: Header=BB2_2043 Depth=2
	s_or_b32 exec_lo, exec_lo, s14
.LBB2_5272:                             ;   in Loop: Header=BB2_2043 Depth=2
	v_cmp_lt_i32_e64 s13, 0, v113
	s_and_saveexec_b32 s14, s2
	s_cbranch_execz .LBB2_5291
.LBB2_5273:                             ;   in Loop: Header=BB2_2043 Depth=2
	s_and_saveexec_b32 s15, s3
	s_delay_alu instid0(SALU_CYCLE_1)
	s_xor_b32 s15, exec_lo, s15
	s_cbranch_execz .LBB2_5288
; %bb.5274:                             ;   in Loop: Header=BB2_2043 Depth=2
	s_and_saveexec_b32 s42, s6
	s_cbranch_execz .LBB2_5287
; %bb.5275:                             ;   in Loop: Header=BB2_2043 Depth=2
	s_mov_b32 s72, exec_lo
	s_mov_b32 s43, exec_lo
	v_mbcnt_lo_u32_b32 v2, s72, 0
	global_wb scope:SCOPE_DEV
	s_wait_storecnt 0x0
	s_wait_loadcnt_dscnt 0x0
	global_inv scope:SCOPE_DEV
	v_cmpx_eq_u32_e32 0, v2
	s_cbranch_execz .LBB2_5277
; %bb.5276:                             ;   in Loop: Header=BB2_2043 Depth=2
	s_bcnt1_i32_b32 s72, s72
	s_delay_alu instid0(SALU_CYCLE_1)
	v_mov_b32_e32 v2, s72
	s_wait_loadcnt 0x0
	ds_add_u64 v0, v[2:3]
	s_trap 2
.LBB2_5277:                             ;   in Loop: Header=BB2_2043 Depth=2
	s_or_b32 exec_lo, exec_lo, s43
	s_trap 2
	ds_load_b64 v[8:9], v0
	s_wait_dscnt 0x0
	v_add_nc_u64_e32 v[32:33], v[32:33], v[36:37]
	s_mov_b32 s43, exec_lo
	s_delay_alu instid0(VALU_DEP_1)
	v_cmpx_lt_u64_e64 v[8:9], v[32:33]
	s_cbranch_execz .LBB2_5286
; %bb.5278:                             ;   in Loop: Header=BB2_2043 Depth=2
	s_mov_b32 s72, 0
	s_mov_b32 s75, 0
                                        ; implicit-def: $sgpr73
                                        ; implicit-def: $sgpr74
	s_branch .LBB2_5280
.LBB2_5279:                             ;   in Loop: Header=BB2_5280 Depth=3
	s_or_b32 exec_lo, exec_lo, s77
	s_delay_alu instid0(SALU_CYCLE_1) | instskip(NEXT) | instid1(SALU_CYCLE_1)
	s_and_b32 s76, exec_lo, s78
	s_or_b32 s72, s76, s72
	s_and_not1_b32 s73, s73, exec_lo
	s_and_b32 s76, s74, exec_lo
	s_delay_alu instid0(SALU_CYCLE_1)
	s_or_b32 s73, s73, s76
	s_and_not1_b32 exec_lo, exec_lo, s72
	s_cbranch_execz .LBB2_5284
.LBB2_5280:                             ;   Parent Loop BB2_47 Depth=1
                                        ;     Parent Loop BB2_2043 Depth=2
                                        ; =>    This Inner Loop Header: Depth=3
	s_add_co_i32 s75, s75, 1
	s_delay_alu instid0(SALU_CYCLE_1) | instskip(SKIP_1) | instid1(SALU_CYCLE_1)
	s_cmp_lg_u32 s75, 0x2710
	s_cselect_b32 s76, -1, 0
	s_and_b32 vcc_lo, exec_lo, s76
	s_cbranch_vccz .LBB2_5282
; %bb.5281:                             ;   in Loop: Header=BB2_5280 Depth=3
	s_mov_b32 s78, -1
	s_or_b32 s74, s74, exec_lo
	s_and_saveexec_b32 s77, s76
	s_cbranch_execz .LBB2_5279
	s_branch .LBB2_5283
.LBB2_5282:                             ;   in Loop: Header=BB2_5280 Depth=3
	s_trap 2
	ds_load_b64 v[8:9], v0
	s_and_not1_b32 s76, s76, exec_lo
	s_mov_b32 s75, 0
	s_wait_loadcnt_dscnt 0x0
	flat_load_b32 v2, v[8:9] scope:SCOPE_SYS
	s_wait_loadcnt_dscnt 0x0
	global_inv scope:SCOPE_SYS
	v_cmp_eq_u32_e32 vcc_lo, 0, v2
	s_and_b32 s77, vcc_lo, exec_lo
	s_delay_alu instid0(SALU_CYCLE_1)
	s_or_b32 s76, s76, s77
	s_mov_b32 s78, -1
	s_or_b32 s74, s74, exec_lo
	s_and_saveexec_b32 s77, s76
	s_cbranch_execz .LBB2_5279
.LBB2_5283:                             ;   in Loop: Header=BB2_5280 Depth=3
	s_sleep 1
	s_trap 2
	ds_load_b64 v[8:9], v0
	s_wait_dscnt 0x0
	s_and_not1_b32 s74, s74, exec_lo
	v_cmp_ge_u64_e32 vcc_lo, v[8:9], v[32:33]
	s_or_not1_b32 s78, vcc_lo, exec_lo
	s_branch .LBB2_5279
.LBB2_5284:                             ;   in Loop: Header=BB2_2043 Depth=2
	s_or_b32 exec_lo, exec_lo, s72
	s_and_saveexec_b32 s72, s73
	s_delay_alu instid0(SALU_CYCLE_1)
	s_xor_b32 s72, exec_lo, s72
	s_cbranch_execz .LBB2_5286
; %bb.5285:                             ;   in Loop: Header=BB2_2043 Depth=2
	ds_store_b32 v0, v107
	s_trap 2
.LBB2_5286:                             ;   in Loop: Header=BB2_2043 Depth=2
	s_or_b32 exec_lo, exec_lo, s43
	;;#ASMSTART
	s_wakeup
	;;#ASMEND
.LBB2_5287:                             ;   in Loop: Header=BB2_2043 Depth=2
	s_or_b32 exec_lo, exec_lo, s42
.LBB2_5288:                             ;   in Loop: Header=BB2_2043 Depth=2
	s_and_not1_saveexec_b32 s15, s15
	s_cbranch_execz .LBB2_5290
; %bb.5289:                             ;   in Loop: Header=BB2_2043 Depth=2
	global_wb scope:SCOPE_DEV
	s_wait_storecnt 0x0
	s_wait_loadcnt_dscnt 0x0
	global_inv scope:SCOPE_DEV
	s_barrier_signal -1
	s_barrier_wait -1
.LBB2_5290:                             ;   in Loop: Header=BB2_2043 Depth=2
	s_or_b32 exec_lo, exec_lo, s15
.LBB2_5291:                             ;   in Loop: Header=BB2_2043 Depth=2
	s_delay_alu instid0(SALU_CYCLE_1) | instskip(SKIP_2) | instid1(SALU_CYCLE_1)
	s_or_b32 exec_lo, exec_lo, s14
	v_and_b32_e32 v8, 16, v30
	s_and_saveexec_b32 s14, s7
	s_xor_b32 s14, exec_lo, s14
	s_cbranch_execz .LBB2_5295
; %bb.5292:                             ;   in Loop: Header=BB2_2043 Depth=2
	v_and_b32_e32 v2, 16, v30
	v_and_b32_e32 v8, 16, v30
	s_delay_alu instid0(VALU_DEP_2) | instskip(SKIP_1) | instid1(SALU_CYCLE_1)
	v_cmp_ne_u32_e32 vcc_lo, 0, v2
	s_and_b32 s15, vcc_lo, s13
	s_and_saveexec_b32 s13, s15
	s_cbranch_execz .LBB2_5294
; %bb.5293:                             ;   in Loop: Header=BB2_2043 Depth=2
	v_mov_b32_e32 v8, 1
	global_wb scope:SCOPE_SYS
	s_wait_storecnt 0x0
	s_wait_loadcnt_dscnt 0x0
	global_inv scope:SCOPE_SYS
.LBB2_5294:                             ;   in Loop: Header=BB2_2043 Depth=2
	s_or_b32 exec_lo, exec_lo, s13
.LBB2_5295:                             ;   in Loop: Header=BB2_2043 Depth=2
	s_and_not1_saveexec_b32 s13, s14
	s_cbranch_execz .LBB2_5314
; %bb.5296:                             ;   in Loop: Header=BB2_2043 Depth=2
	s_and_saveexec_b32 s14, s3
	s_delay_alu instid0(SALU_CYCLE_1)
	s_xor_b32 s14, exec_lo, s14
	s_cbranch_execz .LBB2_5311
; %bb.5297:                             ;   in Loop: Header=BB2_2043 Depth=2
	s_and_saveexec_b32 s15, s6
	s_cbranch_execz .LBB2_5310
; %bb.5298:                             ;   in Loop: Header=BB2_2043 Depth=2
	s_mov_b32 s43, exec_lo
	s_mov_b32 s42, exec_lo
	v_mbcnt_lo_u32_b32 v2, s43, 0
	;;#ASMSTART
	s_waitcnt lgkmcnt(0) vmcnt(0)
	;;#ASMEND
	s_delay_alu instid0(VALU_DEP_1)
	v_cmpx_eq_u32_e32 0, v2
	s_cbranch_execz .LBB2_5300
; %bb.5299:                             ;   in Loop: Header=BB2_2043 Depth=2
	s_bcnt1_i32_b32 s43, s43
	s_delay_alu instid0(SALU_CYCLE_1)
	v_mov_b32_e32 v2, s43
	s_wait_storecnt 0x0
	s_wait_loadcnt_dscnt 0x0
	ds_add_u64 v0, v[2:3]
	s_trap 2
.LBB2_5300:                             ;   in Loop: Header=BB2_2043 Depth=2
	s_or_b32 exec_lo, exec_lo, s42
	s_trap 2
	ds_load_b64 v[10:11], v0
	s_wait_dscnt 0x0
	v_add_nc_u64_e32 v[32:33], v[32:33], v[36:37]
	s_mov_b32 s42, exec_lo
	s_delay_alu instid0(VALU_DEP_1)
	v_cmpx_lt_u64_e64 v[10:11], v[32:33]
	s_cbranch_execz .LBB2_5309
; %bb.5301:                             ;   in Loop: Header=BB2_2043 Depth=2
	s_mov_b32 s43, 0
	s_mov_b32 s74, 0
                                        ; implicit-def: $sgpr72
                                        ; implicit-def: $sgpr73
	s_branch .LBB2_5303
.LBB2_5302:                             ;   in Loop: Header=BB2_5303 Depth=3
	s_or_b32 exec_lo, exec_lo, s76
	s_delay_alu instid0(SALU_CYCLE_1) | instskip(NEXT) | instid1(SALU_CYCLE_1)
	s_and_b32 s75, exec_lo, s77
	s_or_b32 s43, s75, s43
	s_and_not1_b32 s72, s72, exec_lo
	s_and_b32 s75, s73, exec_lo
	s_delay_alu instid0(SALU_CYCLE_1)
	s_or_b32 s72, s72, s75
	s_and_not1_b32 exec_lo, exec_lo, s43
	s_cbranch_execz .LBB2_5307
.LBB2_5303:                             ;   Parent Loop BB2_47 Depth=1
                                        ;     Parent Loop BB2_2043 Depth=2
                                        ; =>    This Inner Loop Header: Depth=3
	s_add_co_i32 s74, s74, 1
	s_delay_alu instid0(SALU_CYCLE_1) | instskip(SKIP_1) | instid1(SALU_CYCLE_1)
	s_cmp_lg_u32 s74, 0x2710
	s_cselect_b32 s75, -1, 0
	s_and_b32 vcc_lo, exec_lo, s75
	s_cbranch_vccz .LBB2_5305
; %bb.5304:                             ;   in Loop: Header=BB2_5303 Depth=3
	s_mov_b32 s77, -1
	s_or_b32 s73, s73, exec_lo
	s_and_saveexec_b32 s76, s75
	s_cbranch_execz .LBB2_5302
	s_branch .LBB2_5306
.LBB2_5305:                             ;   in Loop: Header=BB2_5303 Depth=3
	s_trap 2
	ds_load_b64 v[10:11], v0
	s_and_not1_b32 s75, s75, exec_lo
	s_mov_b32 s74, 0
	s_wait_storecnt 0x0
	s_wait_loadcnt_dscnt 0x0
	flat_load_b32 v2, v[10:11] scope:SCOPE_SYS
	s_wait_loadcnt_dscnt 0x0
	global_inv scope:SCOPE_SYS
	v_cmp_eq_u32_e32 vcc_lo, 0, v2
	s_and_b32 s76, vcc_lo, exec_lo
	s_delay_alu instid0(SALU_CYCLE_1)
	s_or_b32 s75, s75, s76
	s_mov_b32 s77, -1
	s_or_b32 s73, s73, exec_lo
	s_and_saveexec_b32 s76, s75
	s_cbranch_execz .LBB2_5302
.LBB2_5306:                             ;   in Loop: Header=BB2_5303 Depth=3
	s_sleep 1
	s_trap 2
	ds_load_b64 v[10:11], v0
	s_wait_dscnt 0x0
	s_and_not1_b32 s73, s73, exec_lo
	v_cmp_ge_u64_e32 vcc_lo, v[10:11], v[32:33]
	s_or_not1_b32 s77, vcc_lo, exec_lo
	s_branch .LBB2_5302
.LBB2_5307:                             ;   in Loop: Header=BB2_2043 Depth=2
	s_or_b32 exec_lo, exec_lo, s43
	s_and_saveexec_b32 s43, s72
	s_delay_alu instid0(SALU_CYCLE_1)
	s_xor_b32 s43, exec_lo, s43
	s_cbranch_execz .LBB2_5309
; %bb.5308:                             ;   in Loop: Header=BB2_2043 Depth=2
	ds_store_b32 v0, v107
	s_trap 2
.LBB2_5309:                             ;   in Loop: Header=BB2_2043 Depth=2
	s_or_b32 exec_lo, exec_lo, s42
	;;#ASMSTART
	s_wakeup
	;;#ASMEND
.LBB2_5310:                             ;   in Loop: Header=BB2_2043 Depth=2
	s_or_b32 exec_lo, exec_lo, s15
.LBB2_5311:                             ;   in Loop: Header=BB2_2043 Depth=2
	s_and_not1_saveexec_b32 s14, s14
	s_cbranch_execz .LBB2_5313
; %bb.5312:                             ;   in Loop: Header=BB2_2043 Depth=2
	;;#ASMSTART
	s_waitcnt lgkmcnt(0) vmcnt(0)
	;;#ASMEND
	s_barrier_signal -1
	s_barrier_wait -1
.LBB2_5313:                             ;   in Loop: Header=BB2_2043 Depth=2
	s_or_b32 exec_lo, exec_lo, s14
.LBB2_5314:                             ;   in Loop: Header=BB2_2043 Depth=2
	s_delay_alu instid0(SALU_CYCLE_1) | instskip(SKIP_2) | instid1(SALU_CYCLE_1)
	s_or_b32 exec_lo, exec_lo, s13
	v_cmp_ne_u32_e32 vcc_lo, 0, v8
	s_xor_b32 s13, s4, -1
	s_and_b32 s14, vcc_lo, s13
	s_delay_alu instid0(SALU_CYCLE_1)
	s_and_saveexec_b32 s13, s14
	s_cbranch_execz .LBB2_5316
; %bb.5315:                             ;   in Loop: Header=BB2_2043 Depth=2
	global_wb scope:SCOPE_SYS
	s_wait_storecnt 0x0
	s_wait_loadcnt_dscnt 0x0
	flat_store_b32 v[28:29], v107 scope:SCOPE_SYS
.LBB2_5316:                             ;   in Loop: Header=BB2_2043 Depth=2
	s_wait_xcnt 0x0
	s_or_b32 exec_lo, exec_lo, s13
	v_and_b32_e32 v2, 48, v30
	s_mov_b32 s13, exec_lo
	s_delay_alu instid0(VALU_DEP_1)
	v_cmpx_ne_u32_e32 0, v2
	s_cbranch_execz .LBB2_2042
; %bb.5317:                             ;   in Loop: Header=BB2_2043 Depth=2
	v_add_nc_u64_e32 v[98:99], 2, v[98:99]
	global_wb scope:SCOPE_SYS
	s_wait_storecnt 0x0
	s_wait_loadcnt_dscnt 0x0
	flat_store_b64 v[22:23], v[98:99] scope:SCOPE_SYS
	s_branch .LBB2_2042
.LBB2_5318:                             ;   in Loop: Header=BB2_47 Depth=1
	s_or_b32 exec_lo, exec_lo, s29
.LBB2_5319:                             ;   in Loop: Header=BB2_47 Depth=1
	s_delay_alu instid0(SALU_CYCLE_1) | instskip(NEXT) | instid1(SALU_CYCLE_1)
	s_or_b32 exec_lo, exec_lo, s18
	s_mov_b32 s14, exec_lo
	v_cmpx_gt_i32_e32 2, v2
	s_cbranch_execz .LBB2_5395
; %bb.5320:                             ;   in Loop: Header=BB2_47 Depth=1
	v_cmp_eq_u32_e64 s18, 0, v2
	s_mov_b32 s15, 0
	s_branch .LBB2_5322
.LBB2_5321:                             ;   in Loop: Header=BB2_5322 Depth=2
	s_wait_xcnt 0x0
	s_or_b32 exec_lo, exec_lo, s13
	v_add_nc_u32_e32 v114, v112, v114
	s_mov_b32 s18, 0
	s_and_not1_b32 exec_lo, exec_lo, s15
	s_cbranch_execz .LBB2_5394
.LBB2_5322:                             ;   Parent Loop BB2_47 Depth=1
                                        ; =>  This Loop Header: Depth=2
                                        ;       Child Loop BB2_5328 Depth 3
                                        ;       Child Loop BB2_5356 Depth 3
	;; [unrolled: 1-line block ×3, first 2 shown]
	s_delay_alu instid0(VALU_DEP_1) | instskip(SKIP_2) | instid1(VALU_DEP_2)
	v_sub_nc_u32_e32 v2, v123, v114
	v_and_b32_e32 v8, 12, v30
	s_mov_b32 s29, exec_lo
	v_min_i32_e32 v112, v112, v2
	s_delay_alu instid0(VALU_DEP_2)
	v_cmpx_ne_u32_e32 0, v8
	s_cbranch_execz .LBB2_5348
; %bb.5323:                             ;   in Loop: Header=BB2_5322 Depth=2
	v_and_b32_e32 v2, 8, v30
	v_add_nc_u64_e32 v[8:9], 2, v[98:99]
	s_mov_b32 s42, exec_lo
	s_wait_loadcnt_dscnt 0x1
	s_delay_alu instid0(VALU_DEP_2) | instskip(NEXT) | instid1(VALU_DEP_1)
	v_add_nc_u64_e32 v[10:11], v[34:35], v[2:3]
	v_cmpx_lt_u64_e64 v[10:11], v[8:9]
	s_cbranch_execz .LBB2_5335
; %bb.5324:                             ;   in Loop: Header=BB2_5322 Depth=2
	v_and_b32_e32 v10, 64, v30
	s_mov_b32 s43, 0
	s_mov_b32 s73, 0
                                        ; implicit-def: $sgpr62
                                        ; implicit-def: $sgpr63
                                        ; implicit-def: $sgpr72
	s_delay_alu instid0(VALU_DEP_1)
	v_cmp_eq_u32_e32 vcc_lo, 0, v10
	s_branch .LBB2_5328
.LBB2_5325:                             ;   in Loop: Header=BB2_5328 Depth=3
	s_wait_loadcnt_dscnt 0x0
	v_add_nc_u64_e32 v[12:13], v[34:35], v[2:3]
	s_or_b32 s76, s76, exec_lo
	s_delay_alu instid0(VALU_DEP_1)
	v_cmp_ge_u64_e64 s13, v[12:13], v[8:9]
	s_or_not1_b32 s75, s13, exec_lo
.LBB2_5326:                             ;   in Loop: Header=BB2_5328 Depth=3
	s_or_b32 exec_lo, exec_lo, s78
	s_delay_alu instid0(SALU_CYCLE_1)
	s_and_not1_b32 s13, s72, exec_lo
	s_and_b32 s72, s76, exec_lo
	s_and_not1_b32 s63, s63, exec_lo
	s_and_b32 s75, s75, exec_lo
	s_or_b32 s72, s13, s72
	s_or_b32 s63, s63, s75
.LBB2_5327:                             ;   in Loop: Header=BB2_5328 Depth=3
	s_or_b32 exec_lo, exec_lo, s74
	s_delay_alu instid0(SALU_CYCLE_1) | instskip(NEXT) | instid1(SALU_CYCLE_1)
	s_and_b32 s13, exec_lo, s63
	s_or_b32 s43, s13, s43
	s_and_not1_b32 s13, s62, exec_lo
	s_and_b32 s62, s72, exec_lo
	s_delay_alu instid0(SALU_CYCLE_1)
	s_or_b32 s62, s13, s62
	s_and_not1_b32 exec_lo, exec_lo, s43
	s_cbranch_execz .LBB2_5332
.LBB2_5328:                             ;   Parent Loop BB2_47 Depth=1
                                        ;     Parent Loop BB2_5322 Depth=2
                                        ; =>    This Inner Loop Header: Depth=3
	s_sleep 1
	s_wait_loadcnt_dscnt 0x0
	flat_load_b64 v[34:35], v[22:23] scope:SCOPE_SYS
	s_or_b32 s72, s72, exec_lo
	s_or_b32 s63, s63, exec_lo
                                        ; implicit-def: $vgpr10
	s_wait_xcnt 0x0
	s_and_saveexec_b32 s74, vcc_lo
	s_cbranch_execz .LBB2_5327
; %bb.5329:                             ;   in Loop: Header=BB2_5328 Depth=3
	s_cmp_lt_i32 s73, 0x270f
	s_mov_b32 s75, -1
	s_cselect_b32 s77, -1, 0
	s_cmp_gt_i32 s73, 0x270e
	s_cbranch_scc0 .LBB2_5331
; %bb.5330:                             ;   in Loop: Header=BB2_5328 Depth=3
	s_trap 2
	ds_load_b64 v[10:11], v0
	s_and_not1_b32 s73, s77, exec_lo
	s_mov_b32 s76, 0
	s_wait_storecnt 0x0
	s_wait_loadcnt_dscnt 0x0
	flat_load_b32 v10, v[10:11] scope:SCOPE_SYS
	s_wait_loadcnt_dscnt 0x0
	global_inv scope:SCOPE_SYS
	v_cmp_eq_u32_e64 s13, 0, v10
	s_and_b32 s13, s13, exec_lo
	s_delay_alu instid0(SALU_CYCLE_1)
	s_or_b32 s77, s73, s13
	s_mov_b32 s73, 0
	s_and_saveexec_b32 s78, s77
	s_cbranch_execz .LBB2_5326
	s_branch .LBB2_5325
.LBB2_5331:                             ;   in Loop: Header=BB2_5328 Depth=3
	s_add_co_i32 s73, s73, 1
	s_mov_b32 s76, -1
                                        ; implicit-def: $vgpr10
	s_and_saveexec_b32 s78, s77
	s_cbranch_execz .LBB2_5326
	s_branch .LBB2_5325
.LBB2_5332:                             ;   in Loop: Header=BB2_5322 Depth=2
	s_or_b32 exec_lo, exec_lo, s43
	s_xor_b32 s13, s62, -1
	s_delay_alu instid0(SALU_CYCLE_1) | instskip(NEXT) | instid1(SALU_CYCLE_1)
	s_and_saveexec_b32 s43, s13
	s_xor_b32 s13, exec_lo, s43
	s_cbranch_execz .LBB2_5334
; %bb.5333:                             ;   in Loop: Header=BB2_5322 Depth=2
	v_or_b32_e32 v30, 64, v30
	s_wait_storecnt 0x0
	s_wait_loadcnt_dscnt 0x0
	ds_store_b32 v0, v10
	s_trap 2
.LBB2_5334:                             ;   in Loop: Header=BB2_5322 Depth=2
	s_or_b32 exec_lo, exec_lo, s13
.LBB2_5335:                             ;   in Loop: Header=BB2_5322 Depth=2
	s_delay_alu instid0(SALU_CYCLE_1) | instskip(SKIP_2) | instid1(VALU_DEP_1)
	s_or_b32 exec_lo, exec_lo, s42
	v_and_b32_e32 v10, 0x108, v30
	;;#ASMSTART
	s_wakeup
	;;#ASMEND
	v_cmp_ne_u32_e32 vcc_lo, 0x108, v10
                                        ; implicit-def: $vgpr10_vgpr11
	s_and_saveexec_b32 s13, vcc_lo
	s_delay_alu instid0(SALU_CYCLE_1)
	s_xor_b32 s13, exec_lo, s13
; %bb.5336:                             ;   in Loop: Header=BB2_5322 Depth=2
	v_dual_mov_b32 v11, v3 :: v_dual_bitop2_b32 v10, 7, v98 bitop3:0x40
                                        ; implicit-def: $vgpr98_vgpr99
; %bb.5337:                             ;   in Loop: Header=BB2_5322 Depth=2
	s_and_not1_saveexec_b32 s13, s13
	s_cbranch_execz .LBB2_5339
; %bb.5338:                             ;   in Loop: Header=BB2_5322 Depth=2
	v_dual_ashrrev_i32 v113, 31, v112 :: v_dual_bitop2_b32 v10, 7, v98 bitop3:0x40
	v_mov_b32_e32 v11, v3
	s_delay_alu instid0(VALU_DEP_2)
	v_mad_nc_u64_u32 v[12:13], v10, 24, v[6:7]
	flat_store_b64 v[12:13], v[112:113] offset:8
.LBB2_5339:                             ;   in Loop: Header=BB2_5322 Depth=2
	s_wait_xcnt 0x0
	s_or_b32 exec_lo, exec_lo, s13
	v_and_b32_e32 v12, 0x100, v30
	s_mov_b32 s13, -1
	s_delay_alu instid0(VALU_DEP_1)
	v_cmp_ne_u32_e32 vcc_lo, 0, v12
                                        ; implicit-def: $vgpr12_vgpr13
	s_and_saveexec_b32 s42, vcc_lo
	s_cbranch_execz .LBB2_5343
; %bb.5340:                             ;   in Loop: Header=BB2_5322 Depth=2
	v_mad_nc_u64_u32 v[14:15], v10, 24, v[6:7]
	s_delay_alu instid0(VALU_DEP_1)
	v_mad_u32 v15, v11, 24, v15
	flat_load_b32 v12, v[14:15]
	s_wait_loadcnt_dscnt 0x0
	v_cmp_eq_u32_e64 s13, 1, v12
	v_cmp_ne_u32_e32 vcc_lo, 1, v12
                                        ; implicit-def: $vgpr12_vgpr13
	s_wait_xcnt 0x0
	s_and_saveexec_b32 s43, s13
	s_cbranch_execz .LBB2_5342
; %bb.5341:                             ;   in Loop: Header=BB2_5322 Depth=2
	flat_load_b32 v12, v[14:15] offset:4 scope:SCOPE_SYS
	s_wait_loadcnt_dscnt 0x0
	v_ashrrev_i32_e32 v13, 31, v12
.LBB2_5342:                             ;   in Loop: Header=BB2_5322 Depth=2
	s_wait_xcnt 0x0
	s_or_b32 exec_lo, exec_lo, s43
	s_delay_alu instid0(SALU_CYCLE_1)
	s_or_not1_b32 s13, vcc_lo, exec_lo
.LBB2_5343:                             ;   in Loop: Header=BB2_5322 Depth=2
	s_or_b32 exec_lo, exec_lo, s42
	s_and_saveexec_b32 s42, s13
; %bb.5344:                             ;   in Loop: Header=BB2_5322 Depth=2
	v_mul_u64_e32 v[12:13], v[10:11], v[24:25]
; %bb.5345:                             ;   in Loop: Header=BB2_5322 Depth=2
	s_or_b32 exec_lo, exec_lo, s42
	v_cmp_eq_u32_e32 vcc_lo, 0, v2
	s_delay_alu instid0(VALU_DEP_2) | instskip(SKIP_3) | instid1(VALU_DEP_1)
	v_add_nc_u64_e32 v[10:11], v[26:27], v[12:13]
	v_and_b32_e32 v14, 0x2000, v30
	s_mov_b32 s13, exec_lo
	v_cndmask_b32_e32 v2, 0xd0, v108, vcc_lo
	v_add_nc_u32_e32 v2, v0, v2
	ds_store_b64 v2, v[10:11] offset:584
	v_cmpx_ne_u32_e32 0, v14
	s_cbranch_execz .LBB2_5347
; %bb.5346:                             ;   in Loop: Header=BB2_5322 Depth=2
	ds_load_b64 v[10:11], v0 offset:872
	s_wait_dscnt 0x0
	v_add_nc_u64_e32 v[10:11], 1, v[10:11]
	ds_store_b64 v0, v[10:11] offset:872
.LBB2_5347:                             ;   in Loop: Header=BB2_5322 Depth=2
	s_or_b32 exec_lo, exec_lo, s13
	v_mov_b64_e32 v[98:99], v[8:9]
.LBB2_5348:                             ;   in Loop: Header=BB2_5322 Depth=2
	s_or_b32 exec_lo, exec_lo, s29
	s_xor_b32 s13, s18, -1
	s_delay_alu instid0(SALU_CYCLE_1) | instskip(NEXT) | instid1(SALU_CYCLE_1)
	s_and_b32 s13, exec_lo, s13
	s_or_b32 s15, s13, s15
	s_and_saveexec_b32 s13, s2
	s_cbranch_execz .LBB2_5367
; %bb.5349:                             ;   in Loop: Header=BB2_5322 Depth=2
	s_and_saveexec_b32 s18, s3
	s_delay_alu instid0(SALU_CYCLE_1)
	s_xor_b32 s18, exec_lo, s18
	s_cbranch_execz .LBB2_5364
; %bb.5350:                             ;   in Loop: Header=BB2_5322 Depth=2
	s_and_saveexec_b32 s29, s6
	s_cbranch_execz .LBB2_5363
; %bb.5351:                             ;   in Loop: Header=BB2_5322 Depth=2
	s_mov_b32 s43, exec_lo
	s_mov_b32 s42, exec_lo
	v_mbcnt_lo_u32_b32 v2, s43, 0
	global_wb scope:SCOPE_DEV
	s_wait_storecnt 0x0
	s_wait_loadcnt_dscnt 0x0
	global_inv scope:SCOPE_DEV
	v_cmpx_eq_u32_e32 0, v2
	s_cbranch_execz .LBB2_5353
; %bb.5352:                             ;   in Loop: Header=BB2_5322 Depth=2
	s_bcnt1_i32_b32 s43, s43
	s_delay_alu instid0(SALU_CYCLE_1)
	v_mov_b32_e32 v2, s43
	s_wait_loadcnt 0x0
	ds_add_u64 v0, v[2:3]
	s_trap 2
.LBB2_5353:                             ;   in Loop: Header=BB2_5322 Depth=2
	s_or_b32 exec_lo, exec_lo, s42
	s_trap 2
	ds_load_b64 v[8:9], v0
	s_wait_dscnt 0x0
	v_add_nc_u64_e32 v[32:33], v[32:33], v[36:37]
	s_mov_b32 s42, exec_lo
	s_delay_alu instid0(VALU_DEP_1)
	v_cmpx_lt_u64_e64 v[8:9], v[32:33]
	s_cbranch_execz .LBB2_5362
; %bb.5354:                             ;   in Loop: Header=BB2_5322 Depth=2
	s_mov_b32 s43, 0
	s_mov_b32 s72, 0
                                        ; implicit-def: $sgpr62
                                        ; implicit-def: $sgpr63
	s_branch .LBB2_5356
.LBB2_5355:                             ;   in Loop: Header=BB2_5356 Depth=3
	s_or_b32 exec_lo, exec_lo, s74
	s_delay_alu instid0(SALU_CYCLE_1) | instskip(NEXT) | instid1(SALU_CYCLE_1)
	s_and_b32 s73, exec_lo, s75
	s_or_b32 s43, s73, s43
	s_and_not1_b32 s62, s62, exec_lo
	s_and_b32 s73, s63, exec_lo
	s_delay_alu instid0(SALU_CYCLE_1)
	s_or_b32 s62, s62, s73
	s_and_not1_b32 exec_lo, exec_lo, s43
	s_cbranch_execz .LBB2_5360
.LBB2_5356:                             ;   Parent Loop BB2_47 Depth=1
                                        ;     Parent Loop BB2_5322 Depth=2
                                        ; =>    This Inner Loop Header: Depth=3
	s_add_co_i32 s72, s72, 1
	s_delay_alu instid0(SALU_CYCLE_1) | instskip(SKIP_1) | instid1(SALU_CYCLE_1)
	s_cmp_lg_u32 s72, 0x2710
	s_cselect_b32 s73, -1, 0
	s_and_b32 vcc_lo, exec_lo, s73
	s_cbranch_vccz .LBB2_5358
; %bb.5357:                             ;   in Loop: Header=BB2_5356 Depth=3
	s_mov_b32 s75, -1
	s_or_b32 s63, s63, exec_lo
	s_and_saveexec_b32 s74, s73
	s_cbranch_execz .LBB2_5355
	s_branch .LBB2_5359
.LBB2_5358:                             ;   in Loop: Header=BB2_5356 Depth=3
	s_trap 2
	ds_load_b64 v[8:9], v0
	s_and_not1_b32 s73, s73, exec_lo
	s_mov_b32 s72, 0
	s_wait_loadcnt_dscnt 0x0
	flat_load_b32 v2, v[8:9] scope:SCOPE_SYS
	s_wait_loadcnt_dscnt 0x0
	global_inv scope:SCOPE_SYS
	v_cmp_eq_u32_e32 vcc_lo, 0, v2
	s_and_b32 s74, vcc_lo, exec_lo
	s_delay_alu instid0(SALU_CYCLE_1)
	s_or_b32 s73, s73, s74
	s_mov_b32 s75, -1
	s_or_b32 s63, s63, exec_lo
	s_and_saveexec_b32 s74, s73
	s_cbranch_execz .LBB2_5355
.LBB2_5359:                             ;   in Loop: Header=BB2_5356 Depth=3
	s_sleep 1
	s_trap 2
	ds_load_b64 v[8:9], v0
	s_wait_dscnt 0x0
	s_and_not1_b32 s63, s63, exec_lo
	v_cmp_ge_u64_e32 vcc_lo, v[8:9], v[32:33]
	s_or_not1_b32 s75, vcc_lo, exec_lo
	s_branch .LBB2_5355
.LBB2_5360:                             ;   in Loop: Header=BB2_5322 Depth=2
	s_or_b32 exec_lo, exec_lo, s43
	s_and_saveexec_b32 s43, s62
	s_delay_alu instid0(SALU_CYCLE_1)
	s_xor_b32 s43, exec_lo, s43
	s_cbranch_execz .LBB2_5362
; %bb.5361:                             ;   in Loop: Header=BB2_5322 Depth=2
	ds_store_b32 v0, v107
	s_trap 2
.LBB2_5362:                             ;   in Loop: Header=BB2_5322 Depth=2
	s_or_b32 exec_lo, exec_lo, s42
	;;#ASMSTART
	s_wakeup
	;;#ASMEND
.LBB2_5363:                             ;   in Loop: Header=BB2_5322 Depth=2
	s_or_b32 exec_lo, exec_lo, s29
.LBB2_5364:                             ;   in Loop: Header=BB2_5322 Depth=2
	s_and_not1_saveexec_b32 s18, s18
	s_cbranch_execz .LBB2_5366
; %bb.5365:                             ;   in Loop: Header=BB2_5322 Depth=2
	global_wb scope:SCOPE_DEV
	s_wait_storecnt 0x0
	s_wait_loadcnt_dscnt 0x0
	global_inv scope:SCOPE_DEV
	s_barrier_signal -1
	s_barrier_wait -1
.LBB2_5366:                             ;   in Loop: Header=BB2_5322 Depth=2
	s_or_b32 exec_lo, exec_lo, s18
.LBB2_5367:                             ;   in Loop: Header=BB2_5322 Depth=2
	s_delay_alu instid0(SALU_CYCLE_1) | instskip(SKIP_2) | instid1(SALU_CYCLE_1)
	s_or_b32 exec_lo, exec_lo, s13
	v_and_b32_e32 v8, 16, v30
	s_and_saveexec_b32 s13, s7
	s_xor_b32 s18, exec_lo, s13
	s_cbranch_execz .LBB2_5371
; %bb.5368:                             ;   in Loop: Header=BB2_5322 Depth=2
	s_trap 2
	ds_load_b32 v2, v0
	v_cmp_lt_i32_e32 vcc_lo, 0, v112
	v_and_b32_e32 v8, 16, v30
	s_wait_dscnt 0x0
	v_readfirstlane_b32 s13, v2
	v_and_b32_e32 v2, 16, v30
	s_cmp_eq_u32 s13, 0
	s_delay_alu instid0(VALU_DEP_1) | instskip(SKIP_1) | instid1(SALU_CYCLE_1)
	v_cmp_ne_u32_e64 s13, 0, v2
	s_cselect_b32 s29, -1, 0
	s_and_b32 s29, vcc_lo, s29
	s_delay_alu instid0(SALU_CYCLE_1) | instskip(NEXT) | instid1(SALU_CYCLE_1)
	s_and_b32 s29, s13, s29
	s_and_saveexec_b32 s13, s29
	s_cbranch_execz .LBB2_5370
; %bb.5369:                             ;   in Loop: Header=BB2_5322 Depth=2
	v_mov_b32_e32 v8, 1
	global_wb scope:SCOPE_SYS
	s_wait_loadcnt 0x0
	s_wait_storecnt 0x0
	global_inv scope:SCOPE_SYS
.LBB2_5370:                             ;   in Loop: Header=BB2_5322 Depth=2
	s_or_b32 exec_lo, exec_lo, s13
.LBB2_5371:                             ;   in Loop: Header=BB2_5322 Depth=2
	s_and_not1_saveexec_b32 s13, s18
	s_cbranch_execz .LBB2_5390
; %bb.5372:                             ;   in Loop: Header=BB2_5322 Depth=2
	s_and_saveexec_b32 s18, s3
	s_delay_alu instid0(SALU_CYCLE_1)
	s_xor_b32 s18, exec_lo, s18
	s_cbranch_execz .LBB2_5387
; %bb.5373:                             ;   in Loop: Header=BB2_5322 Depth=2
	s_and_saveexec_b32 s29, s6
	s_cbranch_execz .LBB2_5386
; %bb.5374:                             ;   in Loop: Header=BB2_5322 Depth=2
	s_mov_b32 s43, exec_lo
	s_mov_b32 s42, exec_lo
	v_mbcnt_lo_u32_b32 v2, s43, 0
	;;#ASMSTART
	s_waitcnt lgkmcnt(0) vmcnt(0)
	;;#ASMEND
	s_delay_alu instid0(VALU_DEP_1)
	v_cmpx_eq_u32_e32 0, v2
	s_cbranch_execz .LBB2_5376
; %bb.5375:                             ;   in Loop: Header=BB2_5322 Depth=2
	s_bcnt1_i32_b32 s43, s43
	s_delay_alu instid0(SALU_CYCLE_1)
	v_mov_b32_e32 v2, s43
	s_wait_storecnt 0x0
	s_wait_loadcnt_dscnt 0x0
	ds_add_u64 v0, v[2:3]
	s_trap 2
.LBB2_5376:                             ;   in Loop: Header=BB2_5322 Depth=2
	s_or_b32 exec_lo, exec_lo, s42
	s_trap 2
	ds_load_b64 v[10:11], v0
	s_wait_dscnt 0x0
	v_add_nc_u64_e32 v[32:33], v[32:33], v[36:37]
	s_mov_b32 s42, exec_lo
	s_delay_alu instid0(VALU_DEP_1)
	v_cmpx_lt_u64_e64 v[10:11], v[32:33]
	s_cbranch_execz .LBB2_5385
; %bb.5377:                             ;   in Loop: Header=BB2_5322 Depth=2
	s_mov_b32 s43, 0
	s_mov_b32 s72, 0
                                        ; implicit-def: $sgpr62
                                        ; implicit-def: $sgpr63
	s_branch .LBB2_5379
.LBB2_5378:                             ;   in Loop: Header=BB2_5379 Depth=3
	s_or_b32 exec_lo, exec_lo, s74
	s_delay_alu instid0(SALU_CYCLE_1) | instskip(NEXT) | instid1(SALU_CYCLE_1)
	s_and_b32 s73, exec_lo, s75
	s_or_b32 s43, s73, s43
	s_and_not1_b32 s62, s62, exec_lo
	s_and_b32 s73, s63, exec_lo
	s_delay_alu instid0(SALU_CYCLE_1)
	s_or_b32 s62, s62, s73
	s_and_not1_b32 exec_lo, exec_lo, s43
	s_cbranch_execz .LBB2_5383
.LBB2_5379:                             ;   Parent Loop BB2_47 Depth=1
                                        ;     Parent Loop BB2_5322 Depth=2
                                        ; =>    This Inner Loop Header: Depth=3
	s_add_co_i32 s72, s72, 1
	s_delay_alu instid0(SALU_CYCLE_1) | instskip(SKIP_1) | instid1(SALU_CYCLE_1)
	s_cmp_lg_u32 s72, 0x2710
	s_cselect_b32 s73, -1, 0
	s_and_b32 vcc_lo, exec_lo, s73
	s_cbranch_vccz .LBB2_5381
; %bb.5380:                             ;   in Loop: Header=BB2_5379 Depth=3
	s_mov_b32 s75, -1
	s_or_b32 s63, s63, exec_lo
	s_and_saveexec_b32 s74, s73
	s_cbranch_execz .LBB2_5378
	s_branch .LBB2_5382
.LBB2_5381:                             ;   in Loop: Header=BB2_5379 Depth=3
	s_trap 2
	ds_load_b64 v[10:11], v0
	s_and_not1_b32 s73, s73, exec_lo
	s_mov_b32 s72, 0
	s_wait_storecnt 0x0
	s_wait_loadcnt_dscnt 0x0
	flat_load_b32 v2, v[10:11] scope:SCOPE_SYS
	s_wait_loadcnt_dscnt 0x0
	global_inv scope:SCOPE_SYS
	v_cmp_eq_u32_e32 vcc_lo, 0, v2
	s_and_b32 s74, vcc_lo, exec_lo
	s_delay_alu instid0(SALU_CYCLE_1)
	s_or_b32 s73, s73, s74
	s_mov_b32 s75, -1
	s_or_b32 s63, s63, exec_lo
	s_and_saveexec_b32 s74, s73
	s_cbranch_execz .LBB2_5378
.LBB2_5382:                             ;   in Loop: Header=BB2_5379 Depth=3
	s_sleep 1
	s_trap 2
	ds_load_b64 v[10:11], v0
	s_wait_dscnt 0x0
	s_and_not1_b32 s63, s63, exec_lo
	v_cmp_ge_u64_e32 vcc_lo, v[10:11], v[32:33]
	s_or_not1_b32 s75, vcc_lo, exec_lo
	s_branch .LBB2_5378
.LBB2_5383:                             ;   in Loop: Header=BB2_5322 Depth=2
	s_or_b32 exec_lo, exec_lo, s43
	s_and_saveexec_b32 s43, s62
	s_delay_alu instid0(SALU_CYCLE_1)
	s_xor_b32 s43, exec_lo, s43
	s_cbranch_execz .LBB2_5385
; %bb.5384:                             ;   in Loop: Header=BB2_5322 Depth=2
	ds_store_b32 v0, v107
	s_trap 2
.LBB2_5385:                             ;   in Loop: Header=BB2_5322 Depth=2
	s_or_b32 exec_lo, exec_lo, s42
	;;#ASMSTART
	s_wakeup
	;;#ASMEND
.LBB2_5386:                             ;   in Loop: Header=BB2_5322 Depth=2
	s_or_b32 exec_lo, exec_lo, s29
.LBB2_5387:                             ;   in Loop: Header=BB2_5322 Depth=2
	s_and_not1_saveexec_b32 s18, s18
	s_cbranch_execz .LBB2_5389
; %bb.5388:                             ;   in Loop: Header=BB2_5322 Depth=2
	;;#ASMSTART
	s_waitcnt lgkmcnt(0) vmcnt(0)
	;;#ASMEND
	s_barrier_signal -1
	s_barrier_wait -1
.LBB2_5389:                             ;   in Loop: Header=BB2_5322 Depth=2
	s_or_b32 exec_lo, exec_lo, s18
.LBB2_5390:                             ;   in Loop: Header=BB2_5322 Depth=2
	s_delay_alu instid0(SALU_CYCLE_1) | instskip(SKIP_2) | instid1(SALU_CYCLE_1)
	s_or_b32 exec_lo, exec_lo, s13
	v_cmp_ne_u32_e32 vcc_lo, 0, v8
	s_xor_b32 s13, s4, -1
	s_and_b32 s18, vcc_lo, s13
	s_delay_alu instid0(SALU_CYCLE_1)
	s_and_saveexec_b32 s13, s18
	s_cbranch_execz .LBB2_5392
; %bb.5391:                             ;   in Loop: Header=BB2_5322 Depth=2
	global_wb scope:SCOPE_SYS
	s_wait_storecnt 0x0
	s_wait_loadcnt_dscnt 0x0
	flat_store_b32 v[28:29], v107 scope:SCOPE_SYS
.LBB2_5392:                             ;   in Loop: Header=BB2_5322 Depth=2
	s_wait_xcnt 0x0
	s_or_b32 exec_lo, exec_lo, s13
	v_and_b32_e32 v2, 48, v30
	s_mov_b32 s13, exec_lo
	s_delay_alu instid0(VALU_DEP_1)
	v_cmpx_ne_u32_e32 0, v2
	s_cbranch_execz .LBB2_5321
; %bb.5393:                             ;   in Loop: Header=BB2_5322 Depth=2
	v_add_nc_u64_e32 v[98:99], 2, v[98:99]
	global_wb scope:SCOPE_SYS
	s_wait_storecnt 0x0
	s_wait_loadcnt_dscnt 0x0
	flat_store_b64 v[22:23], v[98:99] scope:SCOPE_SYS
	s_branch .LBB2_5321
.LBB2_5394:                             ;   in Loop: Header=BB2_47 Depth=1
	s_or_b32 exec_lo, exec_lo, s15
.LBB2_5395:                             ;   in Loop: Header=BB2_47 Depth=1
	s_delay_alu instid0(SALU_CYCLE_1) | instskip(NEXT) | instid1(SALU_CYCLE_1)
	s_or_b32 exec_lo, exec_lo, s14
	s_and_not1_b32 vcc_lo, exec_lo, s56
	s_cbranch_vccnz .LBB2_5658
; %bb.5396:                             ;   in Loop: Header=BB2_47 Depth=1
	s_mov_b32 s18, 1
.LBB2_5397:                             ;   Parent Loop BB2_47 Depth=1
                                        ; =>  This Loop Header: Depth=2
                                        ;       Child Loop BB2_5400 Depth 3
                                        ;         Child Loop BB2_5408 Depth 4
                                        ;         Child Loop BB2_5436 Depth 4
	;; [unrolled: 1-line block ×4, first 2 shown]
                                        ;           Child Loop BB2_5479 Depth 5
                                        ;         Child Loop BB2_5485 Depth 4
                                        ;           Child Loop BB2_5486 Depth 5
                                        ;         Child Loop BB2_5495 Depth 4
                                        ;         Child Loop BB2_5500 Depth 4
                                        ;           Child Loop BB2_5501 Depth 5
                                        ;         Child Loop BB2_5513 Depth 4
                                        ;         Child Loop BB2_5518 Depth 4
	;; [unrolled: 1-line block ×6, first 2 shown]
                                        ;       Child Loop BB2_5583 Depth 3
                                        ;         Child Loop BB2_5589 Depth 4
                                        ;         Child Loop BB2_5617 Depth 4
	;; [unrolled: 1-line block ×3, first 2 shown]
	s_delay_alu instid0(SALU_CYCLE_1) | instskip(SKIP_4) | instid1(SALU_CYCLE_1)
	s_sub_co_i32 s13, s46, s18
	s_mov_b32 s62, 0
	s_cmp_ge_i32 s13, s16
	v_mov_b32_e32 v14, 0
	s_cselect_b32 s14, s16, 0
	s_sub_co_i32 s14, s13, s14
	s_delay_alu instid0(SALU_CYCLE_1) | instskip(NEXT) | instid1(SALU_CYCLE_1)
	s_ashr_i32 s15, s14, 31
	v_mul_u64_e32 v[8:9], s[14:15], v[96:97]
	s_delay_alu instid0(VALU_DEP_1) | instskip(NEXT) | instid1(VALU_DEP_1)
	v_sub_nc_u64_e32 v[10:11], v[100:101], v[8:9]
	v_min_i64 v[10:11], v[96:97], v[10:11]
	s_delay_alu instid0(VALU_DEP_1) | instskip(SKIP_1) | instid1(VALU_DEP_2)
	v_max_i32_e32 v18, 0, v10
	v_cmp_lt_i32_e32 vcc_lo, 0, v10
	v_add_nc_u32_e32 v2, 31, v18
	s_and_b32 s13, s59, vcc_lo
	s_delay_alu instid0(VALU_DEP_1) | instskip(NEXT) | instid1(VALU_DEP_1)
	v_lshrrev_b32_e32 v2, 1, v2
	v_and_b32_e32 v11, 0x3ffffff0, v2
	s_delay_alu instid0(VALU_DEP_1)
	v_dual_mov_b32 v2, 0 :: v_dual_max_i32 v12, s47, v11
	s_and_saveexec_b32 s29, s13
	s_cbranch_execz .LBB2_5580
; %bb.5398:                             ;   in Loop: Header=BB2_5397 Depth=2
	v_add_nc_u64_e32 v[112:113], v[8:9], v[102:103]
	v_mov_b32_e32 v14, 0
	s_mov_b32 s72, 1
	s_mov_b32 s63, -1
	s_branch .LBB2_5400
.LBB2_5399:                             ;   in Loop: Header=BB2_5400 Depth=3
	s_wait_xcnt 0x0
	s_or_b32 exec_lo, exec_lo, s13
	v_dual_add_nc_u32 v14, v12, v14 :: v_dual_mov_b32 v2, s72
	s_xor_b32 s13, s63, -1
	s_mov_b32 s63, 0
	s_mov_b32 s72, 2
	s_delay_alu instid0(VALU_DEP_1) | instskip(SKIP_1) | instid1(SALU_CYCLE_1)
	v_cmp_ge_i32_e32 vcc_lo, v14, v18
	s_or_b32 s13, s13, vcc_lo
	s_and_b32 s13, exec_lo, s13
	s_delay_alu instid0(SALU_CYCLE_1) | instskip(NEXT) | instid1(SALU_CYCLE_1)
	s_or_b32 s62, s13, s62
	s_and_not1_b32 exec_lo, exec_lo, s62
	s_cbranch_execz .LBB2_5579
.LBB2_5400:                             ;   Parent Loop BB2_47 Depth=1
                                        ;     Parent Loop BB2_5397 Depth=2
                                        ; =>    This Loop Header: Depth=3
                                        ;         Child Loop BB2_5408 Depth 4
                                        ;         Child Loop BB2_5436 Depth 4
	;; [unrolled: 1-line block ×4, first 2 shown]
                                        ;           Child Loop BB2_5479 Depth 5
                                        ;         Child Loop BB2_5485 Depth 4
                                        ;           Child Loop BB2_5486 Depth 5
                                        ;         Child Loop BB2_5495 Depth 4
                                        ;         Child Loop BB2_5500 Depth 4
                                        ;           Child Loop BB2_5501 Depth 5
                                        ;         Child Loop BB2_5513 Depth 4
                                        ;         Child Loop BB2_5518 Depth 4
	;; [unrolled: 1-line block ×6, first 2 shown]
	s_and_saveexec_b32 s13, s0
	s_cbranch_execz .LBB2_5402
; %bb.5401:                             ;   in Loop: Header=BB2_5400 Depth=3
	s_trap 2
	ds_load_b128 v[8:11], v0
	s_wait_dscnt 0x0
	v_add_nc_u64_e32 v[20:21], v[10:11], v[112:113]
	v_cmp_ne_u64_e32 vcc_lo, 0, v[10:11]
	v_ashrrev_i32_e32 v15, 31, v14
	v_add_nc_u64_e32 v[8:9], v[8:9], v[112:113]
	s_delay_alu instid0(VALU_DEP_2) | instskip(NEXT) | instid1(VALU_DEP_1)
	v_add_nc_u64_e32 v[20:21], v[20:21], v[14:15]
	v_cndmask_b32_e32 v11, 0, v21, vcc_lo
	s_delay_alu instid0(VALU_DEP_3) | instskip(NEXT) | instid1(VALU_DEP_3)
	v_add_nc_u64_e32 v[8:9], v[8:9], v[14:15]
	v_cndmask_b32_e32 v10, 0, v20, vcc_lo
	ds_store_b64 v0, v[8:9]
	ds_store_b64 v0, v[10:11]
.LBB2_5402:                             ;   in Loop: Header=BB2_5400 Depth=3
	s_or_b32 exec_lo, exec_lo, s13
	v_sub_nc_u32_e32 v2, v18, v14
	v_and_b32_e32 v8, 12, v30
	s_mov_b32 s14, exec_lo
	s_delay_alu instid0(VALU_DEP_2) | instskip(NEXT) | instid1(VALU_DEP_2)
	v_min_i32_e32 v12, v12, v2
	v_cmpx_ne_u32_e32 0, v8
	s_cbranch_execz .LBB2_5428
; %bb.5403:                             ;   in Loop: Header=BB2_5400 Depth=3
	v_and_b32_e32 v2, 8, v30
	v_add_nc_u64_e32 v[8:9], 2, v[98:99]
	s_mov_b32 s15, exec_lo
	s_wait_loadcnt_dscnt 0x1
	s_delay_alu instid0(VALU_DEP_2) | instskip(NEXT) | instid1(VALU_DEP_1)
	v_add_nc_u64_e32 v[10:11], v[34:35], v[2:3]
	v_cmpx_lt_u64_e64 v[10:11], v[8:9]
	s_cbranch_execz .LBB2_5415
; %bb.5404:                             ;   in Loop: Header=BB2_5400 Depth=3
	v_and_b32_e32 v10, 64, v30
	s_mov_b32 s42, 0
	s_mov_b32 s75, 0
                                        ; implicit-def: $sgpr43
                                        ; implicit-def: $sgpr73
                                        ; implicit-def: $sgpr74
	s_delay_alu instid0(VALU_DEP_1)
	v_cmp_eq_u32_e32 vcc_lo, 0, v10
	s_branch .LBB2_5408
.LBB2_5405:                             ;   in Loop: Header=BB2_5408 Depth=4
	s_wait_loadcnt_dscnt 0x0
	v_add_nc_u64_e32 v[20:21], v[34:35], v[2:3]
	s_or_b32 s78, s78, exec_lo
	s_delay_alu instid0(VALU_DEP_1)
	v_cmp_ge_u64_e64 s13, v[20:21], v[8:9]
	s_or_not1_b32 s77, s13, exec_lo
.LBB2_5406:                             ;   in Loop: Header=BB2_5408 Depth=4
	s_or_b32 exec_lo, exec_lo, s88
	s_delay_alu instid0(SALU_CYCLE_1)
	s_and_not1_b32 s13, s74, exec_lo
	s_and_b32 s74, s78, exec_lo
	s_and_not1_b32 s73, s73, exec_lo
	s_and_b32 s77, s77, exec_lo
	s_or_b32 s74, s13, s74
	s_or_b32 s73, s73, s77
.LBB2_5407:                             ;   in Loop: Header=BB2_5408 Depth=4
	s_or_b32 exec_lo, exec_lo, s76
	s_delay_alu instid0(SALU_CYCLE_1) | instskip(NEXT) | instid1(SALU_CYCLE_1)
	s_and_b32 s13, exec_lo, s73
	s_or_b32 s42, s13, s42
	s_and_not1_b32 s13, s43, exec_lo
	s_and_b32 s43, s74, exec_lo
	s_delay_alu instid0(SALU_CYCLE_1)
	s_or_b32 s43, s13, s43
	s_and_not1_b32 exec_lo, exec_lo, s42
	s_cbranch_execz .LBB2_5412
.LBB2_5408:                             ;   Parent Loop BB2_47 Depth=1
                                        ;     Parent Loop BB2_5397 Depth=2
                                        ;       Parent Loop BB2_5400 Depth=3
                                        ; =>      This Inner Loop Header: Depth=4
	s_sleep 1
	s_wait_loadcnt_dscnt 0x0
	flat_load_b64 v[34:35], v[22:23] scope:SCOPE_SYS
	s_or_b32 s74, s74, exec_lo
	s_or_b32 s73, s73, exec_lo
                                        ; implicit-def: $vgpr10
	s_wait_xcnt 0x0
	s_and_saveexec_b32 s76, vcc_lo
	s_cbranch_execz .LBB2_5407
; %bb.5409:                             ;   in Loop: Header=BB2_5408 Depth=4
	s_cmp_lt_i32 s75, 0x270f
	s_mov_b32 s77, -1
	s_cselect_b32 s79, -1, 0
	s_cmp_gt_i32 s75, 0x270e
	s_cbranch_scc0 .LBB2_5411
; %bb.5410:                             ;   in Loop: Header=BB2_5408 Depth=4
	s_trap 2
	ds_load_b64 v[10:11], v0
	s_and_not1_b32 s75, s79, exec_lo
	s_mov_b32 s78, 0
	s_wait_storecnt 0x0
	s_wait_loadcnt_dscnt 0x0
	flat_load_b32 v10, v[10:11] scope:SCOPE_SYS
	s_wait_loadcnt_dscnt 0x0
	global_inv scope:SCOPE_SYS
	v_cmp_eq_u32_e64 s13, 0, v10
	s_and_b32 s13, s13, exec_lo
	s_delay_alu instid0(SALU_CYCLE_1)
	s_or_b32 s79, s75, s13
	s_mov_b32 s75, 0
	s_and_saveexec_b32 s88, s79
	s_cbranch_execz .LBB2_5406
	s_branch .LBB2_5405
.LBB2_5411:                             ;   in Loop: Header=BB2_5408 Depth=4
	s_add_co_i32 s75, s75, 1
	s_mov_b32 s78, -1
                                        ; implicit-def: $vgpr10
	s_and_saveexec_b32 s88, s79
	s_cbranch_execz .LBB2_5406
	s_branch .LBB2_5405
.LBB2_5412:                             ;   in Loop: Header=BB2_5400 Depth=3
	s_or_b32 exec_lo, exec_lo, s42
	s_xor_b32 s13, s43, -1
	s_delay_alu instid0(SALU_CYCLE_1) | instskip(NEXT) | instid1(SALU_CYCLE_1)
	s_and_saveexec_b32 s42, s13
	s_xor_b32 s13, exec_lo, s42
	s_cbranch_execz .LBB2_5414
; %bb.5413:                             ;   in Loop: Header=BB2_5400 Depth=3
	v_or_b32_e32 v30, 64, v30
	s_wait_storecnt 0x0
	s_wait_loadcnt_dscnt 0x0
	ds_store_b32 v0, v10
	s_trap 2
.LBB2_5414:                             ;   in Loop: Header=BB2_5400 Depth=3
	s_or_b32 exec_lo, exec_lo, s13
.LBB2_5415:                             ;   in Loop: Header=BB2_5400 Depth=3
	s_delay_alu instid0(SALU_CYCLE_1) | instskip(SKIP_2) | instid1(VALU_DEP_1)
	s_or_b32 exec_lo, exec_lo, s15
	v_and_b32_e32 v10, 0x108, v30
	;;#ASMSTART
	s_wakeup
	;;#ASMEND
	v_cmp_ne_u32_e32 vcc_lo, 0x108, v10
                                        ; implicit-def: $vgpr10_vgpr11
	s_and_saveexec_b32 s13, vcc_lo
	s_delay_alu instid0(SALU_CYCLE_1)
	s_xor_b32 s13, exec_lo, s13
; %bb.5416:                             ;   in Loop: Header=BB2_5400 Depth=3
	v_dual_mov_b32 v11, v3 :: v_dual_bitop2_b32 v10, 7, v98 bitop3:0x40
                                        ; implicit-def: $vgpr98_vgpr99
; %bb.5417:                             ;   in Loop: Header=BB2_5400 Depth=3
	s_and_not1_saveexec_b32 s13, s13
	s_cbranch_execz .LBB2_5419
; %bb.5418:                             ;   in Loop: Header=BB2_5400 Depth=3
	v_dual_ashrrev_i32 v13, 31, v12 :: v_dual_bitop2_b32 v10, 7, v98 bitop3:0x40
	v_mov_b32_e32 v11, v3
	s_delay_alu instid0(VALU_DEP_2)
	v_mad_nc_u64_u32 v[20:21], v10, 24, v[6:7]
	flat_store_b64 v[20:21], v[12:13] offset:8
.LBB2_5419:                             ;   in Loop: Header=BB2_5400 Depth=3
	s_wait_xcnt 0x0
	s_or_b32 exec_lo, exec_lo, s13
	v_and_b32_e32 v13, 0x100, v30
	s_mov_b32 s13, -1
	s_mov_b32 s15, exec_lo
                                        ; implicit-def: $vgpr98_vgpr99
	s_delay_alu instid0(VALU_DEP_1)
	v_cmpx_ne_u32_e32 0, v13
	s_cbranch_execz .LBB2_5423
; %bb.5420:                             ;   in Loop: Header=BB2_5400 Depth=3
	v_mad_nc_u64_u32 v[114:115], v10, 24, v[6:7]
	s_mov_b32 s42, exec_lo
                                        ; implicit-def: $vgpr98_vgpr99
	s_delay_alu instid0(VALU_DEP_1)
	v_mad_u32 v115, v11, 24, v115
	flat_load_b32 v13, v[114:115]
	s_wait_loadcnt_dscnt 0x0
	v_cmp_ne_u32_e32 vcc_lo, 1, v13
	s_wait_xcnt 0x0
	v_cmpx_eq_u32_e32 1, v13
	s_cbranch_execz .LBB2_5422
; %bb.5421:                             ;   in Loop: Header=BB2_5400 Depth=3
	flat_load_b32 v98, v[114:115] offset:4 scope:SCOPE_SYS
	s_wait_loadcnt_dscnt 0x0
	v_ashrrev_i32_e32 v99, 31, v98
.LBB2_5422:                             ;   in Loop: Header=BB2_5400 Depth=3
	s_wait_xcnt 0x0
	s_or_b32 exec_lo, exec_lo, s42
	s_delay_alu instid0(SALU_CYCLE_1)
	s_or_not1_b32 s13, vcc_lo, exec_lo
.LBB2_5423:                             ;   in Loop: Header=BB2_5400 Depth=3
	s_or_b32 exec_lo, exec_lo, s15
	s_and_saveexec_b32 s15, s13
; %bb.5424:                             ;   in Loop: Header=BB2_5400 Depth=3
	v_mul_u64_e32 v[98:99], v[10:11], v[24:25]
; %bb.5425:                             ;   in Loop: Header=BB2_5400 Depth=3
	s_or_b32 exec_lo, exec_lo, s15
	v_cmp_eq_u32_e32 vcc_lo, 0, v2
	s_delay_alu instid0(VALU_DEP_2) | instskip(SKIP_3) | instid1(VALU_DEP_1)
	v_add_nc_u64_e32 v[10:11], v[26:27], v[98:99]
	v_and_b32_e32 v13, 0x2000, v30
	s_mov_b32 s13, exec_lo
	v_cndmask_b32_e32 v2, 0xd0, v111, vcc_lo
	v_add_nc_u32_e32 v2, v0, v2
	ds_store_b64 v2, v[10:11] offset:584
	v_cmpx_ne_u32_e32 0, v13
	s_cbranch_execz .LBB2_5427
; %bb.5426:                             ;   in Loop: Header=BB2_5400 Depth=3
	ds_load_b64 v[10:11], v0 offset:872
	s_wait_dscnt 0x0
	v_add_nc_u64_e32 v[10:11], 1, v[10:11]
	ds_store_b64 v0, v[10:11] offset:872
.LBB2_5427:                             ;   in Loop: Header=BB2_5400 Depth=3
	s_or_b32 exec_lo, exec_lo, s13
	v_mov_b64_e32 v[98:99], v[8:9]
.LBB2_5428:                             ;   in Loop: Header=BB2_5400 Depth=3
	s_or_b32 exec_lo, exec_lo, s14
	s_and_saveexec_b32 s13, s2
	s_cbranch_execz .LBB2_5447
; %bb.5429:                             ;   in Loop: Header=BB2_5400 Depth=3
	s_and_saveexec_b32 s14, s3
	s_delay_alu instid0(SALU_CYCLE_1)
	s_xor_b32 s14, exec_lo, s14
	s_cbranch_execz .LBB2_5444
; %bb.5430:                             ;   in Loop: Header=BB2_5400 Depth=3
	s_and_saveexec_b32 s15, s6
	s_cbranch_execz .LBB2_5443
; %bb.5431:                             ;   in Loop: Header=BB2_5400 Depth=3
	s_mov_b32 s43, exec_lo
	s_mov_b32 s42, exec_lo
	v_mbcnt_lo_u32_b32 v2, s43, 0
	global_wb scope:SCOPE_DEV
	s_wait_storecnt 0x0
	s_wait_loadcnt_dscnt 0x0
	global_inv scope:SCOPE_DEV
	v_cmpx_eq_u32_e32 0, v2
	s_cbranch_execz .LBB2_5433
; %bb.5432:                             ;   in Loop: Header=BB2_5400 Depth=3
	s_bcnt1_i32_b32 s43, s43
	s_delay_alu instid0(SALU_CYCLE_1)
	v_mov_b32_e32 v2, s43
	s_wait_loadcnt 0x0
	ds_add_u64 v0, v[2:3]
	s_trap 2
.LBB2_5433:                             ;   in Loop: Header=BB2_5400 Depth=3
	s_or_b32 exec_lo, exec_lo, s42
	s_trap 2
	ds_load_b64 v[8:9], v0
	s_wait_dscnt 0x0
	v_add_nc_u64_e32 v[32:33], v[32:33], v[36:37]
	s_mov_b32 s42, exec_lo
	s_delay_alu instid0(VALU_DEP_1)
	v_cmpx_lt_u64_e64 v[8:9], v[32:33]
	s_cbranch_execz .LBB2_5442
; %bb.5434:                             ;   in Loop: Header=BB2_5400 Depth=3
	s_mov_b32 s43, 0
	s_mov_b32 s75, 0
                                        ; implicit-def: $sgpr73
                                        ; implicit-def: $sgpr74
	s_branch .LBB2_5436
.LBB2_5435:                             ;   in Loop: Header=BB2_5436 Depth=4
	s_or_b32 exec_lo, exec_lo, s77
	s_delay_alu instid0(SALU_CYCLE_1) | instskip(NEXT) | instid1(SALU_CYCLE_1)
	s_and_b32 s76, exec_lo, s78
	s_or_b32 s43, s76, s43
	s_and_not1_b32 s73, s73, exec_lo
	s_and_b32 s76, s74, exec_lo
	s_delay_alu instid0(SALU_CYCLE_1)
	s_or_b32 s73, s73, s76
	s_and_not1_b32 exec_lo, exec_lo, s43
	s_cbranch_execz .LBB2_5440
.LBB2_5436:                             ;   Parent Loop BB2_47 Depth=1
                                        ;     Parent Loop BB2_5397 Depth=2
                                        ;       Parent Loop BB2_5400 Depth=3
                                        ; =>      This Inner Loop Header: Depth=4
	s_add_co_i32 s75, s75, 1
	s_delay_alu instid0(SALU_CYCLE_1) | instskip(SKIP_1) | instid1(SALU_CYCLE_1)
	s_cmp_lg_u32 s75, 0x2710
	s_cselect_b32 s76, -1, 0
	s_and_b32 vcc_lo, exec_lo, s76
	s_cbranch_vccz .LBB2_5438
; %bb.5437:                             ;   in Loop: Header=BB2_5436 Depth=4
	s_mov_b32 s78, -1
	s_or_b32 s74, s74, exec_lo
	s_and_saveexec_b32 s77, s76
	s_cbranch_execz .LBB2_5435
	s_branch .LBB2_5439
.LBB2_5438:                             ;   in Loop: Header=BB2_5436 Depth=4
	s_trap 2
	ds_load_b64 v[8:9], v0
	s_and_not1_b32 s76, s76, exec_lo
	s_mov_b32 s75, 0
	s_wait_loadcnt_dscnt 0x0
	flat_load_b32 v2, v[8:9] scope:SCOPE_SYS
	s_wait_loadcnt_dscnt 0x0
	global_inv scope:SCOPE_SYS
	v_cmp_eq_u32_e32 vcc_lo, 0, v2
	s_and_b32 s77, vcc_lo, exec_lo
	s_delay_alu instid0(SALU_CYCLE_1)
	s_or_b32 s76, s76, s77
	s_mov_b32 s78, -1
	s_or_b32 s74, s74, exec_lo
	s_and_saveexec_b32 s77, s76
	s_cbranch_execz .LBB2_5435
.LBB2_5439:                             ;   in Loop: Header=BB2_5436 Depth=4
	s_sleep 1
	s_trap 2
	ds_load_b64 v[8:9], v0
	s_wait_dscnt 0x0
	s_and_not1_b32 s74, s74, exec_lo
	v_cmp_ge_u64_e32 vcc_lo, v[8:9], v[32:33]
	s_or_not1_b32 s78, vcc_lo, exec_lo
	s_branch .LBB2_5435
.LBB2_5440:                             ;   in Loop: Header=BB2_5400 Depth=3
	s_or_b32 exec_lo, exec_lo, s43
	s_and_saveexec_b32 s43, s73
	s_delay_alu instid0(SALU_CYCLE_1)
	s_xor_b32 s43, exec_lo, s43
	s_cbranch_execz .LBB2_5442
; %bb.5441:                             ;   in Loop: Header=BB2_5400 Depth=3
	ds_store_b32 v0, v107
	s_trap 2
.LBB2_5442:                             ;   in Loop: Header=BB2_5400 Depth=3
	s_or_b32 exec_lo, exec_lo, s42
	;;#ASMSTART
	s_wakeup
	;;#ASMEND
.LBB2_5443:                             ;   in Loop: Header=BB2_5400 Depth=3
	s_or_b32 exec_lo, exec_lo, s15
.LBB2_5444:                             ;   in Loop: Header=BB2_5400 Depth=3
	s_and_not1_saveexec_b32 s14, s14
	s_cbranch_execz .LBB2_5446
; %bb.5445:                             ;   in Loop: Header=BB2_5400 Depth=3
	global_wb scope:SCOPE_DEV
	s_wait_storecnt 0x0
	s_wait_loadcnt_dscnt 0x0
	global_inv scope:SCOPE_DEV
	s_barrier_signal -1
	s_barrier_wait -1
.LBB2_5446:                             ;   in Loop: Header=BB2_5400 Depth=3
	s_or_b32 exec_lo, exec_lo, s14
.LBB2_5447:                             ;   in Loop: Header=BB2_5400 Depth=3
	s_delay_alu instid0(SALU_CYCLE_1) | instskip(SKIP_4) | instid1(VALU_DEP_1)
	s_or_b32 exec_lo, exec_lo, s13
	s_trap 2
	ds_load_b32 v8, v0
	v_and_b32_e32 v2, 0x4000, v30
	s_xor_b32 s13, s1, -1
	v_cmp_ne_u32_e32 vcc_lo, 0, v2
	s_and_b32 s14, s13, vcc_lo
	s_delay_alu instid0(SALU_CYCLE_1)
	s_and_saveexec_b32 s13, s14
	s_cbranch_execz .LBB2_5466
; %bb.5448:                             ;   in Loop: Header=BB2_5400 Depth=3
	s_and_saveexec_b32 s14, s3
	s_delay_alu instid0(SALU_CYCLE_1)
	s_xor_b32 s14, exec_lo, s14
	s_cbranch_execz .LBB2_5463
; %bb.5449:                             ;   in Loop: Header=BB2_5400 Depth=3
	s_and_saveexec_b32 s15, s6
	s_cbranch_execz .LBB2_5462
; %bb.5450:                             ;   in Loop: Header=BB2_5400 Depth=3
	s_mov_b32 s43, exec_lo
	s_mov_b32 s42, exec_lo
	v_mbcnt_lo_u32_b32 v2, s43, 0
	global_wb scope:SCOPE_DEV
	s_wait_storecnt 0x0
	s_wait_loadcnt_dscnt 0x0
	global_inv scope:SCOPE_DEV
	v_cmpx_eq_u32_e32 0, v2
	s_cbranch_execz .LBB2_5452
; %bb.5451:                             ;   in Loop: Header=BB2_5400 Depth=3
	s_bcnt1_i32_b32 s43, s43
	s_delay_alu instid0(SALU_CYCLE_1)
	v_mov_b32_e32 v2, s43
	s_wait_loadcnt 0x0
	ds_add_u64 v0, v[2:3]
	s_trap 2
.LBB2_5452:                             ;   in Loop: Header=BB2_5400 Depth=3
	s_or_b32 exec_lo, exec_lo, s42
	s_trap 2
	ds_load_b64 v[10:11], v0
	s_wait_dscnt 0x0
	v_add_nc_u64_e32 v[32:33], v[32:33], v[36:37]
	s_mov_b32 s42, exec_lo
	s_delay_alu instid0(VALU_DEP_1)
	v_cmpx_lt_u64_e64 v[10:11], v[32:33]
	s_cbranch_execz .LBB2_5461
; %bb.5453:                             ;   in Loop: Header=BB2_5400 Depth=3
	s_mov_b32 s43, 0
	s_mov_b32 s75, 0
                                        ; implicit-def: $sgpr73
                                        ; implicit-def: $sgpr74
	s_branch .LBB2_5455
.LBB2_5454:                             ;   in Loop: Header=BB2_5455 Depth=4
	s_or_b32 exec_lo, exec_lo, s77
	s_delay_alu instid0(SALU_CYCLE_1) | instskip(NEXT) | instid1(SALU_CYCLE_1)
	s_and_b32 s76, exec_lo, s78
	s_or_b32 s43, s76, s43
	s_and_not1_b32 s73, s73, exec_lo
	s_and_b32 s76, s74, exec_lo
	s_delay_alu instid0(SALU_CYCLE_1)
	s_or_b32 s73, s73, s76
	s_and_not1_b32 exec_lo, exec_lo, s43
	s_cbranch_execz .LBB2_5459
.LBB2_5455:                             ;   Parent Loop BB2_47 Depth=1
                                        ;     Parent Loop BB2_5397 Depth=2
                                        ;       Parent Loop BB2_5400 Depth=3
                                        ; =>      This Inner Loop Header: Depth=4
	s_add_co_i32 s75, s75, 1
	s_delay_alu instid0(SALU_CYCLE_1) | instskip(SKIP_1) | instid1(SALU_CYCLE_1)
	s_cmp_lg_u32 s75, 0x2710
	s_cselect_b32 s76, -1, 0
	s_and_b32 vcc_lo, exec_lo, s76
	s_cbranch_vccz .LBB2_5457
; %bb.5456:                             ;   in Loop: Header=BB2_5455 Depth=4
	s_mov_b32 s78, -1
	s_or_b32 s74, s74, exec_lo
	s_and_saveexec_b32 s77, s76
	s_cbranch_execz .LBB2_5454
	s_branch .LBB2_5458
.LBB2_5457:                             ;   in Loop: Header=BB2_5455 Depth=4
	s_trap 2
	ds_load_b64 v[10:11], v0
	s_and_not1_b32 s76, s76, exec_lo
	s_mov_b32 s75, 0
	s_wait_loadcnt_dscnt 0x0
	flat_load_b32 v2, v[10:11] scope:SCOPE_SYS
	s_wait_loadcnt_dscnt 0x0
	global_inv scope:SCOPE_SYS
	v_cmp_eq_u32_e32 vcc_lo, 0, v2
	s_and_b32 s77, vcc_lo, exec_lo
	s_delay_alu instid0(SALU_CYCLE_1)
	s_or_b32 s76, s76, s77
	s_mov_b32 s78, -1
	s_or_b32 s74, s74, exec_lo
	s_and_saveexec_b32 s77, s76
	s_cbranch_execz .LBB2_5454
.LBB2_5458:                             ;   in Loop: Header=BB2_5455 Depth=4
	s_sleep 1
	s_trap 2
	ds_load_b64 v[10:11], v0
	s_wait_dscnt 0x0
	s_and_not1_b32 s74, s74, exec_lo
	v_cmp_ge_u64_e32 vcc_lo, v[10:11], v[32:33]
	s_or_not1_b32 s78, vcc_lo, exec_lo
	s_branch .LBB2_5454
.LBB2_5459:                             ;   in Loop: Header=BB2_5400 Depth=3
	s_or_b32 exec_lo, exec_lo, s43
	s_and_saveexec_b32 s43, s73
	s_delay_alu instid0(SALU_CYCLE_1)
	s_xor_b32 s43, exec_lo, s43
	s_cbranch_execz .LBB2_5461
; %bb.5460:                             ;   in Loop: Header=BB2_5400 Depth=3
	ds_store_b32 v0, v107
	s_trap 2
.LBB2_5461:                             ;   in Loop: Header=BB2_5400 Depth=3
	s_or_b32 exec_lo, exec_lo, s42
	;;#ASMSTART
	s_wakeup
	;;#ASMEND
.LBB2_5462:                             ;   in Loop: Header=BB2_5400 Depth=3
	s_or_b32 exec_lo, exec_lo, s15
.LBB2_5463:                             ;   in Loop: Header=BB2_5400 Depth=3
	s_and_not1_saveexec_b32 s14, s14
	s_cbranch_execz .LBB2_5465
; %bb.5464:                             ;   in Loop: Header=BB2_5400 Depth=3
	global_wb scope:SCOPE_DEV
	s_wait_storecnt 0x0
	s_wait_loadcnt_dscnt 0x0
	global_inv scope:SCOPE_DEV
	s_barrier_signal -1
	s_barrier_wait -1
.LBB2_5465:                             ;   in Loop: Header=BB2_5400 Depth=3
	s_or_b32 exec_lo, exec_lo, s14
.LBB2_5466:                             ;   in Loop: Header=BB2_5400 Depth=3
	s_delay_alu instid0(SALU_CYCLE_1)
	s_or_b32 exec_lo, exec_lo, s13
	s_trap 2
	ds_load_b64 v[114:115], v0
	s_wait_dscnt 0x0
	v_cmp_eq_u64_e32 vcc_lo, 0, v[114:115]
	s_cbranch_vccnz .LBB2_5475
; %bb.5467:                             ;   in Loop: Header=BB2_5400 Depth=3
	s_trap 2
	ds_load_b64 v[116:117], v0
	s_wait_dscnt 0x0
	v_cmp_eq_u64_e32 vcc_lo, 0, v[116:117]
	s_cbranch_vccnz .LBB2_5475
; %bb.5468:                             ;   in Loop: Header=BB2_5400 Depth=3
	s_trap 2
	ds_load_b64 v[118:119], v0
	v_cmp_eq_u32_e64 s13, 0, v8
	s_delay_alu instid0(VALU_DEP_1)
	v_cndmask_b32_e64 v2, 0, v12, s13
	s_mov_b32 s13, -1
	s_wait_dscnt 0x0
	v_cmp_ne_u64_e32 vcc_lo, 0, v[118:119]
	s_cbranch_vccz .LBB2_5504
; %bb.5469:                             ;   in Loop: Header=BB2_5400 Depth=3
	s_and_saveexec_b32 s14, s11
	s_cbranch_execz .LBB2_5471
; %bb.5470:                             ;   in Loop: Header=BB2_5400 Depth=3
	ds_load_b32 v8, v0 offset:720
	s_wait_dscnt 0x0
	v_and_b32_e32 v8, 15, v8
	s_delay_alu instid0(VALU_DEP_1)
	v_cmp_eq_u32_e32 vcc_lo, 0, v8
	s_or_not1_b32 s13, vcc_lo, exec_lo
.LBB2_5471:                             ;   in Loop: Header=BB2_5400 Depth=3
	s_or_b32 exec_lo, exec_lo, s14
	s_and_saveexec_b32 s14, s12
	s_cbranch_execz .LBB2_5473
; %bb.5472:                             ;   in Loop: Header=BB2_5400 Depth=3
	ds_load_b32 v8, v0 offset:784
	s_wait_dscnt 0x0
	v_and_b32_e32 v8, 15, v8
	s_delay_alu instid0(VALU_DEP_1) | instskip(SKIP_3) | instid1(SALU_CYCLE_1)
	v_cmp_eq_u32_e32 vcc_lo, 0, v8
	s_and_b32 s15, s13, vcc_lo
	s_and_not1_b32 s13, s13, exec_lo
	s_and_b32 s15, s15, exec_lo
	s_or_b32 s13, s13, s15
.LBB2_5473:                             ;   in Loop: Header=BB2_5400 Depth=3
	s_or_b32 exec_lo, exec_lo, s14
	s_xor_b32 s13, s13, -1
	v_dual_mov_b32 v13, 0 :: v_dual_mov_b32 v15, v2
	v_cndmask_b32_e64 v8, 0, 1, s13
	v_mov_b32_e32 v19, v0
	s_mov_b32 s14, -1
	s_delay_alu instid0(VALU_DEP_2)
	v_cmp_ne_u32_e32 vcc_lo, 0, v8
	v_mov_b32_e32 v8, v120
	s_cbranch_vccz .LBB2_5476
; %bb.5474:                             ;   in Loop: Header=BB2_5400 Depth=3
	s_and_saveexec_b32 s15, s14
	s_cbranch_execnz .LBB2_5493
	s_branch .LBB2_5503
.LBB2_5475:                             ;   in Loop: Header=BB2_5400 Depth=3
	s_mov_b32 s13, 0
	s_and_saveexec_b32 s14, s2
	s_cbranch_execnz .LBB2_5534
	s_branch .LBB2_5552
.LBB2_5476:                             ;   in Loop: Header=BB2_5400 Depth=3
	v_ashrrev_i32_e32 v8, 31, v2
	s_mov_b32 s73, exec_lo
	s_delay_alu instid0(VALU_DEP_1) | instskip(NEXT) | instid1(VALU_DEP_1)
	v_dual_sub_nc_u32 v13, v2, v50 :: v_dual_lshrrev_b32 v8, 23, v8
	v_add_nc_u32_e32 v8, v2, v8
	s_delay_alu instid0(VALU_DEP_1) | instskip(NEXT) | instid1(VALU_DEP_1)
	v_and_b32_e32 v46, 0xfffffe00, v8
	v_dual_ashrrev_i32 v8, 9, v8 :: v_dual_sub_nc_u32 v56, v2, v46
	s_delay_alu instid0(VALU_DEP_1) | instskip(NEXT) | instid1(VALU_DEP_1)
	v_cmp_lt_i32_e64 s13, 15, v56
	v_add_co_ci_u32_e64 v57, null, v8, v122, s13
	v_cmpx_lt_i32_e32 15, v13
	s_cbranch_execz .LBB2_5482
; %bb.5477:                             ;   in Loop: Header=BB2_5400 Depth=3
	v_add_nc_u64_e32 v[40:41], v[114:115], v[50:51]
	v_add_nc_u64_e32 v[42:43], v[116:117], v[50:51]
	;; [unrolled: 1-line block ×3, first 2 shown]
	s_mov_b32 s74, 0
.LBB2_5478:                             ;   Parent Loop BB2_47 Depth=1
                                        ;     Parent Loop BB2_5397 Depth=2
                                        ;       Parent Loop BB2_5400 Depth=3
                                        ; =>      This Loop Header: Depth=4
                                        ;           Child Loop BB2_5479 Depth 5
	global_load_b128 v[8:11], v[40:41], off th:TH_LOAD_NT
	s_mov_b64 s[42:43], 0
	s_mov_b32 s75, -1
.LBB2_5479:                             ;   Parent Loop BB2_47 Depth=1
                                        ;     Parent Loop BB2_5397 Depth=2
                                        ;       Parent Loop BB2_5400 Depth=3
                                        ;         Parent Loop BB2_5478 Depth=4
                                        ; =>        This Inner Loop Header: Depth=5
	s_cmp_eq_u32 s42, 1
	s_cselect_b32 vcc_lo, -1, 0
	s_cmp_eq_u32 s42, 0
	s_wait_xcnt 0x0
	v_dual_cndmask_b32 v21, v43, v45 :: v_dual_cndmask_b32 v20, v42, v44
	s_cselect_b32 s14, -1, 0
	s_and_b32 s15, exec_lo, s75
	s_mov_b64 s[42:43], 1
	s_mov_b32 s75, 0
	v_add_nc_u64_e32 v[58:59], 0x200, v[20:21]
	s_wait_loadcnt 0x0
	global_store_b128 v[20:21], v[8:11], off th:TH_STORE_NT
	v_dual_cndmask_b32 v45, v45, v59 :: v_dual_cndmask_b32 v44, v44, v58
	v_dual_cndmask_b32 v43, v43, v59, s14 :: v_dual_cndmask_b32 v42, v42, v58, s14
	s_mov_b32 vcc_lo, s15
	s_cbranch_vccnz .LBB2_5479
; %bb.5480:                             ;   in Loop: Header=BB2_5478 Depth=4
	v_sub_nc_u32_e32 v13, v13, v66
	s_delay_alu instid0(VALU_DEP_2)
	v_add_nc_u64_e32 v[42:43], v[42:43], v[80:81]
	v_add_nc_u64_e32 v[44:45], v[44:45], v[80:81]
	s_wait_xcnt 0x1
	v_add_nc_u64_e32 v[40:41], v[84:85], v[40:41]
	v_sub_nc_u32_e32 v57, v57, v36
	v_cmp_gt_i32_e32 vcc_lo, 16, v13
	s_or_b32 s74, vcc_lo, s74
	s_wait_xcnt 0x0
	s_and_not1_b32 exec_lo, exec_lo, s74
	s_cbranch_execnz .LBB2_5478
; %bb.5481:                             ;   in Loop: Header=BB2_5400 Depth=3
	s_or_b32 exec_lo, exec_lo, s74
.LBB2_5482:                             ;   in Loop: Header=BB2_5400 Depth=3
	s_delay_alu instid0(SALU_CYCLE_1) | instskip(SKIP_3) | instid1(VALU_DEP_1)
	s_or_b32 exec_lo, exec_lo, s73
	v_dual_mov_b32 v13, 0 :: v_dual_bitop2_b32 v9, 15, v2 bitop3:0x40
	s_mov_b32 s14, 0
	s_mov_b32 s73, exec_lo
                                        ; implicit-def: $vgpr15
                                        ; implicit-def: $vgpr19
                                        ; implicit-def: $vgpr8
	v_cndmask_b32_e64 v47, v56, v9, s13
	s_delay_alu instid0(VALU_DEP_1)
	v_cmpx_ne_u32_e32 0, v47
	s_cbranch_execz .LBB2_5492
; %bb.5483:                             ;   in Loop: Header=BB2_5400 Depth=3
	v_cmp_lt_i32_e32 vcc_lo, 0, v57
	s_mov_b32 s74, exec_lo
	v_dual_ashrrev_i32 v11, 31, v47 :: v_dual_sub_nc_u32 v9, v56, v9
	s_delay_alu instid0(VALU_DEP_1) | instskip(NEXT) | instid1(VALU_DEP_1)
	v_dual_cndmask_b32 v8, 0, v36 :: v_dual_lshrrev_b32 v11, 23, v11
	v_dual_sub_nc_u32 v8, v8, v57 :: v_dual_add_nc_u32 v11, v47, v11
	s_delay_alu instid0(VALU_DEP_1) | instskip(NEXT) | instid1(VALU_DEP_2)
	v_lshl_add_u32 v8, v8, 5, v121
	v_and_b32_e32 v57, 0xfffffe00, v11
	s_delay_alu instid0(VALU_DEP_2) | instskip(NEXT) | instid1(VALU_DEP_1)
	v_dual_ashrrev_i32 v11, 9, v11 :: v_dual_ashrrev_i32 v10, 31, v8
	v_dual_sub_nc_u32 v56, v47, v57 :: v_dual_lshrrev_b32 v10, 27, v10
	s_delay_alu instid0(VALU_DEP_1) | instskip(NEXT) | instid1(VALU_DEP_1)
	v_add_nc_u32_e32 v10, v8, v10
	v_and_b32_e32 v13, 0xffffffe0, v10
	s_delay_alu instid0(VALU_DEP_1) | instskip(NEXT) | instid1(VALU_DEP_1)
	v_dual_ashrrev_i32 v10, 5, v10 :: v_dual_sub_nc_u32 v58, v8, v13
	v_lshlrev_b32_e32 v8, 4, v58
	s_delay_alu instid0(VALU_DEP_1) | instskip(SKIP_2) | instid1(VALU_DEP_2)
	v_lshl_add_u32 v8, v10, 9, v8
	v_cndmask_b32_e64 v9, 0, v9, s13
	v_cmp_lt_i32_e64 s13, 15, v56
	v_dual_sub_nc_u32 v13, v47, v8 :: v_dual_add_nc_u32 v46, v9, v46
	s_delay_alu instid0(VALU_DEP_2) | instskip(NEXT) | instid1(VALU_DEP_1)
	v_add_co_ci_u32_e64 v11, null, 0, v11, s13
	v_sub_nc_u32_e32 v59, v11, v10
	s_delay_alu instid0(VALU_DEP_3)
	v_cmpx_lt_i32_e32 15, v13
	s_cbranch_execz .LBB2_5489
; %bb.5484:                             ;   in Loop: Header=BB2_5400 Depth=3
	v_add_nc_u32_e32 v8, v8, v46
	s_mov_b32 s75, 0
	s_delay_alu instid0(VALU_DEP_1) | instskip(NEXT) | instid1(VALU_DEP_1)
	v_ashrrev_i32_e32 v9, 31, v8
	v_add_nc_u64_e32 v[40:41], v[8:9], v[114:115]
	v_add_nc_u64_e32 v[42:43], v[8:9], v[116:117]
	;; [unrolled: 1-line block ×3, first 2 shown]
.LBB2_5485:                             ;   Parent Loop BB2_47 Depth=1
                                        ;     Parent Loop BB2_5397 Depth=2
                                        ;       Parent Loop BB2_5400 Depth=3
                                        ; =>      This Loop Header: Depth=4
                                        ;           Child Loop BB2_5486 Depth 5
	global_load_b128 v[8:11], v[40:41], off th:TH_LOAD_NT
	s_mov_b64 s[42:43], 0
	s_mov_b32 s76, -1
.LBB2_5486:                             ;   Parent Loop BB2_47 Depth=1
                                        ;     Parent Loop BB2_5397 Depth=2
                                        ;       Parent Loop BB2_5400 Depth=3
                                        ;         Parent Loop BB2_5485 Depth=4
                                        ; =>        This Inner Loop Header: Depth=5
	s_cmp_eq_u32 s42, 1
	s_cselect_b32 vcc_lo, -1, 0
	s_cmp_eq_u32 s42, 0
	s_wait_xcnt 0x0
	v_dual_cndmask_b32 v21, v43, v45 :: v_dual_cndmask_b32 v20, v42, v44
	s_cselect_b32 s14, -1, 0
	s_and_b32 s15, exec_lo, s76
	s_mov_b64 s[42:43], 1
	s_mov_b32 s76, 0
	v_add_nc_u64_e32 v[60:61], 0x200, v[20:21]
	s_wait_loadcnt 0x0
	global_store_b128 v[20:21], v[8:11], off th:TH_STORE_NT
	v_dual_cndmask_b32 v45, v45, v61 :: v_dual_cndmask_b32 v44, v44, v60
	v_dual_cndmask_b32 v43, v43, v61, s14 :: v_dual_cndmask_b32 v42, v42, v60, s14
	s_mov_b32 vcc_lo, s15
	s_cbranch_vccnz .LBB2_5486
; %bb.5487:                             ;   in Loop: Header=BB2_5485 Depth=4
	v_dual_sub_nc_u32 v13, v13, v66 :: v_dual_sub_nc_u32 v59, v59, v36
	s_delay_alu instid0(VALU_DEP_2)
	v_add_nc_u64_e32 v[42:43], v[42:43], v[80:81]
	v_add_nc_u64_e32 v[44:45], v[44:45], v[80:81]
	s_wait_xcnt 0x1
	v_add_nc_u64_e32 v[40:41], v[84:85], v[40:41]
	v_cmp_gt_i32_e32 vcc_lo, 16, v13
	s_or_b32 s75, vcc_lo, s75
	s_wait_xcnt 0x0
	s_and_not1_b32 exec_lo, exec_lo, s75
	s_cbranch_execnz .LBB2_5485
; %bb.5488:                             ;   in Loop: Header=BB2_5400 Depth=3
	s_or_b32 exec_lo, exec_lo, s75
.LBB2_5489:                             ;   in Loop: Header=BB2_5400 Depth=3
	s_delay_alu instid0(SALU_CYCLE_1) | instskip(SKIP_3) | instid1(VALU_DEP_1)
	s_or_b32 exec_lo, exec_lo, s74
	v_dual_mov_b32 v13, 0 :: v_dual_bitop2_b32 v9, 15, v47 bitop3:0x40
	s_mov_b32 s14, 0
	s_mov_b32 s15, exec_lo
                                        ; implicit-def: $vgpr19
                                        ; implicit-def: $vgpr8
	v_cndmask_b32_e64 v15, v56, v9, s13
	s_delay_alu instid0(VALU_DEP_1)
	v_cmpx_ne_u32_e32 0, v15
	s_cbranch_execz .LBB2_5491
; %bb.5490:                             ;   in Loop: Header=BB2_5400 Depth=3
	v_cmp_lt_i32_e32 vcc_lo, 0, v59
	s_mov_b32 s14, exec_lo
	v_dual_cndmask_b32 v8, 0, v36 :: v_dual_sub_nc_u32 v9, v56, v9
	s_delay_alu instid0(VALU_DEP_1) | instskip(NEXT) | instid1(VALU_DEP_1)
	v_dual_cndmask_b32 v9, 0, v9, s13 :: v_dual_sub_nc_u32 v8, v8, v59
	v_add3_u32 v13, v57, v46, v9
	s_delay_alu instid0(VALU_DEP_2) | instskip(NEXT) | instid1(VALU_DEP_1)
	v_lshl_add_u32 v19, v8, 5, v58
	v_ashrrev_i32_e32 v8, 31, v19
	s_delay_alu instid0(VALU_DEP_1) | instskip(NEXT) | instid1(VALU_DEP_1)
	v_lshrrev_b32_e32 v8, 27, v8
	v_add_nc_u32_e32 v8, v19, v8
	s_delay_alu instid0(VALU_DEP_1)
	v_ashrrev_i32_e32 v8, 5, v8
.LBB2_5491:                             ;   in Loop: Header=BB2_5400 Depth=3
	s_or_b32 exec_lo, exec_lo, s15
	s_delay_alu instid0(SALU_CYCLE_1)
	s_and_b32 s14, s14, exec_lo
.LBB2_5492:                             ;   in Loop: Header=BB2_5400 Depth=3
	s_or_b32 exec_lo, exec_lo, s73
	s_and_saveexec_b32 s15, s14
	s_cbranch_execz .LBB2_5503
.LBB2_5493:                             ;   in Loop: Header=BB2_5400 Depth=3
	v_ashrrev_i32_e32 v9, 31, v15
	s_mov_b32 s13, exec_lo
	s_delay_alu instid0(VALU_DEP_1) | instskip(NEXT) | instid1(VALU_DEP_1)
	v_lshrrev_b32_e32 v9, 24, v9
	v_add_nc_u32_e32 v9, v15, v9
	s_delay_alu instid0(VALU_DEP_1) | instskip(NEXT) | instid1(VALU_DEP_1)
	v_dual_ashrrev_i32 v42, 8, v9 :: v_dual_ashrrev_i32 v9, 31, v19
	v_dual_sub_nc_u32 v40, v42, v8 :: v_dual_lshrrev_b32 v41, 27, v9
	s_delay_alu instid0(VALU_DEP_1)
	v_cmpx_lt_i32_e32 0, v40
	s_cbranch_execz .LBB2_5497
; %bb.5494:                             ;   in Loop: Header=BB2_5400 Depth=3
	s_delay_alu instid0(VALU_DEP_2) | instskip(SKIP_2) | instid1(VALU_DEP_2)
	v_dual_add_nc_u32 v9, v19, v41 :: v_dual_lshlrev_b32 v8, 8, v8
	v_add_nc_u64_e32 v[44:45], 0xe0, v[114:115]
	s_mov_b32 s14, 0
	v_and_b32_e32 v9, 0xffffffe0, v9
	s_delay_alu instid0(VALU_DEP_1) | instskip(NEXT) | instid1(VALU_DEP_1)
	v_sub_nc_u32_e32 v9, v19, v9
	v_add3_u32 v20, v13, v9, v8
	s_delay_alu instid0(VALU_DEP_1) | instskip(NEXT) | instid1(VALU_DEP_1)
	v_ashrrev_i32_e32 v21, 31, v20
	v_add_nc_u64_e32 v[8:9], v[20:21], v[116:117]
	v_add_nc_u64_e32 v[10:11], v[20:21], v[118:119]
	;; [unrolled: 1-line block ×3, first 2 shown]
.LBB2_5495:                             ;   Parent Loop BB2_47 Depth=1
                                        ;     Parent Loop BB2_5397 Depth=2
                                        ;       Parent Loop BB2_5400 Depth=3
                                        ; =>      This Inner Loop Header: Depth=4
	s_clause 0x7
	flat_load_u8 v20, v[118:119] offset:-224 th:TH_LOAD_NT
	flat_load_u8 v21, v[118:119] offset:-192 th:TH_LOAD_NT
	;; [unrolled: 1-line block ×7, first 2 shown]
	flat_load_u8 v56, v[118:119] th:TH_LOAD_NT
	v_sub_nc_u32_e32 v40, v40, v36
	s_wait_xcnt 0x0
	v_add_nc_u64_e32 v[118:119], v[118:119], v[68:69]
	s_wait_loadcnt_dscnt 0x707
	flat_store_b8 v[8:9], v20 th:TH_STORE_NT
	s_wait_loadcnt_dscnt 0x607
	flat_store_b8 v[8:9], v21 offset:32 th:TH_STORE_NT
	s_wait_loadcnt_dscnt 0x507
	flat_store_b8 v[8:9], v43 offset:64 th:TH_STORE_NT
	;; [unrolled: 2-line block ×7, first 2 shown]
	s_clause 0x7
	flat_store_b8 v[10:11], v20 th:TH_STORE_NT
	flat_store_b8 v[10:11], v21 offset:32 th:TH_STORE_NT
	flat_store_b8 v[10:11], v43 offset:64 th:TH_STORE_NT
	;; [unrolled: 1-line block ×7, first 2 shown]
	v_cmp_gt_i32_e32 vcc_lo, 1, v40
	s_wait_xcnt 0x8
	v_add_nc_u64_e32 v[8:9], v[8:9], v[68:69]
	s_wait_xcnt 0x0
	v_add_nc_u64_e32 v[10:11], v[10:11], v[68:69]
	s_or_b32 s14, vcc_lo, s14
	s_delay_alu instid0(SALU_CYCLE_1)
	s_and_not1_b32 exec_lo, exec_lo, s14
	s_cbranch_execnz .LBB2_5495
; %bb.5496:                             ;   in Loop: Header=BB2_5400 Depth=3
	s_or_b32 exec_lo, exec_lo, s14
.LBB2_5497:                             ;   in Loop: Header=BB2_5400 Depth=3
	s_delay_alu instid0(SALU_CYCLE_1) | instskip(SKIP_1) | instid1(VALU_DEP_1)
	s_or_b32 exec_lo, exec_lo, s13
	v_lshlrev_b32_e32 v8, 8, v42
	v_cmp_ne_u32_e32 vcc_lo, v15, v8
	s_and_b32 exec_lo, exec_lo, vcc_lo
	s_cbranch_execz .LBB2_5503
; %bb.5498:                             ;   in Loop: Header=BB2_5400 Depth=3
	v_dual_add_nc_u32 v9, v19, v41 :: v_dual_lshlrev_b32 v10, 5, v40
	s_delay_alu instid0(VALU_DEP_1) | instskip(NEXT) | instid1(VALU_DEP_1)
	v_and_b32_e32 v9, 0xffffffe0, v9
	v_sub_nc_u32_e32 v9, v19, v9
	s_delay_alu instid0(VALU_DEP_1) | instskip(NEXT) | instid1(VALU_DEP_1)
	v_sub_nc_u32_e32 v9, v9, v10
	v_add_nc_u32_e32 v8, v8, v9
	s_delay_alu instid0(VALU_DEP_1) | instskip(NEXT) | instid1(VALU_DEP_1)
	v_sub_nc_u32_e32 v15, v15, v8
	v_cmp_lt_i32_e32 vcc_lo, 0, v15
	s_and_b32 exec_lo, exec_lo, vcc_lo
	s_cbranch_execz .LBB2_5503
; %bb.5499:                             ;   in Loop: Header=BB2_5400 Depth=3
	s_trap 2
	ds_load_b64 v[10:11], v0
	ds_load_b128 v[40:43], v0
	v_add_nc_u32_e32 v20, v8, v13
	s_mov_b32 s73, 0
	s_delay_alu instid0(VALU_DEP_1) | instskip(SKIP_1) | instid1(VALU_DEP_1)
	v_ashrrev_i32_e32 v21, 31, v20
	s_wait_dscnt 0x1
	v_add_nc_u64_e32 v[8:9], v[10:11], v[20:21]
	s_wait_dscnt 0x0
	v_add_nc_u64_e32 v[10:11], v[40:41], v[20:21]
	v_add_nc_u64_e32 v[118:119], v[42:43], v[20:21]
.LBB2_5500:                             ;   Parent Loop BB2_47 Depth=1
                                        ;     Parent Loop BB2_5397 Depth=2
                                        ;       Parent Loop BB2_5400 Depth=3
                                        ; =>      This Loop Header: Depth=4
                                        ;           Child Loop BB2_5501 Depth 5
	flat_load_u8 v13, v[8:9] th:TH_LOAD_NT
	s_mov_b64 s[42:43], 0
	s_mov_b32 s74, -1
.LBB2_5501:                             ;   Parent Loop BB2_47 Depth=1
                                        ;     Parent Loop BB2_5397 Depth=2
                                        ;       Parent Loop BB2_5400 Depth=3
                                        ;         Parent Loop BB2_5500 Depth=4
                                        ; =>        This Inner Loop Header: Depth=5
	s_cmp_eq_u32 s42, 1
	s_cselect_b32 vcc_lo, -1, 0
	s_cmp_eq_u32 s42, 0
	s_wait_xcnt 0x0
	v_dual_cndmask_b32 v21, v11, v119 :: v_dual_cndmask_b32 v20, v10, v118
	s_cselect_b32 s13, -1, 0
	s_and_b32 s14, exec_lo, s74
	s_mov_b64 s[42:43], 1
	s_mov_b32 s74, 0
	v_add_nc_u64_e32 v[40:41], 32, v[20:21]
	s_wait_loadcnt_dscnt 0x0
	flat_store_b8 v[20:21], v13 th:TH_STORE_NT
	v_dual_cndmask_b32 v119, v119, v41 :: v_dual_cndmask_b32 v118, v118, v40
	v_dual_cndmask_b32 v11, v11, v41, s13 :: v_dual_cndmask_b32 v10, v10, v40, s13
	s_mov_b32 vcc_lo, s14
	s_cbranch_vccnz .LBB2_5501
; %bb.5502:                             ;   in Loop: Header=BB2_5500 Depth=4
	v_sub_nc_u32_e32 v15, v15, v38
	s_delay_alu instid0(VALU_DEP_2)
	v_add_nc_u64_e32 v[10:11], v[10:11], v[70:71]
	v_add_nc_u64_e32 v[118:119], v[118:119], v[70:71]
	s_wait_xcnt 0x1
	v_add_nc_u64_e32 v[8:9], v[82:83], v[8:9]
	v_cmp_gt_i32_e32 vcc_lo, 1, v15
	s_or_b32 s73, vcc_lo, s73
	s_wait_xcnt 0x0
	s_and_not1_b32 exec_lo, exec_lo, s73
	s_cbranch_execnz .LBB2_5500
.LBB2_5503:                             ;   in Loop: Header=BB2_5400 Depth=3
	s_or_b32 exec_lo, exec_lo, s15
	s_mov_b32 s13, 0
.LBB2_5504:                             ;   in Loop: Header=BB2_5400 Depth=3
	s_delay_alu instid0(SALU_CYCLE_1)
	s_and_b32 vcc_lo, exec_lo, s13
	s_cbranch_vccz .LBB2_5533
; %bb.5505:                             ;   in Loop: Header=BB2_5400 Depth=3
	s_mov_b32 s13, -1
	s_and_saveexec_b32 s14, s11
	s_cbranch_execz .LBB2_5507
; %bb.5506:                             ;   in Loop: Header=BB2_5400 Depth=3
	ds_load_b32 v8, v0 offset:720
	s_wait_dscnt 0x0
	v_and_b32_e32 v8, 15, v8
	s_delay_alu instid0(VALU_DEP_1)
	v_cmp_eq_u32_e32 vcc_lo, 0, v8
	s_or_not1_b32 s13, vcc_lo, exec_lo
.LBB2_5507:                             ;   in Loop: Header=BB2_5400 Depth=3
	s_or_b32 exec_lo, exec_lo, s14
	s_and_saveexec_b32 s14, s10
	s_cbranch_execz .LBB2_5509
; %bb.5508:                             ;   in Loop: Header=BB2_5400 Depth=3
	ds_load_b32 v8, v0 offset:784
	s_wait_dscnt 0x0
	v_and_b32_e32 v8, 15, v8
	s_delay_alu instid0(VALU_DEP_1) | instskip(SKIP_3) | instid1(SALU_CYCLE_1)
	v_cmp_eq_u32_e32 vcc_lo, 0, v8
	s_and_b32 s15, s13, vcc_lo
	s_and_not1_b32 s13, s13, exec_lo
	s_and_b32 s15, s15, exec_lo
	s_or_b32 s13, s13, s15
.LBB2_5509:                             ;   in Loop: Header=BB2_5400 Depth=3
	s_or_b32 exec_lo, exec_lo, s14
	s_xor_b32 s13, s13, -1
	v_dual_mov_b32 v10, 0 :: v_dual_mov_b32 v11, v2
	v_cndmask_b32_e64 v8, 0, 1, s13
	v_mov_b32_e32 v13, v0
	s_mov_b32 s15, -1
	s_delay_alu instid0(VALU_DEP_2)
	v_cmp_ne_u32_e32 vcc_lo, 0, v8
	v_mov_b32_e32 v8, v120
	s_cbranch_vccz .LBB2_5511
; %bb.5510:                             ;   in Loop: Header=BB2_5400 Depth=3
	s_and_saveexec_b32 s13, s15
	s_cbranch_execnz .LBB2_5524
	s_branch .LBB2_5532
.LBB2_5511:                             ;   in Loop: Header=BB2_5400 Depth=3
	v_ashrrev_i32_e32 v8, 31, v2
	s_mov_b32 s13, exec_lo
	s_delay_alu instid0(VALU_DEP_1) | instskip(NEXT) | instid1(VALU_DEP_1)
	v_lshrrev_b32_e32 v8, 22, v8
	v_add_nc_u32_e32 v8, v2, v8
	s_delay_alu instid0(VALU_DEP_1) | instskip(NEXT) | instid1(VALU_DEP_1)
	v_ashrrev_i32_e32 v10, 10, v8
	v_sub_nc_u32_e32 v19, v10, v120
	s_delay_alu instid0(VALU_DEP_1)
	v_cmpx_lt_i32_e32 0, v19
	s_cbranch_execz .LBB2_5515
; %bb.5512:                             ;   in Loop: Header=BB2_5400 Depth=3
	v_mov_b64_e32 v[8:9], v[86:87]
	s_mov_b32 s14, 0
.LBB2_5513:                             ;   Parent Loop BB2_47 Depth=1
                                        ;     Parent Loop BB2_5397 Depth=2
                                        ;       Parent Loop BB2_5400 Depth=3
                                        ; =>      This Inner Loop Header: Depth=4
	s_delay_alu instid0(VALU_DEP_1)
	v_add_nc_u64_e32 v[20:21], v[114:115], v[8:9]
	v_sub_nc_u32_e32 v19, v19, v36
	s_clause 0x1
	global_load_b128 v[40:43], v[20:21], off th:TH_LOAD_NT
	global_load_b128 v[44:47], v[20:21], off offset:512 th:TH_LOAD_NT
	s_wait_xcnt 0x0
	v_add_nc_u64_e32 v[20:21], v[116:117], v[8:9]
	v_cmp_gt_i32_e32 vcc_lo, 1, v19
	v_add_nc_u64_e32 v[8:9], v[8:9], v[64:65]
	s_wait_loadcnt 0x1
	global_store_b128 v[20:21], v[40:43], off th:TH_STORE_NT
	s_wait_loadcnt 0x0
	global_store_b128 v[20:21], v[44:47], off offset:512 th:TH_STORE_NT
	s_or_b32 s14, vcc_lo, s14
	s_wait_xcnt 0x0
	s_and_not1_b32 exec_lo, exec_lo, s14
	s_cbranch_execnz .LBB2_5513
; %bb.5514:                             ;   in Loop: Header=BB2_5400 Depth=3
	s_or_b32 exec_lo, exec_lo, s14
.LBB2_5515:                             ;   in Loop: Header=BB2_5400 Depth=3
	s_delay_alu instid0(SALU_CYCLE_1) | instskip(SKIP_3) | instid1(VALU_DEP_1)
	s_or_b32 exec_lo, exec_lo, s13
	v_dual_mov_b32 v10, 0 :: v_dual_lshlrev_b32 v15, 10, v10
	s_mov_b32 s15, 0
	s_mov_b32 s14, exec_lo
                                        ; implicit-def: $vgpr11
                                        ; implicit-def: $vgpr13
                                        ; implicit-def: $vgpr8
	v_cmpx_ne_u32_e64 v2, v15
	s_cbranch_execz .LBB2_5523
; %bb.5516:                             ;   in Loop: Header=BB2_5400 Depth=3
	v_lshlrev_b32_e32 v8, 5, v19
	s_mov_b32 s15, exec_lo
	s_delay_alu instid0(VALU_DEP_1) | instskip(NEXT) | instid1(VALU_DEP_1)
	v_dual_sub_nc_u32 v10, v2, v15 :: v_dual_sub_nc_u32 v8, v121, v8
	v_dual_ashrrev_i32 v11, 31, v10 :: v_dual_ashrrev_i32 v9, 31, v8
	s_delay_alu instid0(VALU_DEP_1) | instskip(NEXT) | instid1(VALU_DEP_1)
	v_dual_lshrrev_b32 v11, 23, v11 :: v_dual_lshrrev_b32 v9, 27, v9
	v_add_nc_u32_e32 v9, v8, v9
	s_delay_alu instid0(VALU_DEP_1) | instskip(NEXT) | instid1(VALU_DEP_1)
	v_and_b32_e32 v13, 0xffffffe0, v9
	v_dual_add_nc_u32 v11, v10, v11 :: v_dual_sub_nc_u32 v118, v8, v13
	s_delay_alu instid0(VALU_DEP_1) | instskip(SKIP_1) | instid1(VALU_DEP_3)
	v_and_b32_e32 v19, 0xfffffe00, v11
	v_dual_ashrrev_i32 v9, 5, v9 :: v_dual_ashrrev_i32 v11, 9, v11
	v_lshlrev_b32_e32 v8, 4, v118
	s_delay_alu instid0(VALU_DEP_1) | instskip(NEXT) | instid1(VALU_DEP_1)
	v_lshl_add_u32 v8, v9, 9, v8
	v_dual_sub_nc_u32 v119, v10, v19 :: v_dual_sub_nc_u32 v10, v10, v8
	s_delay_alu instid0(VALU_DEP_1) | instskip(SKIP_1) | instid1(VALU_DEP_1)
	v_cmp_lt_i32_e32 vcc_lo, 15, v119
	v_add_co_ci_u32_e64 v11, null, 0, v11, vcc_lo
	v_sub_nc_u32_e32 v40, v11, v9
	s_delay_alu instid0(VALU_DEP_4)
	v_cmpx_lt_i32_e32 15, v10
	s_cbranch_execz .LBB2_5520
; %bb.5517:                             ;   in Loop: Header=BB2_5400 Depth=3
	v_add_nc_u32_e32 v8, v8, v15
	s_mov_b32 s42, 0
	s_delay_alu instid0(VALU_DEP_1)
	v_ashrrev_i32_e32 v9, 31, v8
.LBB2_5518:                             ;   Parent Loop BB2_47 Depth=1
                                        ;     Parent Loop BB2_5397 Depth=2
                                        ;       Parent Loop BB2_5400 Depth=3
                                        ; =>      This Inner Loop Header: Depth=4
	s_delay_alu instid0(VALU_DEP_1) | instskip(SKIP_1) | instid1(VALU_DEP_1)
	v_add_nc_u64_e32 v[20:21], v[114:115], v[8:9]
	v_dual_sub_nc_u32 v10, v10, v66 :: v_dual_sub_nc_u32 v40, v40, v36
	v_cmp_gt_i32_e64 s13, 16, v10
	global_load_b128 v[42:45], v[20:21], off th:TH_LOAD_NT
	s_wait_xcnt 0x0
	v_add_nc_u64_e32 v[20:21], v[116:117], v[8:9]
	v_add_nc_u64_e32 v[8:9], v[8:9], v[66:67]
	s_or_b32 s42, s13, s42
	s_wait_loadcnt 0x0
	global_store_b128 v[20:21], v[42:45], off th:TH_STORE_NT
	s_wait_xcnt 0x0
	s_and_not1_b32 exec_lo, exec_lo, s42
	s_cbranch_execnz .LBB2_5518
; %bb.5519:                             ;   in Loop: Header=BB2_5400 Depth=3
	s_or_b32 exec_lo, exec_lo, s42
.LBB2_5520:                             ;   in Loop: Header=BB2_5400 Depth=3
	s_delay_alu instid0(SALU_CYCLE_1) | instskip(SKIP_3) | instid1(VALU_DEP_1)
	s_or_b32 exec_lo, exec_lo, s15
	v_dual_mov_b32 v10, 0 :: v_dual_bitop2_b32 v9, 15, v2 bitop3:0x40
	s_mov_b32 s15, 0
	s_mov_b32 s42, exec_lo
                                        ; implicit-def: $vgpr13
                                        ; implicit-def: $vgpr8
	v_cndmask_b32_e32 v11, v119, v9, vcc_lo
	s_delay_alu instid0(VALU_DEP_1)
	v_cmpx_ne_u32_e32 0, v11
	s_cbranch_execz .LBB2_5522
; %bb.5521:                             ;   in Loop: Header=BB2_5400 Depth=3
	v_cmp_lt_i32_e64 s13, 0, v40
	s_mov_b32 s15, exec_lo
	v_dual_sub_nc_u32 v9, v119, v9 :: v_dual_cndmask_b32 v8, 0, v36, s13
	s_delay_alu instid0(VALU_DEP_1) | instskip(NEXT) | instid1(VALU_DEP_1)
	v_dual_cndmask_b32 v9, 0, v9 :: v_dual_sub_nc_u32 v8, v8, v40
	v_add3_u32 v10, v19, v15, v9
	s_delay_alu instid0(VALU_DEP_2) | instskip(NEXT) | instid1(VALU_DEP_1)
	v_lshl_add_u32 v13, v8, 5, v118
	v_ashrrev_i32_e32 v8, 31, v13
	s_delay_alu instid0(VALU_DEP_1) | instskip(NEXT) | instid1(VALU_DEP_1)
	v_lshrrev_b32_e32 v8, 27, v8
	v_add_nc_u32_e32 v8, v13, v8
	s_delay_alu instid0(VALU_DEP_1)
	v_ashrrev_i32_e32 v8, 5, v8
.LBB2_5522:                             ;   in Loop: Header=BB2_5400 Depth=3
	s_or_b32 exec_lo, exec_lo, s42
	s_delay_alu instid0(SALU_CYCLE_1)
	s_and_b32 s15, s15, exec_lo
.LBB2_5523:                             ;   in Loop: Header=BB2_5400 Depth=3
	s_or_b32 exec_lo, exec_lo, s14
	s_and_saveexec_b32 s13, s15
	s_cbranch_execz .LBB2_5532
.LBB2_5524:                             ;   in Loop: Header=BB2_5400 Depth=3
	v_ashrrev_i32_e32 v9, 31, v11
	s_mov_b32 s14, exec_lo
	s_delay_alu instid0(VALU_DEP_1) | instskip(NEXT) | instid1(VALU_DEP_1)
	v_lshrrev_b32_e32 v9, 24, v9
	v_add_nc_u32_e32 v9, v11, v9
	s_delay_alu instid0(VALU_DEP_1) | instskip(SKIP_1) | instid1(VALU_DEP_1)
	v_ashrrev_i32_e32 v118, 8, v9
	v_ashrrev_i32_e32 v9, 31, v13
	v_dual_lshrrev_b32 v19, 27, v9 :: v_dual_sub_nc_u32 v15, v118, v8
	s_delay_alu instid0(VALU_DEP_1)
	v_cmpx_lt_i32_e32 0, v15
	s_cbranch_execz .LBB2_5528
; %bb.5525:                             ;   in Loop: Header=BB2_5400 Depth=3
	s_delay_alu instid0(VALU_DEP_2) | instskip(SKIP_1) | instid1(VALU_DEP_1)
	v_dual_add_nc_u32 v9, v13, v19 :: v_dual_lshlrev_b32 v8, 8, v8
	s_mov_b32 s15, 0
	v_and_b32_e32 v9, 0xffffffe0, v9
	s_delay_alu instid0(VALU_DEP_1) | instskip(NEXT) | instid1(VALU_DEP_1)
	v_sub_nc_u32_e32 v9, v13, v9
	v_add3_u32 v8, v10, v9, v8
	s_delay_alu instid0(VALU_DEP_1)
	v_ashrrev_i32_e32 v9, 31, v8
.LBB2_5526:                             ;   Parent Loop BB2_47 Depth=1
                                        ;     Parent Loop BB2_5397 Depth=2
                                        ;       Parent Loop BB2_5400 Depth=3
                                        ; =>      This Inner Loop Header: Depth=4
	s_delay_alu instid0(VALU_DEP_1)
	v_add_nc_u64_e32 v[20:21], v[8:9], v[114:115]
	v_sub_nc_u32_e32 v15, v15, v36
	v_add_nc_u64_e32 v[114:115], v[114:115], v[68:69]
	s_clause 0x7
	flat_load_u8 v119, v[20:21] th:TH_LOAD_NT
	flat_load_u8 v40, v[20:21] offset:32 th:TH_LOAD_NT
	flat_load_u8 v41, v[20:21] offset:64 th:TH_LOAD_NT
	;; [unrolled: 1-line block ×7, first 2 shown]
	s_wait_xcnt 0x0
	v_add_nc_u64_e32 v[20:21], v[8:9], v[116:117]
	v_add_nc_u64_e32 v[116:117], v[116:117], v[68:69]
	v_cmp_gt_i32_e32 vcc_lo, 1, v15
	s_wait_loadcnt_dscnt 0x707
	flat_store_b8 v[20:21], v119 th:TH_STORE_NT
	s_wait_loadcnt_dscnt 0x607
	flat_store_b8 v[20:21], v40 offset:32 th:TH_STORE_NT
	s_wait_loadcnt_dscnt 0x507
	flat_store_b8 v[20:21], v41 offset:64 th:TH_STORE_NT
	;; [unrolled: 2-line block ×7, first 2 shown]
	s_or_b32 s15, vcc_lo, s15
	s_wait_xcnt 0x0
	s_and_not1_b32 exec_lo, exec_lo, s15
	s_cbranch_execnz .LBB2_5526
; %bb.5527:                             ;   in Loop: Header=BB2_5400 Depth=3
	s_or_b32 exec_lo, exec_lo, s15
.LBB2_5528:                             ;   in Loop: Header=BB2_5400 Depth=3
	s_delay_alu instid0(SALU_CYCLE_1) | instskip(SKIP_1) | instid1(VALU_DEP_1)
	s_or_b32 exec_lo, exec_lo, s14
	v_lshlrev_b32_e32 v8, 8, v118
	v_cmp_ne_u32_e32 vcc_lo, v11, v8
	s_and_b32 exec_lo, exec_lo, vcc_lo
	s_cbranch_execz .LBB2_5532
; %bb.5529:                             ;   in Loop: Header=BB2_5400 Depth=3
	v_add_nc_u32_e32 v9, v13, v19
	s_delay_alu instid0(VALU_DEP_1) | instskip(NEXT) | instid1(VALU_DEP_1)
	v_and_b32_e32 v9, 0xffffffe0, v9
	v_dual_sub_nc_u32 v9, v13, v9 :: v_dual_lshlrev_b32 v13, 5, v15
	s_delay_alu instid0(VALU_DEP_1) | instskip(NEXT) | instid1(VALU_DEP_1)
	v_sub_nc_u32_e32 v9, v9, v13
	v_add_nc_u32_e32 v15, v8, v9
	s_delay_alu instid0(VALU_DEP_1) | instskip(NEXT) | instid1(VALU_DEP_1)
	v_sub_nc_u32_e32 v13, v11, v15
	v_cmp_lt_i32_e32 vcc_lo, 0, v13
	s_and_b32 exec_lo, exec_lo, vcc_lo
	s_cbranch_execz .LBB2_5532
; %bb.5530:                             ;   in Loop: Header=BB2_5400 Depth=3
	s_trap 2
	ds_load_b64 v[8:9], v0
	v_add_nc_u32_e32 v10, v15, v10
	s_mov_b32 s14, 0
	s_delay_alu instid0(VALU_DEP_1)
	v_ashrrev_i32_e32 v11, 31, v10
.LBB2_5531:                             ;   Parent Loop BB2_47 Depth=1
                                        ;     Parent Loop BB2_5397 Depth=2
                                        ;       Parent Loop BB2_5400 Depth=3
                                        ; =>      This Inner Loop Header: Depth=4
	s_wait_dscnt 0x0
	s_delay_alu instid0(VALU_DEP_1) | instskip(SKIP_2) | instid1(VALU_DEP_2)
	v_add_nc_u64_e32 v[20:21], v[8:9], v[10:11]
	v_sub_nc_u32_e32 v13, v13, v38
	v_add_nc_u64_e32 v[10:11], v[10:11], v[38:39]
	v_cmp_gt_i32_e32 vcc_lo, 1, v13
	flat_load_u8 v15, v[20:21] th:TH_LOAD_NT
	s_or_b32 s14, vcc_lo, s14
	s_wait_loadcnt_dscnt 0x0
	flat_store_b8 v[20:21], v15 th:TH_STORE_NT
	s_wait_xcnt 0x0
	s_and_not1_b32 exec_lo, exec_lo, s14
	s_cbranch_execnz .LBB2_5531
.LBB2_5532:                             ;   in Loop: Header=BB2_5400 Depth=3
	s_or_b32 exec_lo, exec_lo, s13
.LBB2_5533:                             ;   in Loop: Header=BB2_5400 Depth=3
	v_cmp_lt_i32_e64 s13, 0, v2
	s_and_saveexec_b32 s14, s2
	s_cbranch_execz .LBB2_5552
.LBB2_5534:                             ;   in Loop: Header=BB2_5400 Depth=3
	s_and_saveexec_b32 s15, s3
	s_delay_alu instid0(SALU_CYCLE_1)
	s_xor_b32 s15, exec_lo, s15
	s_cbranch_execz .LBB2_5549
; %bb.5535:                             ;   in Loop: Header=BB2_5400 Depth=3
	s_and_saveexec_b32 s42, s6
	s_cbranch_execz .LBB2_5548
; %bb.5536:                             ;   in Loop: Header=BB2_5400 Depth=3
	s_mov_b32 s73, exec_lo
	s_mov_b32 s43, exec_lo
	v_mbcnt_lo_u32_b32 v2, s73, 0
	global_wb scope:SCOPE_DEV
	s_wait_storecnt 0x0
	s_wait_loadcnt_dscnt 0x0
	global_inv scope:SCOPE_DEV
	v_cmpx_eq_u32_e32 0, v2
	s_cbranch_execz .LBB2_5538
; %bb.5537:                             ;   in Loop: Header=BB2_5400 Depth=3
	s_bcnt1_i32_b32 s73, s73
	s_delay_alu instid0(SALU_CYCLE_1)
	v_mov_b32_e32 v2, s73
	s_wait_loadcnt 0x0
	ds_add_u64 v0, v[2:3]
	s_trap 2
.LBB2_5538:                             ;   in Loop: Header=BB2_5400 Depth=3
	s_or_b32 exec_lo, exec_lo, s43
	s_trap 2
	ds_load_b64 v[8:9], v0
	s_wait_dscnt 0x0
	v_add_nc_u64_e32 v[32:33], v[32:33], v[36:37]
	s_mov_b32 s43, exec_lo
	s_delay_alu instid0(VALU_DEP_1)
	v_cmpx_lt_u64_e64 v[8:9], v[32:33]
	s_cbranch_execz .LBB2_5547
; %bb.5539:                             ;   in Loop: Header=BB2_5400 Depth=3
	s_mov_b32 s73, 0
	s_mov_b32 s76, 0
                                        ; implicit-def: $sgpr74
                                        ; implicit-def: $sgpr75
	s_branch .LBB2_5541
.LBB2_5540:                             ;   in Loop: Header=BB2_5541 Depth=4
	s_or_b32 exec_lo, exec_lo, s78
	s_delay_alu instid0(SALU_CYCLE_1) | instskip(NEXT) | instid1(SALU_CYCLE_1)
	s_and_b32 s77, exec_lo, s79
	s_or_b32 s73, s77, s73
	s_and_not1_b32 s74, s74, exec_lo
	s_and_b32 s77, s75, exec_lo
	s_delay_alu instid0(SALU_CYCLE_1)
	s_or_b32 s74, s74, s77
	s_and_not1_b32 exec_lo, exec_lo, s73
	s_cbranch_execz .LBB2_5545
.LBB2_5541:                             ;   Parent Loop BB2_47 Depth=1
                                        ;     Parent Loop BB2_5397 Depth=2
                                        ;       Parent Loop BB2_5400 Depth=3
                                        ; =>      This Inner Loop Header: Depth=4
	s_add_co_i32 s76, s76, 1
	s_delay_alu instid0(SALU_CYCLE_1) | instskip(SKIP_1) | instid1(SALU_CYCLE_1)
	s_cmp_lg_u32 s76, 0x2710
	s_cselect_b32 s77, -1, 0
	s_and_b32 vcc_lo, exec_lo, s77
	s_cbranch_vccz .LBB2_5543
; %bb.5542:                             ;   in Loop: Header=BB2_5541 Depth=4
	s_mov_b32 s79, -1
	s_or_b32 s75, s75, exec_lo
	s_and_saveexec_b32 s78, s77
	s_cbranch_execz .LBB2_5540
	s_branch .LBB2_5544
.LBB2_5543:                             ;   in Loop: Header=BB2_5541 Depth=4
	s_trap 2
	ds_load_b64 v[8:9], v0
	s_and_not1_b32 s77, s77, exec_lo
	s_mov_b32 s76, 0
	s_wait_loadcnt_dscnt 0x0
	flat_load_b32 v2, v[8:9] scope:SCOPE_SYS
	s_wait_loadcnt_dscnt 0x0
	global_inv scope:SCOPE_SYS
	v_cmp_eq_u32_e32 vcc_lo, 0, v2
	s_and_b32 s78, vcc_lo, exec_lo
	s_delay_alu instid0(SALU_CYCLE_1)
	s_or_b32 s77, s77, s78
	s_mov_b32 s79, -1
	s_or_b32 s75, s75, exec_lo
	s_and_saveexec_b32 s78, s77
	s_cbranch_execz .LBB2_5540
.LBB2_5544:                             ;   in Loop: Header=BB2_5541 Depth=4
	s_sleep 1
	s_trap 2
	ds_load_b64 v[8:9], v0
	s_wait_dscnt 0x0
	s_and_not1_b32 s75, s75, exec_lo
	v_cmp_ge_u64_e32 vcc_lo, v[8:9], v[32:33]
	s_or_not1_b32 s79, vcc_lo, exec_lo
	s_branch .LBB2_5540
.LBB2_5545:                             ;   in Loop: Header=BB2_5400 Depth=3
	s_or_b32 exec_lo, exec_lo, s73
	s_and_saveexec_b32 s73, s74
	s_delay_alu instid0(SALU_CYCLE_1)
	s_xor_b32 s73, exec_lo, s73
	s_cbranch_execz .LBB2_5547
; %bb.5546:                             ;   in Loop: Header=BB2_5400 Depth=3
	ds_store_b32 v0, v107
	s_trap 2
.LBB2_5547:                             ;   in Loop: Header=BB2_5400 Depth=3
	s_or_b32 exec_lo, exec_lo, s43
	;;#ASMSTART
	s_wakeup
	;;#ASMEND
.LBB2_5548:                             ;   in Loop: Header=BB2_5400 Depth=3
	s_or_b32 exec_lo, exec_lo, s42
.LBB2_5549:                             ;   in Loop: Header=BB2_5400 Depth=3
	s_and_not1_saveexec_b32 s15, s15
	s_cbranch_execz .LBB2_5551
; %bb.5550:                             ;   in Loop: Header=BB2_5400 Depth=3
	global_wb scope:SCOPE_DEV
	s_wait_storecnt 0x0
	s_wait_loadcnt_dscnt 0x0
	global_inv scope:SCOPE_DEV
	s_barrier_signal -1
	s_barrier_wait -1
.LBB2_5551:                             ;   in Loop: Header=BB2_5400 Depth=3
	s_or_b32 exec_lo, exec_lo, s15
.LBB2_5552:                             ;   in Loop: Header=BB2_5400 Depth=3
	s_delay_alu instid0(SALU_CYCLE_1) | instskip(SKIP_2) | instid1(SALU_CYCLE_1)
	s_or_b32 exec_lo, exec_lo, s14
	v_and_b32_e32 v8, 16, v30
	s_and_saveexec_b32 s14, s7
	s_xor_b32 s14, exec_lo, s14
	s_cbranch_execz .LBB2_5556
; %bb.5553:                             ;   in Loop: Header=BB2_5400 Depth=3
	v_and_b32_e32 v2, 16, v30
	v_and_b32_e32 v8, 16, v30
	s_delay_alu instid0(VALU_DEP_2) | instskip(SKIP_1) | instid1(SALU_CYCLE_1)
	v_cmp_ne_u32_e32 vcc_lo, 0, v2
	s_and_b32 s15, vcc_lo, s13
	s_and_saveexec_b32 s13, s15
	s_cbranch_execz .LBB2_5555
; %bb.5554:                             ;   in Loop: Header=BB2_5400 Depth=3
	v_mov_b32_e32 v8, 1
	global_wb scope:SCOPE_SYS
	s_wait_storecnt 0x0
	s_wait_loadcnt_dscnt 0x0
	global_inv scope:SCOPE_SYS
.LBB2_5555:                             ;   in Loop: Header=BB2_5400 Depth=3
	s_or_b32 exec_lo, exec_lo, s13
.LBB2_5556:                             ;   in Loop: Header=BB2_5400 Depth=3
	s_and_not1_saveexec_b32 s13, s14
	s_cbranch_execz .LBB2_5575
; %bb.5557:                             ;   in Loop: Header=BB2_5400 Depth=3
	s_and_saveexec_b32 s14, s3
	s_delay_alu instid0(SALU_CYCLE_1)
	s_xor_b32 s14, exec_lo, s14
	s_cbranch_execz .LBB2_5572
; %bb.5558:                             ;   in Loop: Header=BB2_5400 Depth=3
	s_and_saveexec_b32 s15, s6
	s_cbranch_execz .LBB2_5571
; %bb.5559:                             ;   in Loop: Header=BB2_5400 Depth=3
	s_mov_b32 s43, exec_lo
	s_mov_b32 s42, exec_lo
	v_mbcnt_lo_u32_b32 v2, s43, 0
	;;#ASMSTART
	s_waitcnt lgkmcnt(0) vmcnt(0)
	;;#ASMEND
	s_delay_alu instid0(VALU_DEP_1)
	v_cmpx_eq_u32_e32 0, v2
	s_cbranch_execz .LBB2_5561
; %bb.5560:                             ;   in Loop: Header=BB2_5400 Depth=3
	s_bcnt1_i32_b32 s43, s43
	s_delay_alu instid0(SALU_CYCLE_1)
	v_mov_b32_e32 v2, s43
	s_wait_storecnt 0x0
	s_wait_loadcnt_dscnt 0x0
	ds_add_u64 v0, v[2:3]
	s_trap 2
.LBB2_5561:                             ;   in Loop: Header=BB2_5400 Depth=3
	s_or_b32 exec_lo, exec_lo, s42
	s_trap 2
	ds_load_b64 v[10:11], v0
	s_wait_dscnt 0x0
	v_add_nc_u64_e32 v[32:33], v[32:33], v[36:37]
	s_mov_b32 s42, exec_lo
	s_delay_alu instid0(VALU_DEP_1)
	v_cmpx_lt_u64_e64 v[10:11], v[32:33]
	s_cbranch_execz .LBB2_5570
; %bb.5562:                             ;   in Loop: Header=BB2_5400 Depth=3
	s_mov_b32 s43, 0
	s_mov_b32 s75, 0
                                        ; implicit-def: $sgpr73
                                        ; implicit-def: $sgpr74
	s_branch .LBB2_5564
.LBB2_5563:                             ;   in Loop: Header=BB2_5564 Depth=4
	s_or_b32 exec_lo, exec_lo, s77
	s_delay_alu instid0(SALU_CYCLE_1) | instskip(NEXT) | instid1(SALU_CYCLE_1)
	s_and_b32 s76, exec_lo, s78
	s_or_b32 s43, s76, s43
	s_and_not1_b32 s73, s73, exec_lo
	s_and_b32 s76, s74, exec_lo
	s_delay_alu instid0(SALU_CYCLE_1)
	s_or_b32 s73, s73, s76
	s_and_not1_b32 exec_lo, exec_lo, s43
	s_cbranch_execz .LBB2_5568
.LBB2_5564:                             ;   Parent Loop BB2_47 Depth=1
                                        ;     Parent Loop BB2_5397 Depth=2
                                        ;       Parent Loop BB2_5400 Depth=3
                                        ; =>      This Inner Loop Header: Depth=4
	s_add_co_i32 s75, s75, 1
	s_delay_alu instid0(SALU_CYCLE_1) | instskip(SKIP_1) | instid1(SALU_CYCLE_1)
	s_cmp_lg_u32 s75, 0x2710
	s_cselect_b32 s76, -1, 0
	s_and_b32 vcc_lo, exec_lo, s76
	s_cbranch_vccz .LBB2_5566
; %bb.5565:                             ;   in Loop: Header=BB2_5564 Depth=4
	s_mov_b32 s78, -1
	s_or_b32 s74, s74, exec_lo
	s_and_saveexec_b32 s77, s76
	s_cbranch_execz .LBB2_5563
	s_branch .LBB2_5567
.LBB2_5566:                             ;   in Loop: Header=BB2_5564 Depth=4
	s_trap 2
	ds_load_b64 v[10:11], v0
	s_and_not1_b32 s76, s76, exec_lo
	s_mov_b32 s75, 0
	s_wait_storecnt 0x0
	s_wait_loadcnt_dscnt 0x0
	flat_load_b32 v2, v[10:11] scope:SCOPE_SYS
	s_wait_loadcnt_dscnt 0x0
	global_inv scope:SCOPE_SYS
	v_cmp_eq_u32_e32 vcc_lo, 0, v2
	s_and_b32 s77, vcc_lo, exec_lo
	s_delay_alu instid0(SALU_CYCLE_1)
	s_or_b32 s76, s76, s77
	s_mov_b32 s78, -1
	s_or_b32 s74, s74, exec_lo
	s_and_saveexec_b32 s77, s76
	s_cbranch_execz .LBB2_5563
.LBB2_5567:                             ;   in Loop: Header=BB2_5564 Depth=4
	s_sleep 1
	s_trap 2
	ds_load_b64 v[10:11], v0
	s_wait_dscnt 0x0
	s_and_not1_b32 s74, s74, exec_lo
	v_cmp_ge_u64_e32 vcc_lo, v[10:11], v[32:33]
	s_or_not1_b32 s78, vcc_lo, exec_lo
	s_branch .LBB2_5563
.LBB2_5568:                             ;   in Loop: Header=BB2_5400 Depth=3
	s_or_b32 exec_lo, exec_lo, s43
	s_and_saveexec_b32 s43, s73
	s_delay_alu instid0(SALU_CYCLE_1)
	s_xor_b32 s43, exec_lo, s43
	s_cbranch_execz .LBB2_5570
; %bb.5569:                             ;   in Loop: Header=BB2_5400 Depth=3
	ds_store_b32 v0, v107
	s_trap 2
.LBB2_5570:                             ;   in Loop: Header=BB2_5400 Depth=3
	s_or_b32 exec_lo, exec_lo, s42
	;;#ASMSTART
	s_wakeup
	;;#ASMEND
.LBB2_5571:                             ;   in Loop: Header=BB2_5400 Depth=3
	s_or_b32 exec_lo, exec_lo, s15
.LBB2_5572:                             ;   in Loop: Header=BB2_5400 Depth=3
	s_and_not1_saveexec_b32 s14, s14
	s_cbranch_execz .LBB2_5574
; %bb.5573:                             ;   in Loop: Header=BB2_5400 Depth=3
	;;#ASMSTART
	s_waitcnt lgkmcnt(0) vmcnt(0)
	;;#ASMEND
	s_barrier_signal -1
	s_barrier_wait -1
.LBB2_5574:                             ;   in Loop: Header=BB2_5400 Depth=3
	s_or_b32 exec_lo, exec_lo, s14
.LBB2_5575:                             ;   in Loop: Header=BB2_5400 Depth=3
	s_delay_alu instid0(SALU_CYCLE_1) | instskip(SKIP_2) | instid1(SALU_CYCLE_1)
	s_or_b32 exec_lo, exec_lo, s13
	v_cmp_ne_u32_e32 vcc_lo, 0, v8
	s_xor_b32 s13, s4, -1
	s_and_b32 s14, vcc_lo, s13
	s_delay_alu instid0(SALU_CYCLE_1)
	s_and_saveexec_b32 s13, s14
	s_cbranch_execz .LBB2_5577
; %bb.5576:                             ;   in Loop: Header=BB2_5400 Depth=3
	global_wb scope:SCOPE_SYS
	s_wait_storecnt 0x0
	s_wait_loadcnt_dscnt 0x0
	flat_store_b32 v[28:29], v107 scope:SCOPE_SYS
.LBB2_5577:                             ;   in Loop: Header=BB2_5400 Depth=3
	s_wait_xcnt 0x0
	s_or_b32 exec_lo, exec_lo, s13
	v_and_b32_e32 v2, 48, v30
	s_mov_b32 s13, exec_lo
	s_delay_alu instid0(VALU_DEP_1)
	v_cmpx_ne_u32_e32 0, v2
	s_cbranch_execz .LBB2_5399
; %bb.5578:                             ;   in Loop: Header=BB2_5400 Depth=3
	v_add_nc_u64_e32 v[98:99], 2, v[98:99]
	global_wb scope:SCOPE_SYS
	s_wait_storecnt 0x0
	s_wait_loadcnt_dscnt 0x0
	flat_store_b64 v[22:23], v[98:99] scope:SCOPE_SYS
	s_branch .LBB2_5399
.LBB2_5579:                             ;   in Loop: Header=BB2_5397 Depth=2
	s_or_b32 exec_lo, exec_lo, s62
.LBB2_5580:                             ;   in Loop: Header=BB2_5397 Depth=2
	s_delay_alu instid0(SALU_CYCLE_1) | instskip(NEXT) | instid1(SALU_CYCLE_1)
	s_or_b32 exec_lo, exec_lo, s29
	s_mov_b32 s14, exec_lo
	v_cmpx_gt_i32_e32 2, v2
	s_cbranch_execz .LBB2_5656
; %bb.5581:                             ;   in Loop: Header=BB2_5397 Depth=2
	v_cmp_eq_u32_e64 s29, 0, v2
	s_mov_b32 s15, 0
	s_branch .LBB2_5583
.LBB2_5582:                             ;   in Loop: Header=BB2_5583 Depth=3
	s_wait_xcnt 0x0
	s_or_b32 exec_lo, exec_lo, s13
	v_add_nc_u32_e32 v14, v12, v14
	s_mov_b32 s29, 0
	s_and_not1_b32 exec_lo, exec_lo, s15
	s_cbranch_execz .LBB2_5655
.LBB2_5583:                             ;   Parent Loop BB2_47 Depth=1
                                        ;     Parent Loop BB2_5397 Depth=2
                                        ; =>    This Loop Header: Depth=3
                                        ;         Child Loop BB2_5589 Depth 4
                                        ;         Child Loop BB2_5617 Depth 4
	;; [unrolled: 1-line block ×3, first 2 shown]
	s_delay_alu instid0(VALU_DEP_1) | instskip(SKIP_2) | instid1(VALU_DEP_2)
	v_sub_nc_u32_e32 v2, v18, v14
	v_and_b32_e32 v8, 12, v30
	s_mov_b32 s42, exec_lo
	v_min_i32_e32 v12, v12, v2
	s_delay_alu instid0(VALU_DEP_2)
	v_cmpx_ne_u32_e32 0, v8
	s_cbranch_execz .LBB2_5609
; %bb.5584:                             ;   in Loop: Header=BB2_5583 Depth=3
	v_and_b32_e32 v2, 8, v30
	v_add_nc_u64_e32 v[8:9], 2, v[98:99]
	s_mov_b32 s43, exec_lo
	s_wait_loadcnt_dscnt 0x1
	s_delay_alu instid0(VALU_DEP_2) | instskip(NEXT) | instid1(VALU_DEP_1)
	v_add_nc_u64_e32 v[10:11], v[34:35], v[2:3]
	v_cmpx_lt_u64_e64 v[10:11], v[8:9]
	s_cbranch_execz .LBB2_5596
; %bb.5585:                             ;   in Loop: Header=BB2_5583 Depth=3
	v_and_b32_e32 v10, 64, v30
	s_mov_b32 s62, 0
	s_mov_b32 s74, 0
                                        ; implicit-def: $sgpr63
                                        ; implicit-def: $sgpr72
                                        ; implicit-def: $sgpr73
	s_delay_alu instid0(VALU_DEP_1)
	v_cmp_eq_u32_e32 vcc_lo, 0, v10
	s_branch .LBB2_5589
.LBB2_5586:                             ;   in Loop: Header=BB2_5589 Depth=4
	s_wait_loadcnt_dscnt 0x0
	v_add_nc_u64_e32 v[20:21], v[34:35], v[2:3]
	s_or_b32 s77, s77, exec_lo
	s_delay_alu instid0(VALU_DEP_1)
	v_cmp_ge_u64_e64 s13, v[20:21], v[8:9]
	s_or_not1_b32 s76, s13, exec_lo
.LBB2_5587:                             ;   in Loop: Header=BB2_5589 Depth=4
	s_or_b32 exec_lo, exec_lo, s79
	s_delay_alu instid0(SALU_CYCLE_1)
	s_and_not1_b32 s13, s73, exec_lo
	s_and_b32 s73, s77, exec_lo
	s_and_not1_b32 s72, s72, exec_lo
	s_and_b32 s76, s76, exec_lo
	s_or_b32 s73, s13, s73
	s_or_b32 s72, s72, s76
.LBB2_5588:                             ;   in Loop: Header=BB2_5589 Depth=4
	s_or_b32 exec_lo, exec_lo, s75
	s_delay_alu instid0(SALU_CYCLE_1) | instskip(NEXT) | instid1(SALU_CYCLE_1)
	s_and_b32 s13, exec_lo, s72
	s_or_b32 s62, s13, s62
	s_and_not1_b32 s13, s63, exec_lo
	s_and_b32 s63, s73, exec_lo
	s_delay_alu instid0(SALU_CYCLE_1)
	s_or_b32 s63, s13, s63
	s_and_not1_b32 exec_lo, exec_lo, s62
	s_cbranch_execz .LBB2_5593
.LBB2_5589:                             ;   Parent Loop BB2_47 Depth=1
                                        ;     Parent Loop BB2_5397 Depth=2
                                        ;       Parent Loop BB2_5583 Depth=3
                                        ; =>      This Inner Loop Header: Depth=4
	s_sleep 1
	s_wait_loadcnt_dscnt 0x0
	flat_load_b64 v[34:35], v[22:23] scope:SCOPE_SYS
	s_or_b32 s73, s73, exec_lo
	s_or_b32 s72, s72, exec_lo
                                        ; implicit-def: $vgpr10
	s_wait_xcnt 0x0
	s_and_saveexec_b32 s75, vcc_lo
	s_cbranch_execz .LBB2_5588
; %bb.5590:                             ;   in Loop: Header=BB2_5589 Depth=4
	s_cmp_lt_i32 s74, 0x270f
	s_mov_b32 s76, -1
	s_cselect_b32 s78, -1, 0
	s_cmp_gt_i32 s74, 0x270e
	s_cbranch_scc0 .LBB2_5592
; %bb.5591:                             ;   in Loop: Header=BB2_5589 Depth=4
	s_trap 2
	ds_load_b64 v[10:11], v0
	s_and_not1_b32 s74, s78, exec_lo
	s_mov_b32 s77, 0
	s_wait_storecnt 0x0
	s_wait_loadcnt_dscnt 0x0
	flat_load_b32 v10, v[10:11] scope:SCOPE_SYS
	s_wait_loadcnt_dscnt 0x0
	global_inv scope:SCOPE_SYS
	v_cmp_eq_u32_e64 s13, 0, v10
	s_and_b32 s13, s13, exec_lo
	s_delay_alu instid0(SALU_CYCLE_1)
	s_or_b32 s78, s74, s13
	s_mov_b32 s74, 0
	s_and_saveexec_b32 s79, s78
	s_cbranch_execz .LBB2_5587
	s_branch .LBB2_5586
.LBB2_5592:                             ;   in Loop: Header=BB2_5589 Depth=4
	s_add_co_i32 s74, s74, 1
	s_mov_b32 s77, -1
                                        ; implicit-def: $vgpr10
	s_and_saveexec_b32 s79, s78
	s_cbranch_execz .LBB2_5587
	s_branch .LBB2_5586
.LBB2_5593:                             ;   in Loop: Header=BB2_5583 Depth=3
	s_or_b32 exec_lo, exec_lo, s62
	s_xor_b32 s13, s63, -1
	s_delay_alu instid0(SALU_CYCLE_1) | instskip(NEXT) | instid1(SALU_CYCLE_1)
	s_and_saveexec_b32 s62, s13
	s_xor_b32 s13, exec_lo, s62
	s_cbranch_execz .LBB2_5595
; %bb.5594:                             ;   in Loop: Header=BB2_5583 Depth=3
	v_or_b32_e32 v30, 64, v30
	s_wait_storecnt 0x0
	s_wait_loadcnt_dscnt 0x0
	ds_store_b32 v0, v10
	s_trap 2
.LBB2_5595:                             ;   in Loop: Header=BB2_5583 Depth=3
	s_or_b32 exec_lo, exec_lo, s13
.LBB2_5596:                             ;   in Loop: Header=BB2_5583 Depth=3
	s_delay_alu instid0(SALU_CYCLE_1) | instskip(SKIP_2) | instid1(VALU_DEP_1)
	s_or_b32 exec_lo, exec_lo, s43
	v_and_b32_e32 v10, 0x108, v30
	;;#ASMSTART
	s_wakeup
	;;#ASMEND
	v_cmp_ne_u32_e32 vcc_lo, 0x108, v10
                                        ; implicit-def: $vgpr10_vgpr11
	s_and_saveexec_b32 s13, vcc_lo
	s_delay_alu instid0(SALU_CYCLE_1)
	s_xor_b32 s13, exec_lo, s13
; %bb.5597:                             ;   in Loop: Header=BB2_5583 Depth=3
	v_dual_mov_b32 v11, v3 :: v_dual_bitop2_b32 v10, 7, v98 bitop3:0x40
                                        ; implicit-def: $vgpr98_vgpr99
; %bb.5598:                             ;   in Loop: Header=BB2_5583 Depth=3
	s_and_not1_saveexec_b32 s13, s13
	s_cbranch_execz .LBB2_5600
; %bb.5599:                             ;   in Loop: Header=BB2_5583 Depth=3
	v_dual_ashrrev_i32 v13, 31, v12 :: v_dual_bitop2_b32 v10, 7, v98 bitop3:0x40
	v_mov_b32_e32 v11, v3
	s_delay_alu instid0(VALU_DEP_2)
	v_mad_nc_u64_u32 v[20:21], v10, 24, v[6:7]
	flat_store_b64 v[20:21], v[12:13] offset:8
.LBB2_5600:                             ;   in Loop: Header=BB2_5583 Depth=3
	s_wait_xcnt 0x0
	s_or_b32 exec_lo, exec_lo, s13
	v_and_b32_e32 v13, 0x100, v30
	s_mov_b32 s13, -1
	s_mov_b32 s43, exec_lo
                                        ; implicit-def: $vgpr98_vgpr99
	s_delay_alu instid0(VALU_DEP_1)
	v_cmpx_ne_u32_e32 0, v13
	s_cbranch_execz .LBB2_5604
; %bb.5601:                             ;   in Loop: Header=BB2_5583 Depth=3
	v_mad_nc_u64_u32 v[112:113], v10, 24, v[6:7]
	s_mov_b32 s62, exec_lo
                                        ; implicit-def: $vgpr98_vgpr99
	s_delay_alu instid0(VALU_DEP_1)
	v_mad_u32 v113, v11, 24, v113
	flat_load_b32 v13, v[112:113]
	s_wait_loadcnt_dscnt 0x0
	v_cmp_ne_u32_e32 vcc_lo, 1, v13
	s_wait_xcnt 0x0
	v_cmpx_eq_u32_e32 1, v13
	s_cbranch_execz .LBB2_5603
; %bb.5602:                             ;   in Loop: Header=BB2_5583 Depth=3
	flat_load_b32 v98, v[112:113] offset:4 scope:SCOPE_SYS
	s_wait_loadcnt_dscnt 0x0
	v_ashrrev_i32_e32 v99, 31, v98
.LBB2_5603:                             ;   in Loop: Header=BB2_5583 Depth=3
	s_wait_xcnt 0x0
	s_or_b32 exec_lo, exec_lo, s62
	s_delay_alu instid0(SALU_CYCLE_1)
	s_or_not1_b32 s13, vcc_lo, exec_lo
.LBB2_5604:                             ;   in Loop: Header=BB2_5583 Depth=3
	s_or_b32 exec_lo, exec_lo, s43
	s_and_saveexec_b32 s43, s13
; %bb.5605:                             ;   in Loop: Header=BB2_5583 Depth=3
	v_mul_u64_e32 v[98:99], v[10:11], v[24:25]
; %bb.5606:                             ;   in Loop: Header=BB2_5583 Depth=3
	s_or_b32 exec_lo, exec_lo, s43
	v_cmp_eq_u32_e32 vcc_lo, 0, v2
	s_delay_alu instid0(VALU_DEP_2) | instskip(SKIP_3) | instid1(VALU_DEP_1)
	v_add_nc_u64_e32 v[10:11], v[26:27], v[98:99]
	v_and_b32_e32 v13, 0x2000, v30
	s_mov_b32 s13, exec_lo
	v_cndmask_b32_e32 v2, 0xd0, v111, vcc_lo
	v_add_nc_u32_e32 v2, v0, v2
	ds_store_b64 v2, v[10:11] offset:584
	v_cmpx_ne_u32_e32 0, v13
	s_cbranch_execz .LBB2_5608
; %bb.5607:                             ;   in Loop: Header=BB2_5583 Depth=3
	ds_load_b64 v[10:11], v0 offset:872
	s_wait_dscnt 0x0
	v_add_nc_u64_e32 v[10:11], 1, v[10:11]
	ds_store_b64 v0, v[10:11] offset:872
.LBB2_5608:                             ;   in Loop: Header=BB2_5583 Depth=3
	s_or_b32 exec_lo, exec_lo, s13
	v_mov_b64_e32 v[98:99], v[8:9]
.LBB2_5609:                             ;   in Loop: Header=BB2_5583 Depth=3
	s_or_b32 exec_lo, exec_lo, s42
	s_xor_b32 s13, s29, -1
	s_delay_alu instid0(SALU_CYCLE_1) | instskip(NEXT) | instid1(SALU_CYCLE_1)
	s_and_b32 s13, exec_lo, s13
	s_or_b32 s15, s13, s15
	s_and_saveexec_b32 s13, s2
	s_cbranch_execz .LBB2_5628
; %bb.5610:                             ;   in Loop: Header=BB2_5583 Depth=3
	s_and_saveexec_b32 s29, s3
	s_delay_alu instid0(SALU_CYCLE_1)
	s_xor_b32 s29, exec_lo, s29
	s_cbranch_execz .LBB2_5625
; %bb.5611:                             ;   in Loop: Header=BB2_5583 Depth=3
	s_and_saveexec_b32 s42, s6
	s_cbranch_execz .LBB2_5624
; %bb.5612:                             ;   in Loop: Header=BB2_5583 Depth=3
	s_mov_b32 s62, exec_lo
	s_mov_b32 s43, exec_lo
	v_mbcnt_lo_u32_b32 v2, s62, 0
	global_wb scope:SCOPE_DEV
	s_wait_storecnt 0x0
	s_wait_loadcnt_dscnt 0x0
	global_inv scope:SCOPE_DEV
	v_cmpx_eq_u32_e32 0, v2
	s_cbranch_execz .LBB2_5614
; %bb.5613:                             ;   in Loop: Header=BB2_5583 Depth=3
	s_bcnt1_i32_b32 s62, s62
	s_delay_alu instid0(SALU_CYCLE_1)
	v_mov_b32_e32 v2, s62
	s_wait_loadcnt 0x0
	ds_add_u64 v0, v[2:3]
	s_trap 2
.LBB2_5614:                             ;   in Loop: Header=BB2_5583 Depth=3
	s_or_b32 exec_lo, exec_lo, s43
	s_trap 2
	ds_load_b64 v[8:9], v0
	s_wait_dscnt 0x0
	v_add_nc_u64_e32 v[32:33], v[32:33], v[36:37]
	s_mov_b32 s43, exec_lo
	s_delay_alu instid0(VALU_DEP_1)
	v_cmpx_lt_u64_e64 v[8:9], v[32:33]
	s_cbranch_execz .LBB2_5623
; %bb.5615:                             ;   in Loop: Header=BB2_5583 Depth=3
	s_mov_b32 s62, 0
	s_mov_b32 s73, 0
                                        ; implicit-def: $sgpr63
                                        ; implicit-def: $sgpr72
	s_branch .LBB2_5617
.LBB2_5616:                             ;   in Loop: Header=BB2_5617 Depth=4
	s_or_b32 exec_lo, exec_lo, s75
	s_delay_alu instid0(SALU_CYCLE_1) | instskip(NEXT) | instid1(SALU_CYCLE_1)
	s_and_b32 s74, exec_lo, s76
	s_or_b32 s62, s74, s62
	s_and_not1_b32 s63, s63, exec_lo
	s_and_b32 s74, s72, exec_lo
	s_delay_alu instid0(SALU_CYCLE_1)
	s_or_b32 s63, s63, s74
	s_and_not1_b32 exec_lo, exec_lo, s62
	s_cbranch_execz .LBB2_5621
.LBB2_5617:                             ;   Parent Loop BB2_47 Depth=1
                                        ;     Parent Loop BB2_5397 Depth=2
                                        ;       Parent Loop BB2_5583 Depth=3
                                        ; =>      This Inner Loop Header: Depth=4
	s_add_co_i32 s73, s73, 1
	s_delay_alu instid0(SALU_CYCLE_1) | instskip(SKIP_1) | instid1(SALU_CYCLE_1)
	s_cmp_lg_u32 s73, 0x2710
	s_cselect_b32 s74, -1, 0
	s_and_b32 vcc_lo, exec_lo, s74
	s_cbranch_vccz .LBB2_5619
; %bb.5618:                             ;   in Loop: Header=BB2_5617 Depth=4
	s_mov_b32 s76, -1
	s_or_b32 s72, s72, exec_lo
	s_and_saveexec_b32 s75, s74
	s_cbranch_execz .LBB2_5616
	s_branch .LBB2_5620
.LBB2_5619:                             ;   in Loop: Header=BB2_5617 Depth=4
	s_trap 2
	ds_load_b64 v[8:9], v0
	s_and_not1_b32 s74, s74, exec_lo
	s_mov_b32 s73, 0
	s_wait_loadcnt_dscnt 0x0
	flat_load_b32 v2, v[8:9] scope:SCOPE_SYS
	s_wait_loadcnt_dscnt 0x0
	global_inv scope:SCOPE_SYS
	v_cmp_eq_u32_e32 vcc_lo, 0, v2
	s_and_b32 s75, vcc_lo, exec_lo
	s_delay_alu instid0(SALU_CYCLE_1)
	s_or_b32 s74, s74, s75
	s_mov_b32 s76, -1
	s_or_b32 s72, s72, exec_lo
	s_and_saveexec_b32 s75, s74
	s_cbranch_execz .LBB2_5616
.LBB2_5620:                             ;   in Loop: Header=BB2_5617 Depth=4
	s_sleep 1
	s_trap 2
	ds_load_b64 v[8:9], v0
	s_wait_dscnt 0x0
	s_and_not1_b32 s72, s72, exec_lo
	v_cmp_ge_u64_e32 vcc_lo, v[8:9], v[32:33]
	s_or_not1_b32 s76, vcc_lo, exec_lo
	s_branch .LBB2_5616
.LBB2_5621:                             ;   in Loop: Header=BB2_5583 Depth=3
	s_or_b32 exec_lo, exec_lo, s62
	s_and_saveexec_b32 s62, s63
	s_delay_alu instid0(SALU_CYCLE_1)
	s_xor_b32 s62, exec_lo, s62
	s_cbranch_execz .LBB2_5623
; %bb.5622:                             ;   in Loop: Header=BB2_5583 Depth=3
	ds_store_b32 v0, v107
	s_trap 2
.LBB2_5623:                             ;   in Loop: Header=BB2_5583 Depth=3
	s_or_b32 exec_lo, exec_lo, s43
	;;#ASMSTART
	s_wakeup
	;;#ASMEND
.LBB2_5624:                             ;   in Loop: Header=BB2_5583 Depth=3
	s_or_b32 exec_lo, exec_lo, s42
.LBB2_5625:                             ;   in Loop: Header=BB2_5583 Depth=3
	s_and_not1_saveexec_b32 s29, s29
	s_cbranch_execz .LBB2_5627
; %bb.5626:                             ;   in Loop: Header=BB2_5583 Depth=3
	global_wb scope:SCOPE_DEV
	s_wait_storecnt 0x0
	s_wait_loadcnt_dscnt 0x0
	global_inv scope:SCOPE_DEV
	s_barrier_signal -1
	s_barrier_wait -1
.LBB2_5627:                             ;   in Loop: Header=BB2_5583 Depth=3
	s_or_b32 exec_lo, exec_lo, s29
.LBB2_5628:                             ;   in Loop: Header=BB2_5583 Depth=3
	s_delay_alu instid0(SALU_CYCLE_1) | instskip(SKIP_2) | instid1(SALU_CYCLE_1)
	s_or_b32 exec_lo, exec_lo, s13
	v_and_b32_e32 v8, 16, v30
	s_and_saveexec_b32 s13, s7
	s_xor_b32 s29, exec_lo, s13
	s_cbranch_execz .LBB2_5632
; %bb.5629:                             ;   in Loop: Header=BB2_5583 Depth=3
	s_trap 2
	ds_load_b32 v2, v0
	v_cmp_lt_i32_e32 vcc_lo, 0, v12
	v_and_b32_e32 v8, 16, v30
	s_wait_dscnt 0x0
	v_readfirstlane_b32 s13, v2
	v_and_b32_e32 v2, 16, v30
	s_cmp_eq_u32 s13, 0
	s_delay_alu instid0(VALU_DEP_1) | instskip(SKIP_1) | instid1(SALU_CYCLE_1)
	v_cmp_ne_u32_e64 s13, 0, v2
	s_cselect_b32 s42, -1, 0
	s_and_b32 s42, vcc_lo, s42
	s_delay_alu instid0(SALU_CYCLE_1) | instskip(NEXT) | instid1(SALU_CYCLE_1)
	s_and_b32 s42, s13, s42
	s_and_saveexec_b32 s13, s42
	s_cbranch_execz .LBB2_5631
; %bb.5630:                             ;   in Loop: Header=BB2_5583 Depth=3
	v_mov_b32_e32 v8, 1
	global_wb scope:SCOPE_SYS
	s_wait_loadcnt 0x0
	s_wait_storecnt 0x0
	global_inv scope:SCOPE_SYS
.LBB2_5631:                             ;   in Loop: Header=BB2_5583 Depth=3
	s_or_b32 exec_lo, exec_lo, s13
.LBB2_5632:                             ;   in Loop: Header=BB2_5583 Depth=3
	s_and_not1_saveexec_b32 s13, s29
	s_cbranch_execz .LBB2_5651
; %bb.5633:                             ;   in Loop: Header=BB2_5583 Depth=3
	s_and_saveexec_b32 s29, s3
	s_delay_alu instid0(SALU_CYCLE_1)
	s_xor_b32 s29, exec_lo, s29
	s_cbranch_execz .LBB2_5648
; %bb.5634:                             ;   in Loop: Header=BB2_5583 Depth=3
	s_and_saveexec_b32 s42, s6
	s_cbranch_execz .LBB2_5647
; %bb.5635:                             ;   in Loop: Header=BB2_5583 Depth=3
	s_mov_b32 s62, exec_lo
	s_mov_b32 s43, exec_lo
	v_mbcnt_lo_u32_b32 v2, s62, 0
	;;#ASMSTART
	s_waitcnt lgkmcnt(0) vmcnt(0)
	;;#ASMEND
	s_delay_alu instid0(VALU_DEP_1)
	v_cmpx_eq_u32_e32 0, v2
	s_cbranch_execz .LBB2_5637
; %bb.5636:                             ;   in Loop: Header=BB2_5583 Depth=3
	s_bcnt1_i32_b32 s62, s62
	s_delay_alu instid0(SALU_CYCLE_1)
	v_mov_b32_e32 v2, s62
	s_wait_storecnt 0x0
	s_wait_loadcnt_dscnt 0x0
	ds_add_u64 v0, v[2:3]
	s_trap 2
.LBB2_5637:                             ;   in Loop: Header=BB2_5583 Depth=3
	s_or_b32 exec_lo, exec_lo, s43
	s_trap 2
	ds_load_b64 v[10:11], v0
	s_wait_dscnt 0x0
	v_add_nc_u64_e32 v[32:33], v[32:33], v[36:37]
	s_mov_b32 s43, exec_lo
	s_delay_alu instid0(VALU_DEP_1)
	v_cmpx_lt_u64_e64 v[10:11], v[32:33]
	s_cbranch_execz .LBB2_5646
; %bb.5638:                             ;   in Loop: Header=BB2_5583 Depth=3
	s_mov_b32 s62, 0
	s_mov_b32 s73, 0
                                        ; implicit-def: $sgpr63
                                        ; implicit-def: $sgpr72
	s_branch .LBB2_5640
.LBB2_5639:                             ;   in Loop: Header=BB2_5640 Depth=4
	s_or_b32 exec_lo, exec_lo, s75
	s_delay_alu instid0(SALU_CYCLE_1) | instskip(NEXT) | instid1(SALU_CYCLE_1)
	s_and_b32 s74, exec_lo, s76
	s_or_b32 s62, s74, s62
	s_and_not1_b32 s63, s63, exec_lo
	s_and_b32 s74, s72, exec_lo
	s_delay_alu instid0(SALU_CYCLE_1)
	s_or_b32 s63, s63, s74
	s_and_not1_b32 exec_lo, exec_lo, s62
	s_cbranch_execz .LBB2_5644
.LBB2_5640:                             ;   Parent Loop BB2_47 Depth=1
                                        ;     Parent Loop BB2_5397 Depth=2
                                        ;       Parent Loop BB2_5583 Depth=3
                                        ; =>      This Inner Loop Header: Depth=4
	s_add_co_i32 s73, s73, 1
	s_delay_alu instid0(SALU_CYCLE_1) | instskip(SKIP_1) | instid1(SALU_CYCLE_1)
	s_cmp_lg_u32 s73, 0x2710
	s_cselect_b32 s74, -1, 0
	s_and_b32 vcc_lo, exec_lo, s74
	s_cbranch_vccz .LBB2_5642
; %bb.5641:                             ;   in Loop: Header=BB2_5640 Depth=4
	s_mov_b32 s76, -1
	s_or_b32 s72, s72, exec_lo
	s_and_saveexec_b32 s75, s74
	s_cbranch_execz .LBB2_5639
	s_branch .LBB2_5643
.LBB2_5642:                             ;   in Loop: Header=BB2_5640 Depth=4
	s_trap 2
	ds_load_b64 v[10:11], v0
	s_and_not1_b32 s74, s74, exec_lo
	s_mov_b32 s73, 0
	s_wait_storecnt 0x0
	s_wait_loadcnt_dscnt 0x0
	flat_load_b32 v2, v[10:11] scope:SCOPE_SYS
	s_wait_loadcnt_dscnt 0x0
	global_inv scope:SCOPE_SYS
	v_cmp_eq_u32_e32 vcc_lo, 0, v2
	s_and_b32 s75, vcc_lo, exec_lo
	s_delay_alu instid0(SALU_CYCLE_1)
	s_or_b32 s74, s74, s75
	s_mov_b32 s76, -1
	s_or_b32 s72, s72, exec_lo
	s_and_saveexec_b32 s75, s74
	s_cbranch_execz .LBB2_5639
.LBB2_5643:                             ;   in Loop: Header=BB2_5640 Depth=4
	s_sleep 1
	s_trap 2
	ds_load_b64 v[10:11], v0
	s_wait_dscnt 0x0
	s_and_not1_b32 s72, s72, exec_lo
	v_cmp_ge_u64_e32 vcc_lo, v[10:11], v[32:33]
	s_or_not1_b32 s76, vcc_lo, exec_lo
	s_branch .LBB2_5639
.LBB2_5644:                             ;   in Loop: Header=BB2_5583 Depth=3
	s_or_b32 exec_lo, exec_lo, s62
	s_and_saveexec_b32 s62, s63
	s_delay_alu instid0(SALU_CYCLE_1)
	s_xor_b32 s62, exec_lo, s62
	s_cbranch_execz .LBB2_5646
; %bb.5645:                             ;   in Loop: Header=BB2_5583 Depth=3
	ds_store_b32 v0, v107
	s_trap 2
.LBB2_5646:                             ;   in Loop: Header=BB2_5583 Depth=3
	s_or_b32 exec_lo, exec_lo, s43
	;;#ASMSTART
	s_wakeup
	;;#ASMEND
.LBB2_5647:                             ;   in Loop: Header=BB2_5583 Depth=3
	s_or_b32 exec_lo, exec_lo, s42
.LBB2_5648:                             ;   in Loop: Header=BB2_5583 Depth=3
	s_and_not1_saveexec_b32 s29, s29
	s_cbranch_execz .LBB2_5650
; %bb.5649:                             ;   in Loop: Header=BB2_5583 Depth=3
	;;#ASMSTART
	s_waitcnt lgkmcnt(0) vmcnt(0)
	;;#ASMEND
	s_barrier_signal -1
	s_barrier_wait -1
.LBB2_5650:                             ;   in Loop: Header=BB2_5583 Depth=3
	s_or_b32 exec_lo, exec_lo, s29
.LBB2_5651:                             ;   in Loop: Header=BB2_5583 Depth=3
	s_delay_alu instid0(SALU_CYCLE_1) | instskip(SKIP_2) | instid1(SALU_CYCLE_1)
	s_or_b32 exec_lo, exec_lo, s13
	v_cmp_ne_u32_e32 vcc_lo, 0, v8
	s_xor_b32 s13, s4, -1
	s_and_b32 s29, vcc_lo, s13
	s_delay_alu instid0(SALU_CYCLE_1)
	s_and_saveexec_b32 s13, s29
	s_cbranch_execz .LBB2_5653
; %bb.5652:                             ;   in Loop: Header=BB2_5583 Depth=3
	global_wb scope:SCOPE_SYS
	s_wait_storecnt 0x0
	s_wait_loadcnt_dscnt 0x0
	flat_store_b32 v[28:29], v107 scope:SCOPE_SYS
.LBB2_5653:                             ;   in Loop: Header=BB2_5583 Depth=3
	s_wait_xcnt 0x0
	s_or_b32 exec_lo, exec_lo, s13
	v_and_b32_e32 v2, 48, v30
	s_mov_b32 s13, exec_lo
	s_delay_alu instid0(VALU_DEP_1)
	v_cmpx_ne_u32_e32 0, v2
	s_cbranch_execz .LBB2_5582
; %bb.5654:                             ;   in Loop: Header=BB2_5583 Depth=3
	v_add_nc_u64_e32 v[98:99], 2, v[98:99]
	global_wb scope:SCOPE_SYS
	s_wait_storecnt 0x0
	s_wait_loadcnt_dscnt 0x0
	flat_store_b64 v[22:23], v[98:99] scope:SCOPE_SYS
	s_branch .LBB2_5582
.LBB2_5655:                             ;   in Loop: Header=BB2_5397 Depth=2
	s_or_b32 exec_lo, exec_lo, s15
.LBB2_5656:                             ;   in Loop: Header=BB2_5397 Depth=2
	s_delay_alu instid0(SALU_CYCLE_1)
	s_or_b32 exec_lo, exec_lo, s14
	s_add_co_i32 s13, s18, 1
	s_cmp_eq_u32 s18, s58
	s_cbranch_scc1 .LBB2_5658
; %bb.5657:                             ;   in Loop: Header=BB2_5397 Depth=2
	s_mov_b32 s18, s13
	s_branch .LBB2_5397
.LBB2_5658:                             ;   in Loop: Header=BB2_47 Depth=1
	v_mul_u64_e32 v[10:11], s[40:41], v[96:97]
	s_delay_alu instid0(VALU_DEP_1) | instskip(NEXT) | instid1(VALU_DEP_1)
	v_sub_nc_u64_e32 v[8:9], v[100:101], v[10:11]
	v_min_i64 v[8:9], v[96:97], v[8:9]
	s_delay_alu instid0(VALU_DEP_1) | instskip(SKIP_1) | instid1(VALU_DEP_2)
	v_max_i32_e32 v18, 0, v8
	v_cmp_lt_i32_e32 vcc_lo, 0, v8
	v_dual_mov_b32 v8, 0 :: v_dual_add_nc_u32 v2, 31, v18
	s_and_b32 s13, s59, vcc_lo
	s_delay_alu instid0(VALU_DEP_1) | instskip(NEXT) | instid1(VALU_DEP_1)
	v_lshrrev_b32_e32 v2, 1, v2
	v_and_b32_e32 v9, 0x3ffffff0, v2
	s_delay_alu instid0(VALU_DEP_1)
	v_dual_mov_b32 v2, 0 :: v_dual_max_i32 v19, s47, v9
	s_and_saveexec_b32 s14, s13
	s_cbranch_execz .LBB2_5798
; %bb.5659:                             ;   in Loop: Header=BB2_47 Depth=1
	v_add_nc_u64_e32 v[10:11], v[10:11], v[102:103]
	v_mov_b32_e32 v8, 0
	s_mov_b32 s29, 1
	s_mov_b32 s18, -1
	s_mov_b32 s15, 0
	s_branch .LBB2_5661
.LBB2_5660:                             ;   in Loop: Header=BB2_5661 Depth=2
	s_wait_xcnt 0x0
	s_or_b32 exec_lo, exec_lo, s13
	v_dual_add_nc_u32 v8, v19, v8 :: v_dual_mov_b32 v2, s29
	s_xor_b32 s13, s18, -1
	s_mov_b32 s18, 0
	s_mov_b32 s29, 2
	s_delay_alu instid0(VALU_DEP_1) | instskip(SKIP_1) | instid1(SALU_CYCLE_1)
	v_cmp_ge_i32_e32 vcc_lo, v8, v18
	s_or_b32 s13, s13, vcc_lo
	s_and_b32 s13, exec_lo, s13
	s_delay_alu instid0(SALU_CYCLE_1) | instskip(NEXT) | instid1(SALU_CYCLE_1)
	s_or_b32 s15, s13, s15
	s_and_not1_b32 exec_lo, exec_lo, s15
	s_cbranch_execz .LBB2_5797
.LBB2_5661:                             ;   Parent Loop BB2_47 Depth=1
                                        ; =>  This Loop Header: Depth=2
                                        ;       Child Loop BB2_5669 Depth 3
                                        ;       Child Loop BB2_5693 Depth 3
	;; [unrolled: 1-line block ×9, first 2 shown]
	s_and_saveexec_b32 s13, s0
	s_cbranch_execz .LBB2_5663
; %bb.5662:                             ;   in Loop: Header=BB2_5661 Depth=2
	s_trap 2
	ds_load_b128 v[12:15], v0
	s_wait_dscnt 0x0
	v_add_nc_u64_e32 v[20:21], v[14:15], v[10:11]
	v_cmp_ne_u64_e32 vcc_lo, 0, v[14:15]
	v_ashrrev_i32_e32 v9, 31, v8
	v_add_nc_u64_e32 v[12:13], v[12:13], v[10:11]
	s_delay_alu instid0(VALU_DEP_2) | instskip(NEXT) | instid1(VALU_DEP_1)
	v_add_nc_u64_e32 v[20:21], v[20:21], v[8:9]
	v_cndmask_b32_e32 v15, 0, v21, vcc_lo
	s_delay_alu instid0(VALU_DEP_3) | instskip(NEXT) | instid1(VALU_DEP_3)
	v_add_nc_u64_e32 v[12:13], v[12:13], v[8:9]
	v_cndmask_b32_e32 v14, 0, v20, vcc_lo
	ds_store_b64 v0, v[12:13]
	ds_store_b64 v0, v[14:15]
.LBB2_5663:                             ;   in Loop: Header=BB2_5661 Depth=2
	s_or_b32 exec_lo, exec_lo, s13
	v_and_b32_e32 v2, 4, v30
	s_mov_b32 s42, exec_lo
	s_delay_alu instid0(VALU_DEP_1)
	v_cmpx_ne_u32_e32 0, v2
	s_cbranch_execz .LBB2_5685
; %bb.5664:                             ;   in Loop: Header=BB2_5661 Depth=2
	v_add_nc_u64_e32 v[12:13], 2, v[98:99]
	s_mov_b32 s43, exec_lo
	s_wait_loadcnt_dscnt 0x1
	s_delay_alu instid0(VALU_DEP_1)
	v_cmpx_lt_u64_e64 v[34:35], v[12:13]
	s_cbranch_execz .LBB2_5676
; %bb.5665:                             ;   in Loop: Header=BB2_5661 Depth=2
	v_and_b32_e32 v2, 64, v30
	s_mov_b32 s62, 0
	s_mov_b32 s74, 0
                                        ; implicit-def: $sgpr63
                                        ; implicit-def: $sgpr72
                                        ; implicit-def: $sgpr73
	s_delay_alu instid0(VALU_DEP_1)
	v_cmp_eq_u32_e32 vcc_lo, 0, v2
	s_branch .LBB2_5669
.LBB2_5666:                             ;   in Loop: Header=BB2_5669 Depth=3
	s_wait_loadcnt_dscnt 0x0
	v_cmp_ge_u64_e64 s13, v[34:35], v[12:13]
	s_or_b32 s77, s77, exec_lo
	s_or_not1_b32 s76, s13, exec_lo
.LBB2_5667:                             ;   in Loop: Header=BB2_5669 Depth=3
	s_or_b32 exec_lo, exec_lo, s79
	s_delay_alu instid0(SALU_CYCLE_1)
	s_and_not1_b32 s13, s73, exec_lo
	s_and_b32 s73, s77, exec_lo
	s_and_not1_b32 s72, s72, exec_lo
	s_and_b32 s76, s76, exec_lo
	s_or_b32 s73, s13, s73
	s_or_b32 s72, s72, s76
.LBB2_5668:                             ;   in Loop: Header=BB2_5669 Depth=3
	s_or_b32 exec_lo, exec_lo, s75
	s_delay_alu instid0(SALU_CYCLE_1) | instskip(NEXT) | instid1(SALU_CYCLE_1)
	s_and_b32 s13, exec_lo, s72
	s_or_b32 s62, s13, s62
	s_and_not1_b32 s13, s63, exec_lo
	s_and_b32 s63, s73, exec_lo
	s_delay_alu instid0(SALU_CYCLE_1)
	s_or_b32 s63, s13, s63
	s_and_not1_b32 exec_lo, exec_lo, s62
	s_cbranch_execz .LBB2_5673
.LBB2_5669:                             ;   Parent Loop BB2_47 Depth=1
                                        ;     Parent Loop BB2_5661 Depth=2
                                        ; =>    This Inner Loop Header: Depth=3
	s_sleep 1
	s_wait_loadcnt_dscnt 0x0
	flat_load_b64 v[34:35], v[22:23] scope:SCOPE_SYS
	s_or_b32 s73, s73, exec_lo
	s_or_b32 s72, s72, exec_lo
                                        ; implicit-def: $vgpr2
	s_wait_xcnt 0x0
	s_and_saveexec_b32 s75, vcc_lo
	s_cbranch_execz .LBB2_5668
; %bb.5670:                             ;   in Loop: Header=BB2_5669 Depth=3
	s_cmp_lt_i32 s74, 0x270f
	s_mov_b32 s76, -1
	s_cselect_b32 s78, -1, 0
	s_cmp_gt_i32 s74, 0x270e
	s_cbranch_scc0 .LBB2_5672
; %bb.5671:                             ;   in Loop: Header=BB2_5669 Depth=3
	s_trap 2
	ds_load_b64 v[14:15], v0
	s_and_not1_b32 s74, s78, exec_lo
	s_mov_b32 s77, 0
	s_wait_storecnt 0x0
	s_wait_loadcnt_dscnt 0x0
	flat_load_b32 v2, v[14:15] scope:SCOPE_SYS
	s_wait_loadcnt_dscnt 0x0
	global_inv scope:SCOPE_SYS
	v_cmp_eq_u32_e64 s13, 0, v2
	s_and_b32 s13, s13, exec_lo
	s_delay_alu instid0(SALU_CYCLE_1)
	s_or_b32 s78, s74, s13
	s_mov_b32 s74, 0
	s_and_saveexec_b32 s79, s78
	s_cbranch_execz .LBB2_5667
	s_branch .LBB2_5666
.LBB2_5672:                             ;   in Loop: Header=BB2_5669 Depth=3
	s_add_co_i32 s74, s74, 1
	s_mov_b32 s77, -1
                                        ; implicit-def: $vgpr2
	s_and_saveexec_b32 s79, s78
	s_cbranch_execz .LBB2_5667
	s_branch .LBB2_5666
.LBB2_5673:                             ;   in Loop: Header=BB2_5661 Depth=2
	s_or_b32 exec_lo, exec_lo, s62
	s_xor_b32 s13, s63, -1
	s_delay_alu instid0(SALU_CYCLE_1) | instskip(NEXT) | instid1(SALU_CYCLE_1)
	s_and_saveexec_b32 s62, s13
	s_xor_b32 s13, exec_lo, s62
	s_cbranch_execz .LBB2_5675
; %bb.5674:                             ;   in Loop: Header=BB2_5661 Depth=2
	v_or_b32_e32 v30, 64, v30
	s_wait_storecnt 0x0
	s_wait_loadcnt_dscnt 0x0
	ds_store_b32 v0, v2
	s_trap 2
.LBB2_5675:                             ;   in Loop: Header=BB2_5661 Depth=2
	s_or_b32 exec_lo, exec_lo, s13
.LBB2_5676:                             ;   in Loop: Header=BB2_5661 Depth=2
	s_delay_alu instid0(SALU_CYCLE_1) | instskip(SKIP_3) | instid1(VALU_DEP_1)
	s_or_b32 exec_lo, exec_lo, s43
	v_and_b32_e32 v2, 0x100, v30
	s_mov_b32 s13, -1
	;;#ASMSTART
	s_wakeup
	;;#ASMEND
                                        ; implicit-def: $vgpr14_vgpr15
	v_cmp_ne_u32_e32 vcc_lo, 0, v2
	v_and_b32_e32 v2, 7, v98
	s_and_saveexec_b32 s43, vcc_lo
	s_cbranch_execz .LBB2_5680
; %bb.5677:                             ;   in Loop: Header=BB2_5661 Depth=2
	s_delay_alu instid0(VALU_DEP_1)
	v_mad_nc_u64_u32 v[98:99], v2, 24, v[6:7]
	s_mov_b32 s62, exec_lo
                                        ; implicit-def: $vgpr14_vgpr15
	flat_load_b32 v9, v[98:99]
	s_wait_loadcnt_dscnt 0x0
	v_cmp_ne_u32_e32 vcc_lo, 1, v9
	s_wait_xcnt 0x0
	v_cmpx_eq_u32_e32 1, v9
	s_cbranch_execz .LBB2_5679
; %bb.5678:                             ;   in Loop: Header=BB2_5661 Depth=2
	flat_load_b32 v14, v[98:99] offset:4 scope:SCOPE_SYS
	s_wait_loadcnt_dscnt 0x0
	v_ashrrev_i32_e32 v15, 31, v14
.LBB2_5679:                             ;   in Loop: Header=BB2_5661 Depth=2
	s_wait_xcnt 0x0
	s_or_b32 exec_lo, exec_lo, s62
	s_delay_alu instid0(SALU_CYCLE_1)
	s_or_not1_b32 s13, vcc_lo, exec_lo
.LBB2_5680:                             ;   in Loop: Header=BB2_5661 Depth=2
	s_or_b32 exec_lo, exec_lo, s43
	s_and_saveexec_b32 s43, s13
; %bb.5681:                             ;   in Loop: Header=BB2_5661 Depth=2
	v_mul_u64_e32 v[14:15], v[2:3], v[24:25]
; %bb.5682:                             ;   in Loop: Header=BB2_5661 Depth=2
	s_or_b32 exec_lo, exec_lo, s43
	s_delay_alu instid0(VALU_DEP_1)
	v_add_nc_u64_e32 v[14:15], v[26:27], v[14:15]
	v_and_b32_e32 v2, 0x2000, v30
	s_mov_b32 s13, exec_lo
	ds_store_b64 v0, v[14:15] offset:720
	v_cmpx_ne_u32_e32 0, v2
	s_cbranch_execz .LBB2_5684
; %bb.5683:                             ;   in Loop: Header=BB2_5661 Depth=2
	ds_load_b64 v[14:15], v0 offset:872
	s_wait_dscnt 0x0
	v_add_nc_u64_e32 v[14:15], 1, v[14:15]
	ds_store_b64 v0, v[14:15] offset:872
.LBB2_5684:                             ;   in Loop: Header=BB2_5661 Depth=2
	s_or_b32 exec_lo, exec_lo, s13
	v_mov_b64_e32 v[98:99], v[12:13]
.LBB2_5685:                             ;   in Loop: Header=BB2_5661 Depth=2
	s_or_b32 exec_lo, exec_lo, s42
	s_and_saveexec_b32 s13, s2
	s_cbranch_execz .LBB2_5704
; %bb.5686:                             ;   in Loop: Header=BB2_5661 Depth=2
	s_and_saveexec_b32 s42, s3
	s_delay_alu instid0(SALU_CYCLE_1)
	s_xor_b32 s42, exec_lo, s42
	s_cbranch_execz .LBB2_5701
; %bb.5687:                             ;   in Loop: Header=BB2_5661 Depth=2
	s_and_saveexec_b32 s43, s6
	s_cbranch_execz .LBB2_5700
; %bb.5688:                             ;   in Loop: Header=BB2_5661 Depth=2
	s_mov_b32 s63, exec_lo
	s_mov_b32 s62, exec_lo
	v_mbcnt_lo_u32_b32 v2, s63, 0
	global_wb scope:SCOPE_DEV
	s_wait_storecnt 0x0
	s_wait_loadcnt_dscnt 0x0
	global_inv scope:SCOPE_DEV
	v_cmpx_eq_u32_e32 0, v2
	s_cbranch_execz .LBB2_5690
; %bb.5689:                             ;   in Loop: Header=BB2_5661 Depth=2
	s_bcnt1_i32_b32 s63, s63
	s_delay_alu instid0(SALU_CYCLE_1)
	v_mov_b32_e32 v2, s63
	s_wait_loadcnt 0x0
	ds_add_u64 v0, v[2:3]
	s_trap 2
.LBB2_5690:                             ;   in Loop: Header=BB2_5661 Depth=2
	s_or_b32 exec_lo, exec_lo, s62
	s_trap 2
	ds_load_b64 v[12:13], v0
	s_wait_dscnt 0x0
	v_add_nc_u64_e32 v[32:33], v[32:33], v[36:37]
	s_mov_b32 s62, exec_lo
	s_delay_alu instid0(VALU_DEP_1)
	v_cmpx_lt_u64_e64 v[12:13], v[32:33]
	s_cbranch_execz .LBB2_5699
; %bb.5691:                             ;   in Loop: Header=BB2_5661 Depth=2
	s_mov_b32 s63, 0
	s_mov_b32 s74, 0
                                        ; implicit-def: $sgpr72
                                        ; implicit-def: $sgpr73
	s_branch .LBB2_5693
.LBB2_5692:                             ;   in Loop: Header=BB2_5693 Depth=3
	s_or_b32 exec_lo, exec_lo, s76
	s_delay_alu instid0(SALU_CYCLE_1) | instskip(NEXT) | instid1(SALU_CYCLE_1)
	s_and_b32 s75, exec_lo, s77
	s_or_b32 s63, s75, s63
	s_and_not1_b32 s72, s72, exec_lo
	s_and_b32 s75, s73, exec_lo
	s_delay_alu instid0(SALU_CYCLE_1)
	s_or_b32 s72, s72, s75
	s_and_not1_b32 exec_lo, exec_lo, s63
	s_cbranch_execz .LBB2_5697
.LBB2_5693:                             ;   Parent Loop BB2_47 Depth=1
                                        ;     Parent Loop BB2_5661 Depth=2
                                        ; =>    This Inner Loop Header: Depth=3
	s_add_co_i32 s74, s74, 1
	s_delay_alu instid0(SALU_CYCLE_1) | instskip(SKIP_1) | instid1(SALU_CYCLE_1)
	s_cmp_lg_u32 s74, 0x2710
	s_cselect_b32 s75, -1, 0
	s_and_b32 vcc_lo, exec_lo, s75
	s_cbranch_vccz .LBB2_5695
; %bb.5694:                             ;   in Loop: Header=BB2_5693 Depth=3
	s_mov_b32 s77, -1
	s_or_b32 s73, s73, exec_lo
	s_and_saveexec_b32 s76, s75
	s_cbranch_execz .LBB2_5692
	s_branch .LBB2_5696
.LBB2_5695:                             ;   in Loop: Header=BB2_5693 Depth=3
	s_trap 2
	ds_load_b64 v[12:13], v0
	s_and_not1_b32 s75, s75, exec_lo
	s_mov_b32 s74, 0
	s_wait_loadcnt_dscnt 0x0
	flat_load_b32 v2, v[12:13] scope:SCOPE_SYS
	s_wait_loadcnt_dscnt 0x0
	global_inv scope:SCOPE_SYS
	v_cmp_eq_u32_e32 vcc_lo, 0, v2
	s_and_b32 s76, vcc_lo, exec_lo
	s_delay_alu instid0(SALU_CYCLE_1)
	s_or_b32 s75, s75, s76
	s_mov_b32 s77, -1
	s_or_b32 s73, s73, exec_lo
	s_and_saveexec_b32 s76, s75
	s_cbranch_execz .LBB2_5692
.LBB2_5696:                             ;   in Loop: Header=BB2_5693 Depth=3
	s_sleep 1
	s_trap 2
	ds_load_b64 v[12:13], v0
	s_wait_dscnt 0x0
	s_and_not1_b32 s73, s73, exec_lo
	v_cmp_ge_u64_e32 vcc_lo, v[12:13], v[32:33]
	s_or_not1_b32 s77, vcc_lo, exec_lo
	s_branch .LBB2_5692
.LBB2_5697:                             ;   in Loop: Header=BB2_5661 Depth=2
	s_or_b32 exec_lo, exec_lo, s63
	s_and_saveexec_b32 s63, s72
	s_delay_alu instid0(SALU_CYCLE_1)
	s_xor_b32 s63, exec_lo, s63
	s_cbranch_execz .LBB2_5699
; %bb.5698:                             ;   in Loop: Header=BB2_5661 Depth=2
	ds_store_b32 v0, v107
	s_trap 2
.LBB2_5699:                             ;   in Loop: Header=BB2_5661 Depth=2
	s_or_b32 exec_lo, exec_lo, s62
	;;#ASMSTART
	s_wakeup
	;;#ASMEND
.LBB2_5700:                             ;   in Loop: Header=BB2_5661 Depth=2
	s_or_b32 exec_lo, exec_lo, s43
.LBB2_5701:                             ;   in Loop: Header=BB2_5661 Depth=2
	s_and_not1_saveexec_b32 s42, s42
	s_cbranch_execz .LBB2_5703
; %bb.5702:                             ;   in Loop: Header=BB2_5661 Depth=2
	global_wb scope:SCOPE_DEV
	s_wait_storecnt 0x0
	s_wait_loadcnt_dscnt 0x0
	global_inv scope:SCOPE_DEV
	s_barrier_signal -1
	s_barrier_wait -1
.LBB2_5703:                             ;   in Loop: Header=BB2_5661 Depth=2
	s_or_b32 exec_lo, exec_lo, s42
.LBB2_5704:                             ;   in Loop: Header=BB2_5661 Depth=2
	s_delay_alu instid0(SALU_CYCLE_1) | instskip(SKIP_4) | instid1(VALU_DEP_1)
	s_or_b32 exec_lo, exec_lo, s13
	s_trap 2
	ds_load_b32 v9, v0
	v_and_b32_e32 v2, 0x4000, v30
	s_xor_b32 s13, s1, -1
	v_cmp_ne_u32_e32 vcc_lo, 0, v2
	s_and_b32 s42, s13, vcc_lo
	s_delay_alu instid0(SALU_CYCLE_1)
	s_and_saveexec_b32 s13, s42
	s_cbranch_execz .LBB2_5723
; %bb.5705:                             ;   in Loop: Header=BB2_5661 Depth=2
	s_and_saveexec_b32 s42, s3
	s_delay_alu instid0(SALU_CYCLE_1)
	s_xor_b32 s42, exec_lo, s42
	s_cbranch_execz .LBB2_5720
; %bb.5706:                             ;   in Loop: Header=BB2_5661 Depth=2
	s_and_saveexec_b32 s43, s6
	s_cbranch_execz .LBB2_5719
; %bb.5707:                             ;   in Loop: Header=BB2_5661 Depth=2
	s_mov_b32 s63, exec_lo
	s_mov_b32 s62, exec_lo
	v_mbcnt_lo_u32_b32 v2, s63, 0
	global_wb scope:SCOPE_DEV
	s_wait_storecnt 0x0
	s_wait_loadcnt_dscnt 0x0
	global_inv scope:SCOPE_DEV
	v_cmpx_eq_u32_e32 0, v2
	s_cbranch_execz .LBB2_5709
; %bb.5708:                             ;   in Loop: Header=BB2_5661 Depth=2
	s_bcnt1_i32_b32 s63, s63
	s_delay_alu instid0(SALU_CYCLE_1)
	v_mov_b32_e32 v2, s63
	s_wait_loadcnt 0x0
	ds_add_u64 v0, v[2:3]
	s_trap 2
.LBB2_5709:                             ;   in Loop: Header=BB2_5661 Depth=2
	s_or_b32 exec_lo, exec_lo, s62
	s_trap 2
	ds_load_b64 v[12:13], v0
	s_wait_dscnt 0x0
	v_add_nc_u64_e32 v[32:33], v[32:33], v[36:37]
	s_mov_b32 s62, exec_lo
	s_delay_alu instid0(VALU_DEP_1)
	v_cmpx_lt_u64_e64 v[12:13], v[32:33]
	s_cbranch_execz .LBB2_5718
; %bb.5710:                             ;   in Loop: Header=BB2_5661 Depth=2
	s_mov_b32 s63, 0
	s_mov_b32 s74, 0
                                        ; implicit-def: $sgpr72
                                        ; implicit-def: $sgpr73
	s_branch .LBB2_5712
.LBB2_5711:                             ;   in Loop: Header=BB2_5712 Depth=3
	s_or_b32 exec_lo, exec_lo, s76
	s_delay_alu instid0(SALU_CYCLE_1) | instskip(NEXT) | instid1(SALU_CYCLE_1)
	s_and_b32 s75, exec_lo, s77
	s_or_b32 s63, s75, s63
	s_and_not1_b32 s72, s72, exec_lo
	s_and_b32 s75, s73, exec_lo
	s_delay_alu instid0(SALU_CYCLE_1)
	s_or_b32 s72, s72, s75
	s_and_not1_b32 exec_lo, exec_lo, s63
	s_cbranch_execz .LBB2_5716
.LBB2_5712:                             ;   Parent Loop BB2_47 Depth=1
                                        ;     Parent Loop BB2_5661 Depth=2
                                        ; =>    This Inner Loop Header: Depth=3
	s_add_co_i32 s74, s74, 1
	s_delay_alu instid0(SALU_CYCLE_1) | instskip(SKIP_1) | instid1(SALU_CYCLE_1)
	s_cmp_lg_u32 s74, 0x2710
	s_cselect_b32 s75, -1, 0
	s_and_b32 vcc_lo, exec_lo, s75
	s_cbranch_vccz .LBB2_5714
; %bb.5713:                             ;   in Loop: Header=BB2_5712 Depth=3
	s_mov_b32 s77, -1
	s_or_b32 s73, s73, exec_lo
	s_and_saveexec_b32 s76, s75
	s_cbranch_execz .LBB2_5711
	s_branch .LBB2_5715
.LBB2_5714:                             ;   in Loop: Header=BB2_5712 Depth=3
	s_trap 2
	ds_load_b64 v[12:13], v0
	s_and_not1_b32 s75, s75, exec_lo
	s_mov_b32 s74, 0
	s_wait_loadcnt_dscnt 0x0
	flat_load_b32 v2, v[12:13] scope:SCOPE_SYS
	s_wait_loadcnt_dscnt 0x0
	global_inv scope:SCOPE_SYS
	v_cmp_eq_u32_e32 vcc_lo, 0, v2
	s_and_b32 s76, vcc_lo, exec_lo
	s_delay_alu instid0(SALU_CYCLE_1)
	s_or_b32 s75, s75, s76
	s_mov_b32 s77, -1
	s_or_b32 s73, s73, exec_lo
	s_and_saveexec_b32 s76, s75
	s_cbranch_execz .LBB2_5711
.LBB2_5715:                             ;   in Loop: Header=BB2_5712 Depth=3
	s_sleep 1
	s_trap 2
	ds_load_b64 v[12:13], v0
	s_wait_dscnt 0x0
	s_and_not1_b32 s73, s73, exec_lo
	v_cmp_ge_u64_e32 vcc_lo, v[12:13], v[32:33]
	s_or_not1_b32 s77, vcc_lo, exec_lo
	s_branch .LBB2_5711
.LBB2_5716:                             ;   in Loop: Header=BB2_5661 Depth=2
	s_or_b32 exec_lo, exec_lo, s63
	s_and_saveexec_b32 s63, s72
	s_delay_alu instid0(SALU_CYCLE_1)
	s_xor_b32 s63, exec_lo, s63
	s_cbranch_execz .LBB2_5718
; %bb.5717:                             ;   in Loop: Header=BB2_5661 Depth=2
	ds_store_b32 v0, v107
	s_trap 2
.LBB2_5718:                             ;   in Loop: Header=BB2_5661 Depth=2
	s_or_b32 exec_lo, exec_lo, s62
	;;#ASMSTART
	s_wakeup
	;;#ASMEND
.LBB2_5719:                             ;   in Loop: Header=BB2_5661 Depth=2
	s_or_b32 exec_lo, exec_lo, s43
.LBB2_5720:                             ;   in Loop: Header=BB2_5661 Depth=2
	s_and_not1_saveexec_b32 s42, s42
	s_cbranch_execz .LBB2_5722
; %bb.5721:                             ;   in Loop: Header=BB2_5661 Depth=2
	global_wb scope:SCOPE_DEV
	s_wait_storecnt 0x0
	s_wait_loadcnt_dscnt 0x0
	global_inv scope:SCOPE_DEV
	s_barrier_signal -1
	s_barrier_wait -1
.LBB2_5722:                             ;   in Loop: Header=BB2_5661 Depth=2
	s_or_b32 exec_lo, exec_lo, s42
.LBB2_5723:                             ;   in Loop: Header=BB2_5661 Depth=2
	s_delay_alu instid0(SALU_CYCLE_1) | instskip(SKIP_3) | instid1(VALU_DEP_1)
	s_or_b32 exec_lo, exec_lo, s13
	s_trap 2
	ds_load_b64 v[12:13], v0
	v_sub_nc_u32_e32 v2, v18, v8
	v_min_i32_e32 v19, v19, v2
	s_wait_dscnt 0x0
	v_cmp_eq_u64_e32 vcc_lo, 0, v[12:13]
	s_cbranch_vccnz .LBB2_5731
; %bb.5724:                             ;   in Loop: Header=BB2_5661 Depth=2
	s_trap 2
	ds_load_b64 v[14:15], v0
	s_wait_dscnt 0x0
	v_cmp_eq_u64_e32 vcc_lo, 0, v[14:15]
	s_cbranch_vccnz .LBB2_5731
; %bb.5725:                             ;   in Loop: Header=BB2_5661 Depth=2
	s_mov_b32 s13, -1
	s_and_saveexec_b32 s42, s11
	s_cbranch_execz .LBB2_5727
; %bb.5726:                             ;   in Loop: Header=BB2_5661 Depth=2
	ds_load_b32 v2, v0 offset:720
	s_wait_dscnt 0x0
	v_and_b32_e32 v2, 15, v2
	s_delay_alu instid0(VALU_DEP_1)
	v_cmp_eq_u32_e32 vcc_lo, 0, v2
	s_or_not1_b32 s13, vcc_lo, exec_lo
.LBB2_5727:                             ;   in Loop: Header=BB2_5661 Depth=2
	s_or_b32 exec_lo, exec_lo, s42
	s_and_saveexec_b32 s42, s10
	s_cbranch_execz .LBB2_5729
; %bb.5728:                             ;   in Loop: Header=BB2_5661 Depth=2
	ds_load_b32 v2, v0 offset:784
	s_wait_dscnt 0x0
	v_and_b32_e32 v2, 15, v2
	s_delay_alu instid0(VALU_DEP_1) | instskip(SKIP_3) | instid1(SALU_CYCLE_1)
	v_cmp_eq_u32_e32 vcc_lo, 0, v2
	s_and_b32 s43, s13, vcc_lo
	s_and_not1_b32 s13, s13, exec_lo
	s_and_b32 s43, s43, exec_lo
	s_or_b32 s13, s13, s43
.LBB2_5729:                             ;   in Loop: Header=BB2_5661 Depth=2
	s_or_b32 exec_lo, exec_lo, s42
	v_cmp_eq_u32_e32 vcc_lo, 0, v9
	s_xor_b32 s13, s13, -1
	v_mov_b32_e32 v100, v120
	v_cndmask_b32_e64 v20, 0, 1, s13
	s_mov_b32 s43, -1
	v_dual_cndmask_b32 v2, 0, v19 :: v_dual_mov_b32 v9, 0
	v_mov_b32_e32 v103, v0
	s_delay_alu instid0(VALU_DEP_3) | instskip(NEXT) | instid1(VALU_DEP_3)
	v_cmp_ne_u32_e32 vcc_lo, 0, v20
	v_mov_b32_e32 v102, v2
	s_cbranch_vccz .LBB2_5736
; %bb.5730:                             ;   in Loop: Header=BB2_5661 Depth=2
	s_and_saveexec_b32 s13, s43
	s_cbranch_execnz .LBB2_5749
	s_branch .LBB2_5757
.LBB2_5731:                             ;   in Loop: Header=BB2_5661 Depth=2
	s_mov_b32 s13, 0
	s_and_saveexec_b32 s42, s2
	s_cbranch_execnz .LBB2_5758
.LBB2_5732:                             ;   in Loop: Header=BB2_5661 Depth=2
	s_or_b32 exec_lo, exec_lo, s42
	s_and_saveexec_b32 s42, s7
	s_delay_alu instid0(SALU_CYCLE_1)
	s_xor_b32 s42, exec_lo, s42
	s_cbranch_execz .LBB2_5776
.LBB2_5733:                             ;   in Loop: Header=BB2_5661 Depth=2
	v_and_b32_e32 v2, 16, v30
	s_delay_alu instid0(VALU_DEP_1) | instskip(SKIP_1) | instid1(SALU_CYCLE_1)
	v_cmp_ne_u32_e32 vcc_lo, 0, v2
	s_and_b32 s43, vcc_lo, s13
	s_and_saveexec_b32 s13, s43
	s_cbranch_execz .LBB2_5735
; %bb.5734:                             ;   in Loop: Header=BB2_5661 Depth=2
	global_wb scope:SCOPE_SYS
	s_wait_storecnt 0x0
	s_wait_loadcnt_dscnt 0x0
	global_inv scope:SCOPE_SYS
.LBB2_5735:                             ;   in Loop: Header=BB2_5661 Depth=2
	s_or_b32 exec_lo, exec_lo, s13
	s_and_not1_saveexec_b32 s13, s42
	s_cbranch_execz .LBB2_5795
	s_branch .LBB2_5777
.LBB2_5736:                             ;   in Loop: Header=BB2_5661 Depth=2
	v_ashrrev_i32_e32 v9, 31, v2
	s_mov_b32 s13, exec_lo
	s_delay_alu instid0(VALU_DEP_1) | instskip(NEXT) | instid1(VALU_DEP_1)
	v_lshrrev_b32_e32 v9, 22, v9
	v_add_nc_u32_e32 v9, v2, v9
	s_delay_alu instid0(VALU_DEP_1) | instskip(NEXT) | instid1(VALU_DEP_1)
	v_ashrrev_i32_e32 v9, 10, v9
	v_sub_nc_u32_e32 v113, v9, v120
	s_delay_alu instid0(VALU_DEP_1)
	v_cmpx_lt_i32_e32 0, v113
	s_cbranch_execz .LBB2_5740
; %bb.5737:                             ;   in Loop: Header=BB2_5661 Depth=2
	v_mov_b64_e32 v[100:101], v[86:87]
	s_mov_b32 s42, 0
.LBB2_5738:                             ;   Parent Loop BB2_47 Depth=1
                                        ;     Parent Loop BB2_5661 Depth=2
                                        ; =>    This Inner Loop Header: Depth=3
	s_delay_alu instid0(VALU_DEP_1)
	v_add_nc_u64_e32 v[20:21], v[12:13], v[100:101]
	v_sub_nc_u32_e32 v113, v113, v36
	s_clause 0x1
	global_load_b128 v[114:117], v[20:21], off th:TH_LOAD_NT
	global_load_b128 v[40:43], v[20:21], off offset:512 th:TH_LOAD_NT
	s_wait_xcnt 0x0
	v_add_nc_u64_e32 v[20:21], v[14:15], v[100:101]
	v_cmp_gt_i32_e32 vcc_lo, 1, v113
	v_add_nc_u64_e32 v[100:101], v[100:101], v[64:65]
	s_wait_loadcnt 0x1
	global_store_b128 v[20:21], v[114:117], off th:TH_STORE_NT
	s_wait_loadcnt 0x0
	global_store_b128 v[20:21], v[40:43], off offset:512 th:TH_STORE_NT
	s_or_b32 s42, vcc_lo, s42
	s_wait_xcnt 0x0
	s_and_not1_b32 exec_lo, exec_lo, s42
	s_cbranch_execnz .LBB2_5738
; %bb.5739:                             ;   in Loop: Header=BB2_5661 Depth=2
	s_or_b32 exec_lo, exec_lo, s42
.LBB2_5740:                             ;   in Loop: Header=BB2_5661 Depth=2
	s_delay_alu instid0(SALU_CYCLE_1) | instskip(SKIP_3) | instid1(VALU_DEP_1)
	s_or_b32 exec_lo, exec_lo, s13
	v_dual_mov_b32 v9, 0 :: v_dual_lshlrev_b32 v112, 10, v9
	s_mov_b32 s43, 0
	s_mov_b32 s42, exec_lo
                                        ; implicit-def: $vgpr102
                                        ; implicit-def: $vgpr103
                                        ; implicit-def: $vgpr100
	v_cmpx_ne_u32_e64 v2, v112
	s_cbranch_execz .LBB2_5748
; %bb.5741:                             ;   in Loop: Header=BB2_5661 Depth=2
	v_dual_lshlrev_b32 v9, 5, v113 :: v_dual_sub_nc_u32 v21, v2, v112
	s_mov_b32 s43, exec_lo
	s_delay_alu instid0(VALU_DEP_1) | instskip(NEXT) | instid1(VALU_DEP_2)
	v_sub_nc_u32_e32 v9, v121, v9
	v_ashrrev_i32_e32 v100, 31, v21
	s_delay_alu instid0(VALU_DEP_1) | instskip(NEXT) | instid1(VALU_DEP_1)
	v_dual_ashrrev_i32 v20, 31, v9 :: v_dual_lshrrev_b32 v100, 23, v100
	v_lshrrev_b32_e32 v20, 27, v20
	s_delay_alu instid0(VALU_DEP_1) | instskip(NEXT) | instid1(VALU_DEP_1)
	v_add_nc_u32_e32 v20, v9, v20
	v_and_b32_e32 v101, 0xffffffe0, v20
	s_delay_alu instid0(VALU_DEP_1) | instskip(NEXT) | instid1(VALU_DEP_1)
	v_dual_ashrrev_i32 v20, 5, v20 :: v_dual_sub_nc_u32 v114, v9, v101
	v_dual_add_nc_u32 v100, v21, v100 :: v_dual_lshlrev_b32 v9, 4, v114
	s_delay_alu instid0(VALU_DEP_1) | instskip(SKIP_1) | instid1(VALU_DEP_3)
	v_and_b32_e32 v113, 0xfffffe00, v100
	v_ashrrev_i32_e32 v101, 9, v100
	v_lshl_add_u32 v100, v20, 9, v9
	s_delay_alu instid0(VALU_DEP_1) | instskip(NEXT) | instid1(VALU_DEP_1)
	v_dual_sub_nc_u32 v115, v21, v113 :: v_dual_sub_nc_u32 v9, v21, v100
	v_cmp_lt_i32_e32 vcc_lo, 15, v115
	s_delay_alu instid0(VALU_DEP_4) | instskip(NEXT) | instid1(VALU_DEP_1)
	v_add_co_ci_u32_e64 v101, null, 0, v101, vcc_lo
	v_sub_nc_u32_e32 v116, v101, v20
	s_delay_alu instid0(VALU_DEP_4)
	v_cmpx_lt_i32_e32 15, v9
	s_cbranch_execz .LBB2_5745
; %bb.5742:                             ;   in Loop: Header=BB2_5661 Depth=2
	v_add_nc_u32_e32 v100, v100, v112
	s_mov_b32 s62, 0
	s_delay_alu instid0(VALU_DEP_1)
	v_ashrrev_i32_e32 v101, 31, v100
.LBB2_5743:                             ;   Parent Loop BB2_47 Depth=1
                                        ;     Parent Loop BB2_5661 Depth=2
                                        ; =>    This Inner Loop Header: Depth=3
	s_delay_alu instid0(VALU_DEP_1) | instskip(SKIP_1) | instid1(VALU_DEP_1)
	v_add_nc_u64_e32 v[20:21], v[12:13], v[100:101]
	v_dual_sub_nc_u32 v9, v9, v66 :: v_dual_sub_nc_u32 v116, v116, v36
	v_cmp_gt_i32_e64 s13, 16, v9
	global_load_b128 v[40:43], v[20:21], off th:TH_LOAD_NT
	s_wait_xcnt 0x0
	v_add_nc_u64_e32 v[20:21], v[14:15], v[100:101]
	v_add_nc_u64_e32 v[100:101], v[100:101], v[66:67]
	s_or_b32 s62, s13, s62
	s_wait_loadcnt 0x0
	global_store_b128 v[20:21], v[40:43], off th:TH_STORE_NT
	s_wait_xcnt 0x0
	s_and_not1_b32 exec_lo, exec_lo, s62
	s_cbranch_execnz .LBB2_5743
; %bb.5744:                             ;   in Loop: Header=BB2_5661 Depth=2
	s_or_b32 exec_lo, exec_lo, s62
.LBB2_5745:                             ;   in Loop: Header=BB2_5661 Depth=2
	s_delay_alu instid0(SALU_CYCLE_1) | instskip(SKIP_3) | instid1(VALU_DEP_1)
	s_or_b32 exec_lo, exec_lo, s43
	v_dual_mov_b32 v9, 0 :: v_dual_bitop2_b32 v101, 15, v2 bitop3:0x40
	s_mov_b32 s43, 0
	s_mov_b32 s62, exec_lo
                                        ; implicit-def: $vgpr103
                                        ; implicit-def: $vgpr100
	v_cndmask_b32_e32 v102, v115, v101, vcc_lo
	s_delay_alu instid0(VALU_DEP_1)
	v_cmpx_ne_u32_e32 0, v102
	s_cbranch_execz .LBB2_5747
; %bb.5746:                             ;   in Loop: Header=BB2_5661 Depth=2
	v_cmp_lt_i32_e64 s13, 0, v116
	s_mov_b32 s43, exec_lo
	v_dual_sub_nc_u32 v20, v115, v101 :: v_dual_cndmask_b32 v9, 0, v36, s13
	s_delay_alu instid0(VALU_DEP_1) | instskip(NEXT) | instid1(VALU_DEP_2)
	v_cndmask_b32_e32 v20, 0, v20, vcc_lo
	v_sub_nc_u32_e32 v9, v9, v116
	s_delay_alu instid0(VALU_DEP_1) | instskip(NEXT) | instid1(VALU_DEP_1)
	v_lshl_add_u32 v103, v9, 5, v114
	v_ashrrev_i32_e32 v9, 31, v103
	s_delay_alu instid0(VALU_DEP_1) | instskip(NEXT) | instid1(VALU_DEP_1)
	v_lshrrev_b32_e32 v9, 27, v9
	v_add_nc_u32_e32 v21, v103, v9
	v_add3_u32 v9, v113, v112, v20
	s_delay_alu instid0(VALU_DEP_2)
	v_ashrrev_i32_e32 v100, 5, v21
.LBB2_5747:                             ;   in Loop: Header=BB2_5661 Depth=2
	s_or_b32 exec_lo, exec_lo, s62
	s_delay_alu instid0(SALU_CYCLE_1)
	s_and_b32 s43, s43, exec_lo
.LBB2_5748:                             ;   in Loop: Header=BB2_5661 Depth=2
	s_or_b32 exec_lo, exec_lo, s42
	s_and_saveexec_b32 s13, s43
	s_cbranch_execz .LBB2_5757
.LBB2_5749:                             ;   in Loop: Header=BB2_5661 Depth=2
	v_ashrrev_i32_e32 v20, 31, v102
	s_mov_b32 s42, exec_lo
	s_delay_alu instid0(VALU_DEP_1) | instskip(NEXT) | instid1(VALU_DEP_1)
	v_lshrrev_b32_e32 v20, 24, v20
	v_add_nc_u32_e32 v20, v102, v20
	s_delay_alu instid0(VALU_DEP_1) | instskip(NEXT) | instid1(VALU_DEP_1)
	v_dual_ashrrev_i32 v114, 8, v20 :: v_dual_ashrrev_i32 v20, 31, v103
	v_sub_nc_u32_e32 v112, v114, v100
	s_delay_alu instid0(VALU_DEP_2) | instskip(NEXT) | instid1(VALU_DEP_2)
	v_lshrrev_b32_e32 v113, 27, v20
	v_cmpx_lt_i32_e32 0, v112
	s_cbranch_execz .LBB2_5753
; %bb.5750:                             ;   in Loop: Header=BB2_5661 Depth=2
	s_delay_alu instid0(VALU_DEP_2) | instskip(SKIP_1) | instid1(VALU_DEP_1)
	v_dual_add_nc_u32 v20, v103, v113 :: v_dual_lshlrev_b32 v21, 8, v100
	s_mov_b32 s43, 0
	v_and_b32_e32 v20, 0xffffffe0, v20
	s_delay_alu instid0(VALU_DEP_1) | instskip(NEXT) | instid1(VALU_DEP_1)
	v_sub_nc_u32_e32 v20, v103, v20
	v_add3_u32 v100, v9, v20, v21
	s_delay_alu instid0(VALU_DEP_1)
	v_ashrrev_i32_e32 v101, 31, v100
.LBB2_5751:                             ;   Parent Loop BB2_47 Depth=1
                                        ;     Parent Loop BB2_5661 Depth=2
                                        ; =>    This Inner Loop Header: Depth=3
	s_delay_alu instid0(VALU_DEP_1)
	v_add_nc_u64_e32 v[20:21], v[100:101], v[12:13]
	v_sub_nc_u32_e32 v112, v112, v36
	v_add_nc_u64_e32 v[12:13], v[12:13], v[68:69]
	s_clause 0x7
	flat_load_u8 v115, v[20:21] th:TH_LOAD_NT
	flat_load_u8 v116, v[20:21] offset:32 th:TH_LOAD_NT
	flat_load_u8 v117, v[20:21] offset:64 th:TH_LOAD_NT
	;; [unrolled: 1-line block ×7, first 2 shown]
	s_wait_xcnt 0x0
	v_add_nc_u64_e32 v[20:21], v[100:101], v[14:15]
	v_add_nc_u64_e32 v[14:15], v[14:15], v[68:69]
	v_cmp_gt_i32_e32 vcc_lo, 1, v112
	s_wait_loadcnt_dscnt 0x707
	flat_store_b8 v[20:21], v115 th:TH_STORE_NT
	s_wait_loadcnt_dscnt 0x607
	flat_store_b8 v[20:21], v116 offset:32 th:TH_STORE_NT
	s_wait_loadcnt_dscnt 0x507
	flat_store_b8 v[20:21], v117 offset:64 th:TH_STORE_NT
	;; [unrolled: 2-line block ×7, first 2 shown]
	s_or_b32 s43, vcc_lo, s43
	s_wait_xcnt 0x0
	s_and_not1_b32 exec_lo, exec_lo, s43
	s_cbranch_execnz .LBB2_5751
; %bb.5752:                             ;   in Loop: Header=BB2_5661 Depth=2
	s_or_b32 exec_lo, exec_lo, s43
.LBB2_5753:                             ;   in Loop: Header=BB2_5661 Depth=2
	s_delay_alu instid0(SALU_CYCLE_1) | instskip(SKIP_1) | instid1(VALU_DEP_1)
	s_or_b32 exec_lo, exec_lo, s42
	v_lshlrev_b32_e32 v12, 8, v114
	v_cmp_ne_u32_e32 vcc_lo, v102, v12
	s_and_b32 exec_lo, exec_lo, vcc_lo
	s_cbranch_execz .LBB2_5757
; %bb.5754:                             ;   in Loop: Header=BB2_5661 Depth=2
	v_dual_add_nc_u32 v13, v103, v113 :: v_dual_lshlrev_b32 v14, 5, v112
	s_delay_alu instid0(VALU_DEP_1) | instskip(NEXT) | instid1(VALU_DEP_1)
	v_and_b32_e32 v13, 0xffffffe0, v13
	v_sub_nc_u32_e32 v13, v103, v13
	s_delay_alu instid0(VALU_DEP_1) | instskip(NEXT) | instid1(VALU_DEP_1)
	v_sub_nc_u32_e32 v13, v13, v14
	v_add_nc_u32_e32 v14, v12, v13
	s_delay_alu instid0(VALU_DEP_1) | instskip(NEXT) | instid1(VALU_DEP_1)
	v_sub_nc_u32_e32 v100, v102, v14
	v_cmp_lt_i32_e32 vcc_lo, 0, v100
	s_and_b32 exec_lo, exec_lo, vcc_lo
	s_cbranch_execz .LBB2_5757
; %bb.5755:                             ;   in Loop: Header=BB2_5661 Depth=2
	s_trap 2
	ds_load_b64 v[12:13], v0
	v_add_nc_u32_e32 v14, v14, v9
	s_mov_b32 s42, 0
	s_delay_alu instid0(VALU_DEP_1)
	v_ashrrev_i32_e32 v15, 31, v14
.LBB2_5756:                             ;   Parent Loop BB2_47 Depth=1
                                        ;     Parent Loop BB2_5661 Depth=2
                                        ; =>    This Inner Loop Header: Depth=3
	s_wait_dscnt 0x0
	s_delay_alu instid0(VALU_DEP_1) | instskip(SKIP_2) | instid1(VALU_DEP_2)
	v_add_nc_u64_e32 v[20:21], v[12:13], v[14:15]
	v_sub_nc_u32_e32 v100, v100, v38
	v_add_nc_u64_e32 v[14:15], v[14:15], v[38:39]
	v_cmp_gt_i32_e32 vcc_lo, 1, v100
	flat_load_u8 v9, v[20:21] th:TH_LOAD_NT
	s_or_b32 s42, vcc_lo, s42
	s_wait_loadcnt_dscnt 0x0
	flat_store_b8 v[20:21], v9 th:TH_STORE_NT
	s_wait_xcnt 0x0
	s_and_not1_b32 exec_lo, exec_lo, s42
	s_cbranch_execnz .LBB2_5756
.LBB2_5757:                             ;   in Loop: Header=BB2_5661 Depth=2
	s_or_b32 exec_lo, exec_lo, s13
	v_cmp_lt_i32_e64 s13, 0, v2
	s_and_saveexec_b32 s42, s2
	s_cbranch_execz .LBB2_5732
.LBB2_5758:                             ;   in Loop: Header=BB2_5661 Depth=2
	s_and_saveexec_b32 s43, s3
	s_delay_alu instid0(SALU_CYCLE_1)
	s_xor_b32 s43, exec_lo, s43
	s_cbranch_execz .LBB2_5773
; %bb.5759:                             ;   in Loop: Header=BB2_5661 Depth=2
	s_and_saveexec_b32 s62, s6
	s_cbranch_execz .LBB2_5772
; %bb.5760:                             ;   in Loop: Header=BB2_5661 Depth=2
	s_mov_b32 s72, exec_lo
	s_mov_b32 s63, exec_lo
	v_mbcnt_lo_u32_b32 v2, s72, 0
	global_wb scope:SCOPE_DEV
	s_wait_storecnt 0x0
	s_wait_loadcnt_dscnt 0x0
	global_inv scope:SCOPE_DEV
	v_cmpx_eq_u32_e32 0, v2
	s_cbranch_execz .LBB2_5762
; %bb.5761:                             ;   in Loop: Header=BB2_5661 Depth=2
	s_bcnt1_i32_b32 s72, s72
	s_delay_alu instid0(SALU_CYCLE_1)
	v_mov_b32_e32 v2, s72
	s_wait_loadcnt 0x0
	ds_add_u64 v0, v[2:3]
	s_trap 2
.LBB2_5762:                             ;   in Loop: Header=BB2_5661 Depth=2
	s_or_b32 exec_lo, exec_lo, s63
	s_trap 2
	ds_load_b64 v[12:13], v0
	s_wait_dscnt 0x0
	v_add_nc_u64_e32 v[32:33], v[32:33], v[36:37]
	s_mov_b32 s63, exec_lo
	s_delay_alu instid0(VALU_DEP_1)
	v_cmpx_lt_u64_e64 v[12:13], v[32:33]
	s_cbranch_execz .LBB2_5771
; %bb.5763:                             ;   in Loop: Header=BB2_5661 Depth=2
	s_mov_b32 s72, 0
	s_mov_b32 s75, 0
                                        ; implicit-def: $sgpr73
                                        ; implicit-def: $sgpr74
	s_branch .LBB2_5765
.LBB2_5764:                             ;   in Loop: Header=BB2_5765 Depth=3
	s_or_b32 exec_lo, exec_lo, s77
	s_delay_alu instid0(SALU_CYCLE_1) | instskip(NEXT) | instid1(SALU_CYCLE_1)
	s_and_b32 s76, exec_lo, s78
	s_or_b32 s72, s76, s72
	s_and_not1_b32 s73, s73, exec_lo
	s_and_b32 s76, s74, exec_lo
	s_delay_alu instid0(SALU_CYCLE_1)
	s_or_b32 s73, s73, s76
	s_and_not1_b32 exec_lo, exec_lo, s72
	s_cbranch_execz .LBB2_5769
.LBB2_5765:                             ;   Parent Loop BB2_47 Depth=1
                                        ;     Parent Loop BB2_5661 Depth=2
                                        ; =>    This Inner Loop Header: Depth=3
	s_add_co_i32 s75, s75, 1
	s_delay_alu instid0(SALU_CYCLE_1) | instskip(SKIP_1) | instid1(SALU_CYCLE_1)
	s_cmp_lg_u32 s75, 0x2710
	s_cselect_b32 s76, -1, 0
	s_and_b32 vcc_lo, exec_lo, s76
	s_cbranch_vccz .LBB2_5767
; %bb.5766:                             ;   in Loop: Header=BB2_5765 Depth=3
	s_mov_b32 s78, -1
	s_or_b32 s74, s74, exec_lo
	s_and_saveexec_b32 s77, s76
	s_cbranch_execz .LBB2_5764
	s_branch .LBB2_5768
.LBB2_5767:                             ;   in Loop: Header=BB2_5765 Depth=3
	s_trap 2
	ds_load_b64 v[12:13], v0
	s_and_not1_b32 s76, s76, exec_lo
	s_mov_b32 s75, 0
	s_wait_loadcnt_dscnt 0x0
	flat_load_b32 v2, v[12:13] scope:SCOPE_SYS
	s_wait_loadcnt_dscnt 0x0
	global_inv scope:SCOPE_SYS
	v_cmp_eq_u32_e32 vcc_lo, 0, v2
	s_and_b32 s77, vcc_lo, exec_lo
	s_delay_alu instid0(SALU_CYCLE_1)
	s_or_b32 s76, s76, s77
	s_mov_b32 s78, -1
	s_or_b32 s74, s74, exec_lo
	s_and_saveexec_b32 s77, s76
	s_cbranch_execz .LBB2_5764
.LBB2_5768:                             ;   in Loop: Header=BB2_5765 Depth=3
	s_sleep 1
	s_trap 2
	ds_load_b64 v[12:13], v0
	s_wait_dscnt 0x0
	s_and_not1_b32 s74, s74, exec_lo
	v_cmp_ge_u64_e32 vcc_lo, v[12:13], v[32:33]
	s_or_not1_b32 s78, vcc_lo, exec_lo
	s_branch .LBB2_5764
.LBB2_5769:                             ;   in Loop: Header=BB2_5661 Depth=2
	s_or_b32 exec_lo, exec_lo, s72
	s_and_saveexec_b32 s72, s73
	s_delay_alu instid0(SALU_CYCLE_1)
	s_xor_b32 s72, exec_lo, s72
	s_cbranch_execz .LBB2_5771
; %bb.5770:                             ;   in Loop: Header=BB2_5661 Depth=2
	ds_store_b32 v0, v107
	s_trap 2
.LBB2_5771:                             ;   in Loop: Header=BB2_5661 Depth=2
	s_or_b32 exec_lo, exec_lo, s63
	;;#ASMSTART
	s_wakeup
	;;#ASMEND
.LBB2_5772:                             ;   in Loop: Header=BB2_5661 Depth=2
	s_or_b32 exec_lo, exec_lo, s62
.LBB2_5773:                             ;   in Loop: Header=BB2_5661 Depth=2
	s_and_not1_saveexec_b32 s43, s43
	s_cbranch_execz .LBB2_5775
; %bb.5774:                             ;   in Loop: Header=BB2_5661 Depth=2
	global_wb scope:SCOPE_DEV
	s_wait_storecnt 0x0
	s_wait_loadcnt_dscnt 0x0
	global_inv scope:SCOPE_DEV
	s_barrier_signal -1
	s_barrier_wait -1
.LBB2_5775:                             ;   in Loop: Header=BB2_5661 Depth=2
	s_or_b32 exec_lo, exec_lo, s43
	s_delay_alu instid0(SALU_CYCLE_1) | instskip(SKIP_1) | instid1(SALU_CYCLE_1)
	s_or_b32 exec_lo, exec_lo, s42
	s_and_saveexec_b32 s42, s7
	s_xor_b32 s42, exec_lo, s42
	s_cbranch_execnz .LBB2_5733
.LBB2_5776:                             ;   in Loop: Header=BB2_5661 Depth=2
	s_and_not1_saveexec_b32 s13, s42
	s_cbranch_execz .LBB2_5795
.LBB2_5777:                             ;   in Loop: Header=BB2_5661 Depth=2
	s_and_saveexec_b32 s42, s3
	s_delay_alu instid0(SALU_CYCLE_1)
	s_xor_b32 s42, exec_lo, s42
	s_cbranch_execz .LBB2_5792
; %bb.5778:                             ;   in Loop: Header=BB2_5661 Depth=2
	s_and_saveexec_b32 s43, s6
	s_cbranch_execz .LBB2_5791
; %bb.5779:                             ;   in Loop: Header=BB2_5661 Depth=2
	s_mov_b32 s63, exec_lo
	s_mov_b32 s62, exec_lo
	v_mbcnt_lo_u32_b32 v2, s63, 0
	;;#ASMSTART
	s_waitcnt lgkmcnt(0) vmcnt(0)
	;;#ASMEND
	s_delay_alu instid0(VALU_DEP_1)
	v_cmpx_eq_u32_e32 0, v2
	s_cbranch_execz .LBB2_5781
; %bb.5780:                             ;   in Loop: Header=BB2_5661 Depth=2
	s_bcnt1_i32_b32 s63, s63
	s_delay_alu instid0(SALU_CYCLE_1)
	v_mov_b32_e32 v2, s63
	s_wait_storecnt 0x0
	s_wait_loadcnt_dscnt 0x0
	ds_add_u64 v0, v[2:3]
	s_trap 2
.LBB2_5781:                             ;   in Loop: Header=BB2_5661 Depth=2
	s_or_b32 exec_lo, exec_lo, s62
	s_trap 2
	ds_load_b64 v[12:13], v0
	s_wait_dscnt 0x0
	v_add_nc_u64_e32 v[32:33], v[32:33], v[36:37]
	s_mov_b32 s62, exec_lo
	s_delay_alu instid0(VALU_DEP_1)
	v_cmpx_lt_u64_e64 v[12:13], v[32:33]
	s_cbranch_execz .LBB2_5790
; %bb.5782:                             ;   in Loop: Header=BB2_5661 Depth=2
	s_mov_b32 s63, 0
	s_mov_b32 s74, 0
                                        ; implicit-def: $sgpr72
                                        ; implicit-def: $sgpr73
	s_branch .LBB2_5784
.LBB2_5783:                             ;   in Loop: Header=BB2_5784 Depth=3
	s_or_b32 exec_lo, exec_lo, s76
	s_delay_alu instid0(SALU_CYCLE_1) | instskip(NEXT) | instid1(SALU_CYCLE_1)
	s_and_b32 s75, exec_lo, s77
	s_or_b32 s63, s75, s63
	s_and_not1_b32 s72, s72, exec_lo
	s_and_b32 s75, s73, exec_lo
	s_delay_alu instid0(SALU_CYCLE_1)
	s_or_b32 s72, s72, s75
	s_and_not1_b32 exec_lo, exec_lo, s63
	s_cbranch_execz .LBB2_5788
.LBB2_5784:                             ;   Parent Loop BB2_47 Depth=1
                                        ;     Parent Loop BB2_5661 Depth=2
                                        ; =>    This Inner Loop Header: Depth=3
	s_add_co_i32 s74, s74, 1
	s_delay_alu instid0(SALU_CYCLE_1) | instskip(SKIP_1) | instid1(SALU_CYCLE_1)
	s_cmp_lg_u32 s74, 0x2710
	s_cselect_b32 s75, -1, 0
	s_and_b32 vcc_lo, exec_lo, s75
	s_cbranch_vccz .LBB2_5786
; %bb.5785:                             ;   in Loop: Header=BB2_5784 Depth=3
	s_mov_b32 s77, -1
	s_or_b32 s73, s73, exec_lo
	s_and_saveexec_b32 s76, s75
	s_cbranch_execz .LBB2_5783
	s_branch .LBB2_5787
.LBB2_5786:                             ;   in Loop: Header=BB2_5784 Depth=3
	s_trap 2
	ds_load_b64 v[12:13], v0
	s_and_not1_b32 s75, s75, exec_lo
	s_mov_b32 s74, 0
	s_wait_storecnt 0x0
	s_wait_loadcnt_dscnt 0x0
	flat_load_b32 v2, v[12:13] scope:SCOPE_SYS
	s_wait_loadcnt_dscnt 0x0
	global_inv scope:SCOPE_SYS
	v_cmp_eq_u32_e32 vcc_lo, 0, v2
	s_and_b32 s76, vcc_lo, exec_lo
	s_delay_alu instid0(SALU_CYCLE_1)
	s_or_b32 s75, s75, s76
	s_mov_b32 s77, -1
	s_or_b32 s73, s73, exec_lo
	s_and_saveexec_b32 s76, s75
	s_cbranch_execz .LBB2_5783
.LBB2_5787:                             ;   in Loop: Header=BB2_5784 Depth=3
	s_sleep 1
	s_trap 2
	ds_load_b64 v[12:13], v0
	s_wait_dscnt 0x0
	s_and_not1_b32 s73, s73, exec_lo
	v_cmp_ge_u64_e32 vcc_lo, v[12:13], v[32:33]
	s_or_not1_b32 s77, vcc_lo, exec_lo
	s_branch .LBB2_5783
.LBB2_5788:                             ;   in Loop: Header=BB2_5661 Depth=2
	s_or_b32 exec_lo, exec_lo, s63
	s_and_saveexec_b32 s63, s72
	s_delay_alu instid0(SALU_CYCLE_1)
	s_xor_b32 s63, exec_lo, s63
	s_cbranch_execz .LBB2_5790
; %bb.5789:                             ;   in Loop: Header=BB2_5661 Depth=2
	ds_store_b32 v0, v107
	s_trap 2
.LBB2_5790:                             ;   in Loop: Header=BB2_5661 Depth=2
	s_or_b32 exec_lo, exec_lo, s62
	;;#ASMSTART
	s_wakeup
	;;#ASMEND
.LBB2_5791:                             ;   in Loop: Header=BB2_5661 Depth=2
	s_or_b32 exec_lo, exec_lo, s43
.LBB2_5792:                             ;   in Loop: Header=BB2_5661 Depth=2
	s_and_not1_saveexec_b32 s42, s42
	s_cbranch_execz .LBB2_5794
; %bb.5793:                             ;   in Loop: Header=BB2_5661 Depth=2
	;;#ASMSTART
	s_waitcnt lgkmcnt(0) vmcnt(0)
	;;#ASMEND
	s_barrier_signal -1
	s_barrier_wait -1
.LBB2_5794:                             ;   in Loop: Header=BB2_5661 Depth=2
	s_or_b32 exec_lo, exec_lo, s42
.LBB2_5795:                             ;   in Loop: Header=BB2_5661 Depth=2
	s_delay_alu instid0(SALU_CYCLE_1) | instskip(SKIP_2) | instid1(VALU_DEP_1)
	s_or_b32 exec_lo, exec_lo, s13
	v_and_b32_e32 v2, 32, v30
	s_mov_b32 s13, exec_lo
	v_cmpx_ne_u32_e32 0, v2
	s_cbranch_execz .LBB2_5660
; %bb.5796:                             ;   in Loop: Header=BB2_5661 Depth=2
	v_add_nc_u64_e32 v[98:99], 2, v[98:99]
	global_wb scope:SCOPE_SYS
	s_wait_storecnt 0x0
	s_wait_loadcnt_dscnt 0x0
	flat_store_b64 v[22:23], v[98:99] scope:SCOPE_SYS
	s_branch .LBB2_5660
.LBB2_5797:                             ;   in Loop: Header=BB2_47 Depth=1
	s_or_b32 exec_lo, exec_lo, s15
.LBB2_5798:                             ;   in Loop: Header=BB2_47 Depth=1
	s_delay_alu instid0(SALU_CYCLE_1) | instskip(NEXT) | instid1(SALU_CYCLE_1)
	s_or_b32 exec_lo, exec_lo, s14
	s_mov_b32 s14, exec_lo
	v_cmpx_gt_i32_e32 2, v2
	s_cbranch_execnz .LBB2_5799
; %bb.5911:                             ;   in Loop: Header=BB2_47 Depth=1
	s_add_pc_i64 .LBB2_46-.Lpost_addpc3
.Lpost_addpc3:
.LBB2_5799:                             ;   in Loop: Header=BB2_47 Depth=1
	v_cmp_eq_u32_e64 s18, 0, v2
	s_mov_b32 s15, 0
	s_branch .LBB2_5801
.LBB2_5800:                             ;   in Loop: Header=BB2_5801 Depth=2
	s_wait_xcnt 0x0
	s_or_b32 exec_lo, exec_lo, s13
	v_add_nc_u32_e32 v8, v19, v8
	s_mov_b32 s18, 0
	s_and_not1_b32 exec_lo, exec_lo, s15
	s_cbranch_execnz .LBB2_5801
; %bb.5913:                             ;   in Loop: Header=BB2_47 Depth=1
	s_add_pc_i64 .LBB2_45-.Lpost_addpc4
.Lpost_addpc4:
.LBB2_5801:                             ;   Parent Loop BB2_47 Depth=1
                                        ; =>  This Loop Header: Depth=2
                                        ;       Child Loop BB2_5807 Depth 3
                                        ;       Child Loop BB2_5831 Depth 3
	;; [unrolled: 1-line block ×3, first 2 shown]
	v_and_b32_e32 v2, 4, v30
	s_mov_b32 s29, exec_lo
	s_delay_alu instid0(VALU_DEP_1)
	v_cmpx_ne_u32_e32 0, v2
	s_cbranch_execz .LBB2_5823
; %bb.5802:                             ;   in Loop: Header=BB2_5801 Depth=2
	v_add_nc_u64_e32 v[10:11], 2, v[98:99]
	s_mov_b32 s42, exec_lo
	s_wait_loadcnt_dscnt 0x1
	s_delay_alu instid0(VALU_DEP_1)
	v_cmpx_lt_u64_e64 v[34:35], v[10:11]
	s_cbranch_execz .LBB2_5814
; %bb.5803:                             ;   in Loop: Header=BB2_5801 Depth=2
	v_and_b32_e32 v2, 64, v30
	s_mov_b32 s43, 0
	s_mov_b32 s73, 0
                                        ; implicit-def: $sgpr62
                                        ; implicit-def: $sgpr63
                                        ; implicit-def: $sgpr72
	s_delay_alu instid0(VALU_DEP_1)
	v_cmp_eq_u32_e32 vcc_lo, 0, v2
	s_branch .LBB2_5807
.LBB2_5804:                             ;   in Loop: Header=BB2_5807 Depth=3
	s_wait_loadcnt_dscnt 0x0
	v_cmp_ge_u64_e64 s13, v[34:35], v[10:11]
	s_or_b32 s76, s76, exec_lo
	s_or_not1_b32 s75, s13, exec_lo
.LBB2_5805:                             ;   in Loop: Header=BB2_5807 Depth=3
	s_or_b32 exec_lo, exec_lo, s78
	s_delay_alu instid0(SALU_CYCLE_1)
	s_and_not1_b32 s13, s72, exec_lo
	s_and_b32 s72, s76, exec_lo
	s_and_not1_b32 s63, s63, exec_lo
	s_and_b32 s75, s75, exec_lo
	s_or_b32 s72, s13, s72
	s_or_b32 s63, s63, s75
.LBB2_5806:                             ;   in Loop: Header=BB2_5807 Depth=3
	s_or_b32 exec_lo, exec_lo, s74
	s_delay_alu instid0(SALU_CYCLE_1) | instskip(NEXT) | instid1(SALU_CYCLE_1)
	s_and_b32 s13, exec_lo, s63
	s_or_b32 s43, s13, s43
	s_and_not1_b32 s13, s62, exec_lo
	s_and_b32 s62, s72, exec_lo
	s_delay_alu instid0(SALU_CYCLE_1)
	s_or_b32 s62, s13, s62
	s_and_not1_b32 exec_lo, exec_lo, s43
	s_cbranch_execz .LBB2_5811
.LBB2_5807:                             ;   Parent Loop BB2_47 Depth=1
                                        ;     Parent Loop BB2_5801 Depth=2
                                        ; =>    This Inner Loop Header: Depth=3
	s_sleep 1
	s_wait_loadcnt_dscnt 0x0
	flat_load_b64 v[34:35], v[22:23] scope:SCOPE_SYS
	s_or_b32 s72, s72, exec_lo
	s_or_b32 s63, s63, exec_lo
                                        ; implicit-def: $vgpr2
	s_wait_xcnt 0x0
	s_and_saveexec_b32 s74, vcc_lo
	s_cbranch_execz .LBB2_5806
; %bb.5808:                             ;   in Loop: Header=BB2_5807 Depth=3
	s_cmp_lt_i32 s73, 0x270f
	s_mov_b32 s75, -1
	s_cselect_b32 s77, -1, 0
	s_cmp_gt_i32 s73, 0x270e
	s_cbranch_scc0 .LBB2_5810
; %bb.5809:                             ;   in Loop: Header=BB2_5807 Depth=3
	s_trap 2
	ds_load_b64 v[12:13], v0
	s_and_not1_b32 s73, s77, exec_lo
	s_mov_b32 s76, 0
	s_wait_storecnt 0x0
	s_wait_loadcnt_dscnt 0x0
	flat_load_b32 v2, v[12:13] scope:SCOPE_SYS
	s_wait_loadcnt_dscnt 0x0
	global_inv scope:SCOPE_SYS
	v_cmp_eq_u32_e64 s13, 0, v2
	s_and_b32 s13, s13, exec_lo
	s_delay_alu instid0(SALU_CYCLE_1)
	s_or_b32 s77, s73, s13
	s_mov_b32 s73, 0
	s_and_saveexec_b32 s78, s77
	s_cbranch_execz .LBB2_5805
	s_branch .LBB2_5804
.LBB2_5810:                             ;   in Loop: Header=BB2_5807 Depth=3
	s_add_co_i32 s73, s73, 1
	s_mov_b32 s76, -1
                                        ; implicit-def: $vgpr2
	s_and_saveexec_b32 s78, s77
	s_cbranch_execz .LBB2_5805
	s_branch .LBB2_5804
.LBB2_5811:                             ;   in Loop: Header=BB2_5801 Depth=2
	s_or_b32 exec_lo, exec_lo, s43
	s_xor_b32 s13, s62, -1
	s_delay_alu instid0(SALU_CYCLE_1) | instskip(NEXT) | instid1(SALU_CYCLE_1)
	s_and_saveexec_b32 s43, s13
	s_xor_b32 s13, exec_lo, s43
	s_cbranch_execz .LBB2_5813
; %bb.5812:                             ;   in Loop: Header=BB2_5801 Depth=2
	v_or_b32_e32 v30, 64, v30
	s_wait_storecnt 0x0
	s_wait_loadcnt_dscnt 0x0
	ds_store_b32 v0, v2
	s_trap 2
.LBB2_5813:                             ;   in Loop: Header=BB2_5801 Depth=2
	s_or_b32 exec_lo, exec_lo, s13
.LBB2_5814:                             ;   in Loop: Header=BB2_5801 Depth=2
	s_delay_alu instid0(SALU_CYCLE_1) | instskip(SKIP_3) | instid1(VALU_DEP_1)
	s_or_b32 exec_lo, exec_lo, s42
	v_and_b32_e32 v2, 0x100, v30
	s_mov_b32 s13, -1
	;;#ASMSTART
	s_wakeup
	;;#ASMEND
                                        ; implicit-def: $vgpr12_vgpr13
	v_cmp_ne_u32_e32 vcc_lo, 0, v2
	v_and_b32_e32 v2, 7, v98
	s_and_saveexec_b32 s42, vcc_lo
	s_cbranch_execz .LBB2_5818
; %bb.5815:                             ;   in Loop: Header=BB2_5801 Depth=2
	s_delay_alu instid0(VALU_DEP_1)
	v_mad_nc_u64_u32 v[14:15], v2, 24, v[6:7]
	s_mov_b32 s43, exec_lo
                                        ; implicit-def: $vgpr12_vgpr13
	flat_load_b32 v9, v[14:15]
	s_wait_loadcnt_dscnt 0x0
	v_cmp_ne_u32_e32 vcc_lo, 1, v9
	s_wait_xcnt 0x0
	v_cmpx_eq_u32_e32 1, v9
	s_cbranch_execz .LBB2_5817
; %bb.5816:                             ;   in Loop: Header=BB2_5801 Depth=2
	flat_load_b32 v12, v[14:15] offset:4 scope:SCOPE_SYS
	s_wait_loadcnt_dscnt 0x0
	v_ashrrev_i32_e32 v13, 31, v12
.LBB2_5817:                             ;   in Loop: Header=BB2_5801 Depth=2
	s_wait_xcnt 0x0
	s_or_b32 exec_lo, exec_lo, s43
	s_delay_alu instid0(SALU_CYCLE_1)
	s_or_not1_b32 s13, vcc_lo, exec_lo
.LBB2_5818:                             ;   in Loop: Header=BB2_5801 Depth=2
	s_or_b32 exec_lo, exec_lo, s42
	s_and_saveexec_b32 s42, s13
; %bb.5819:                             ;   in Loop: Header=BB2_5801 Depth=2
	v_mul_u64_e32 v[12:13], v[2:3], v[24:25]
; %bb.5820:                             ;   in Loop: Header=BB2_5801 Depth=2
	s_or_b32 exec_lo, exec_lo, s42
	s_delay_alu instid0(VALU_DEP_1)
	v_add_nc_u64_e32 v[12:13], v[26:27], v[12:13]
	v_and_b32_e32 v2, 0x2000, v30
	s_mov_b32 s13, exec_lo
	ds_store_b64 v0, v[12:13] offset:720
	v_cmpx_ne_u32_e32 0, v2
	s_cbranch_execz .LBB2_5822
; %bb.5821:                             ;   in Loop: Header=BB2_5801 Depth=2
	ds_load_b64 v[12:13], v0 offset:872
	s_wait_dscnt 0x0
	v_add_nc_u64_e32 v[12:13], 1, v[12:13]
	ds_store_b64 v0, v[12:13] offset:872
.LBB2_5822:                             ;   in Loop: Header=BB2_5801 Depth=2
	s_or_b32 exec_lo, exec_lo, s13
	v_mov_b64_e32 v[98:99], v[10:11]
.LBB2_5823:                             ;   in Loop: Header=BB2_5801 Depth=2
	s_or_b32 exec_lo, exec_lo, s29
	s_xor_b32 s13, s18, -1
	s_delay_alu instid0(SALU_CYCLE_1) | instskip(NEXT) | instid1(SALU_CYCLE_1)
	s_and_b32 s13, exec_lo, s13
	s_or_b32 s15, s13, s15
	s_and_saveexec_b32 s13, s2
	s_cbranch_execz .LBB2_5842
; %bb.5824:                             ;   in Loop: Header=BB2_5801 Depth=2
	s_and_saveexec_b32 s18, s3
	s_delay_alu instid0(SALU_CYCLE_1)
	s_xor_b32 s18, exec_lo, s18
	s_cbranch_execz .LBB2_5839
; %bb.5825:                             ;   in Loop: Header=BB2_5801 Depth=2
	s_and_saveexec_b32 s29, s6
	s_cbranch_execz .LBB2_5838
; %bb.5826:                             ;   in Loop: Header=BB2_5801 Depth=2
	s_mov_b32 s43, exec_lo
	s_mov_b32 s42, exec_lo
	v_mbcnt_lo_u32_b32 v2, s43, 0
	global_wb scope:SCOPE_DEV
	s_wait_storecnt 0x0
	s_wait_loadcnt_dscnt 0x0
	global_inv scope:SCOPE_DEV
	v_cmpx_eq_u32_e32 0, v2
	s_cbranch_execz .LBB2_5828
; %bb.5827:                             ;   in Loop: Header=BB2_5801 Depth=2
	s_bcnt1_i32_b32 s43, s43
	s_delay_alu instid0(SALU_CYCLE_1)
	v_mov_b32_e32 v2, s43
	s_wait_loadcnt 0x0
	ds_add_u64 v0, v[2:3]
	s_trap 2
.LBB2_5828:                             ;   in Loop: Header=BB2_5801 Depth=2
	s_or_b32 exec_lo, exec_lo, s42
	s_trap 2
	ds_load_b64 v[10:11], v0
	s_wait_dscnt 0x0
	v_add_nc_u64_e32 v[32:33], v[32:33], v[36:37]
	s_mov_b32 s42, exec_lo
	s_delay_alu instid0(VALU_DEP_1)
	v_cmpx_lt_u64_e64 v[10:11], v[32:33]
	s_cbranch_execz .LBB2_5837
; %bb.5829:                             ;   in Loop: Header=BB2_5801 Depth=2
	s_mov_b32 s43, 0
	s_mov_b32 s72, 0
                                        ; implicit-def: $sgpr62
                                        ; implicit-def: $sgpr63
	s_branch .LBB2_5831
.LBB2_5830:                             ;   in Loop: Header=BB2_5831 Depth=3
	s_or_b32 exec_lo, exec_lo, s74
	s_delay_alu instid0(SALU_CYCLE_1) | instskip(NEXT) | instid1(SALU_CYCLE_1)
	s_and_b32 s73, exec_lo, s75
	s_or_b32 s43, s73, s43
	s_and_not1_b32 s62, s62, exec_lo
	s_and_b32 s73, s63, exec_lo
	s_delay_alu instid0(SALU_CYCLE_1)
	s_or_b32 s62, s62, s73
	s_and_not1_b32 exec_lo, exec_lo, s43
	s_cbranch_execz .LBB2_5835
.LBB2_5831:                             ;   Parent Loop BB2_47 Depth=1
                                        ;     Parent Loop BB2_5801 Depth=2
                                        ; =>    This Inner Loop Header: Depth=3
	s_add_co_i32 s72, s72, 1
	s_delay_alu instid0(SALU_CYCLE_1) | instskip(SKIP_1) | instid1(SALU_CYCLE_1)
	s_cmp_lg_u32 s72, 0x2710
	s_cselect_b32 s73, -1, 0
	s_and_b32 vcc_lo, exec_lo, s73
	s_cbranch_vccz .LBB2_5833
; %bb.5832:                             ;   in Loop: Header=BB2_5831 Depth=3
	s_mov_b32 s75, -1
	s_or_b32 s63, s63, exec_lo
	s_and_saveexec_b32 s74, s73
	s_cbranch_execz .LBB2_5830
	s_branch .LBB2_5834
.LBB2_5833:                             ;   in Loop: Header=BB2_5831 Depth=3
	s_trap 2
	ds_load_b64 v[10:11], v0
	s_and_not1_b32 s73, s73, exec_lo
	s_mov_b32 s72, 0
	s_wait_loadcnt_dscnt 0x0
	flat_load_b32 v2, v[10:11] scope:SCOPE_SYS
	s_wait_loadcnt_dscnt 0x0
	global_inv scope:SCOPE_SYS
	v_cmp_eq_u32_e32 vcc_lo, 0, v2
	s_and_b32 s74, vcc_lo, exec_lo
	s_delay_alu instid0(SALU_CYCLE_1)
	s_or_b32 s73, s73, s74
	s_mov_b32 s75, -1
	s_or_b32 s63, s63, exec_lo
	s_and_saveexec_b32 s74, s73
	s_cbranch_execz .LBB2_5830
.LBB2_5834:                             ;   in Loop: Header=BB2_5831 Depth=3
	s_sleep 1
	s_trap 2
	ds_load_b64 v[10:11], v0
	s_wait_dscnt 0x0
	s_and_not1_b32 s63, s63, exec_lo
	v_cmp_ge_u64_e32 vcc_lo, v[10:11], v[32:33]
	s_or_not1_b32 s75, vcc_lo, exec_lo
	s_branch .LBB2_5830
.LBB2_5835:                             ;   in Loop: Header=BB2_5801 Depth=2
	s_or_b32 exec_lo, exec_lo, s43
	s_and_saveexec_b32 s43, s62
	s_delay_alu instid0(SALU_CYCLE_1)
	s_xor_b32 s43, exec_lo, s43
	s_cbranch_execz .LBB2_5837
; %bb.5836:                             ;   in Loop: Header=BB2_5801 Depth=2
	ds_store_b32 v0, v107
	s_trap 2
.LBB2_5837:                             ;   in Loop: Header=BB2_5801 Depth=2
	s_or_b32 exec_lo, exec_lo, s42
	;;#ASMSTART
	s_wakeup
	;;#ASMEND
.LBB2_5838:                             ;   in Loop: Header=BB2_5801 Depth=2
	s_or_b32 exec_lo, exec_lo, s29
.LBB2_5839:                             ;   in Loop: Header=BB2_5801 Depth=2
	s_and_not1_saveexec_b32 s18, s18
	s_cbranch_execz .LBB2_5841
; %bb.5840:                             ;   in Loop: Header=BB2_5801 Depth=2
	global_wb scope:SCOPE_DEV
	s_wait_storecnt 0x0
	s_wait_loadcnt_dscnt 0x0
	global_inv scope:SCOPE_DEV
	s_barrier_signal -1
	s_barrier_wait -1
.LBB2_5841:                             ;   in Loop: Header=BB2_5801 Depth=2
	s_or_b32 exec_lo, exec_lo, s18
.LBB2_5842:                             ;   in Loop: Header=BB2_5801 Depth=2
	s_delay_alu instid0(SALU_CYCLE_1) | instskip(SKIP_1) | instid1(VALU_DEP_1)
	s_or_b32 exec_lo, exec_lo, s13
	v_sub_nc_u32_e32 v2, v18, v8
	v_min_i32_e32 v19, v19, v2
	s_and_saveexec_b32 s13, s7
	s_delay_alu instid0(SALU_CYCLE_1)
	s_xor_b32 s18, exec_lo, s13
	s_cbranch_execz .LBB2_5846
; %bb.5843:                             ;   in Loop: Header=BB2_5801 Depth=2
	s_trap 2
	ds_load_b32 v2, v0
	v_cmp_lt_i32_e32 vcc_lo, 0, v19
	s_wait_dscnt 0x0
	v_readfirstlane_b32 s13, v2
	v_and_b32_e32 v2, 16, v30
	s_cmp_eq_u32 s13, 0
	s_delay_alu instid0(VALU_DEP_1) | instskip(SKIP_1) | instid1(SALU_CYCLE_1)
	v_cmp_ne_u32_e64 s13, 0, v2
	s_cselect_b32 s29, -1, 0
	s_and_b32 s29, vcc_lo, s29
	s_delay_alu instid0(SALU_CYCLE_1) | instskip(NEXT) | instid1(SALU_CYCLE_1)
	s_and_b32 s29, s13, s29
	s_and_saveexec_b32 s13, s29
	s_cbranch_execz .LBB2_5845
; %bb.5844:                             ;   in Loop: Header=BB2_5801 Depth=2
	global_wb scope:SCOPE_SYS
	s_wait_loadcnt 0x0
	s_wait_storecnt 0x0
	global_inv scope:SCOPE_SYS
.LBB2_5845:                             ;   in Loop: Header=BB2_5801 Depth=2
	s_or_b32 exec_lo, exec_lo, s13
.LBB2_5846:                             ;   in Loop: Header=BB2_5801 Depth=2
	s_and_not1_saveexec_b32 s13, s18
	s_cbranch_execz .LBB2_5865
; %bb.5847:                             ;   in Loop: Header=BB2_5801 Depth=2
	s_and_saveexec_b32 s18, s3
	s_delay_alu instid0(SALU_CYCLE_1)
	s_xor_b32 s18, exec_lo, s18
	s_cbranch_execz .LBB2_5862
; %bb.5848:                             ;   in Loop: Header=BB2_5801 Depth=2
	s_and_saveexec_b32 s29, s6
	s_cbranch_execz .LBB2_5861
; %bb.5849:                             ;   in Loop: Header=BB2_5801 Depth=2
	s_mov_b32 s43, exec_lo
	s_mov_b32 s42, exec_lo
	v_mbcnt_lo_u32_b32 v2, s43, 0
	;;#ASMSTART
	s_waitcnt lgkmcnt(0) vmcnt(0)
	;;#ASMEND
	s_delay_alu instid0(VALU_DEP_1)
	v_cmpx_eq_u32_e32 0, v2
	s_cbranch_execz .LBB2_5851
; %bb.5850:                             ;   in Loop: Header=BB2_5801 Depth=2
	s_bcnt1_i32_b32 s43, s43
	s_delay_alu instid0(SALU_CYCLE_1)
	v_mov_b32_e32 v2, s43
	s_wait_storecnt 0x0
	s_wait_loadcnt_dscnt 0x0
	ds_add_u64 v0, v[2:3]
	s_trap 2
.LBB2_5851:                             ;   in Loop: Header=BB2_5801 Depth=2
	s_or_b32 exec_lo, exec_lo, s42
	s_trap 2
	ds_load_b64 v[10:11], v0
	s_wait_dscnt 0x0
	v_add_nc_u64_e32 v[32:33], v[32:33], v[36:37]
	s_mov_b32 s42, exec_lo
	s_delay_alu instid0(VALU_DEP_1)
	v_cmpx_lt_u64_e64 v[10:11], v[32:33]
	s_cbranch_execz .LBB2_5860
; %bb.5852:                             ;   in Loop: Header=BB2_5801 Depth=2
	s_mov_b32 s43, 0
	s_mov_b32 s72, 0
                                        ; implicit-def: $sgpr62
                                        ; implicit-def: $sgpr63
	s_branch .LBB2_5854
.LBB2_5853:                             ;   in Loop: Header=BB2_5854 Depth=3
	s_or_b32 exec_lo, exec_lo, s74
	s_delay_alu instid0(SALU_CYCLE_1) | instskip(NEXT) | instid1(SALU_CYCLE_1)
	s_and_b32 s73, exec_lo, s75
	s_or_b32 s43, s73, s43
	s_and_not1_b32 s62, s62, exec_lo
	s_and_b32 s73, s63, exec_lo
	s_delay_alu instid0(SALU_CYCLE_1)
	s_or_b32 s62, s62, s73
	s_and_not1_b32 exec_lo, exec_lo, s43
	s_cbranch_execz .LBB2_5858
.LBB2_5854:                             ;   Parent Loop BB2_47 Depth=1
                                        ;     Parent Loop BB2_5801 Depth=2
                                        ; =>    This Inner Loop Header: Depth=3
	s_add_co_i32 s72, s72, 1
	s_delay_alu instid0(SALU_CYCLE_1) | instskip(SKIP_1) | instid1(SALU_CYCLE_1)
	s_cmp_lg_u32 s72, 0x2710
	s_cselect_b32 s73, -1, 0
	s_and_b32 vcc_lo, exec_lo, s73
	s_cbranch_vccz .LBB2_5856
; %bb.5855:                             ;   in Loop: Header=BB2_5854 Depth=3
	s_mov_b32 s75, -1
	s_or_b32 s63, s63, exec_lo
	s_and_saveexec_b32 s74, s73
	s_cbranch_execz .LBB2_5853
	s_branch .LBB2_5857
.LBB2_5856:                             ;   in Loop: Header=BB2_5854 Depth=3
	s_trap 2
	ds_load_b64 v[10:11], v0
	s_and_not1_b32 s73, s73, exec_lo
	s_mov_b32 s72, 0
	s_wait_storecnt 0x0
	s_wait_loadcnt_dscnt 0x0
	flat_load_b32 v2, v[10:11] scope:SCOPE_SYS
	s_wait_loadcnt_dscnt 0x0
	global_inv scope:SCOPE_SYS
	v_cmp_eq_u32_e32 vcc_lo, 0, v2
	s_and_b32 s74, vcc_lo, exec_lo
	s_delay_alu instid0(SALU_CYCLE_1)
	s_or_b32 s73, s73, s74
	s_mov_b32 s75, -1
	s_or_b32 s63, s63, exec_lo
	s_and_saveexec_b32 s74, s73
	s_cbranch_execz .LBB2_5853
.LBB2_5857:                             ;   in Loop: Header=BB2_5854 Depth=3
	s_sleep 1
	s_trap 2
	ds_load_b64 v[10:11], v0
	s_wait_dscnt 0x0
	s_and_not1_b32 s63, s63, exec_lo
	v_cmp_ge_u64_e32 vcc_lo, v[10:11], v[32:33]
	s_or_not1_b32 s75, vcc_lo, exec_lo
	s_branch .LBB2_5853
.LBB2_5858:                             ;   in Loop: Header=BB2_5801 Depth=2
	s_or_b32 exec_lo, exec_lo, s43
	s_and_saveexec_b32 s43, s62
	s_delay_alu instid0(SALU_CYCLE_1)
	s_xor_b32 s43, exec_lo, s43
	s_cbranch_execz .LBB2_5860
; %bb.5859:                             ;   in Loop: Header=BB2_5801 Depth=2
	ds_store_b32 v0, v107
	s_trap 2
.LBB2_5860:                             ;   in Loop: Header=BB2_5801 Depth=2
	s_or_b32 exec_lo, exec_lo, s42
	;;#ASMSTART
	s_wakeup
	;;#ASMEND
.LBB2_5861:                             ;   in Loop: Header=BB2_5801 Depth=2
	s_or_b32 exec_lo, exec_lo, s29
.LBB2_5862:                             ;   in Loop: Header=BB2_5801 Depth=2
	s_and_not1_saveexec_b32 s18, s18
	s_cbranch_execz .LBB2_5864
; %bb.5863:                             ;   in Loop: Header=BB2_5801 Depth=2
	;;#ASMSTART
	s_waitcnt lgkmcnt(0) vmcnt(0)
	;;#ASMEND
	s_barrier_signal -1
	s_barrier_wait -1
.LBB2_5864:                             ;   in Loop: Header=BB2_5801 Depth=2
	s_or_b32 exec_lo, exec_lo, s18
.LBB2_5865:                             ;   in Loop: Header=BB2_5801 Depth=2
	s_delay_alu instid0(SALU_CYCLE_1) | instskip(SKIP_2) | instid1(VALU_DEP_1)
	s_or_b32 exec_lo, exec_lo, s13
	v_and_b32_e32 v2, 32, v30
	s_mov_b32 s13, exec_lo
	v_cmpx_ne_u32_e32 0, v2
	s_cbranch_execz .LBB2_5800
; %bb.5866:                             ;   in Loop: Header=BB2_5801 Depth=2
	v_add_nc_u64_e32 v[98:99], 2, v[98:99]
	global_wb scope:SCOPE_SYS
	s_wait_storecnt 0x0
	s_wait_loadcnt_dscnt 0x0
	flat_store_b64 v[22:23], v[98:99] scope:SCOPE_SYS
	s_branch .LBB2_5800
.LBB2_5867:
	s_or_b32 exec_lo, exec_lo, s61
	scratch_load_b64 v[36:37], off, s33 offset:188 ; 8-byte Folded Reload
.LBB2_5868:
	s_wait_xcnt 0x0
	s_or_b32 exec_lo, exec_lo, s45
	v_and_b32_e32 v0, 0x800, v30
	s_mov_b32 s1, exec_lo
	s_delay_alu instid0(VALU_DEP_1)
	v_cmpx_eq_u32_e32 0, v0
	s_cbranch_execz .LBB2_5901
; %bb.5869:
	v_and_b32_e32 v0, 48, v30
	s_mov_b32 s0, exec_lo
	s_delay_alu instid0(VALU_DEP_1)
	v_cmpx_ne_u32_e32 0, v0
	s_cbranch_execz .LBB2_5871
; %bb.5870:
	s_wait_loadcnt 0x0
	flat_store_b64 v[36:37], v[98:99] offset:104
.LBB2_5871:
	s_wait_xcnt 0x0
	s_or_b32 exec_lo, exec_lo, s0
	v_and_b32_e32 v0, 0x88, v30
	s_mov_b32 s2, exec_lo
	s_delay_alu instid0(VALU_DEP_1)
	v_cmpx_eq_u32_e32 0x88, v0
	s_cbranch_execz .LBB2_5881
; %bb.5872:
	v_add_nc_u32_e32 v0, 6, v98
	s_mov_b32 s3, 0
	s_delay_alu instid0(VALU_DEP_1) | instskip(NEXT) | instid1(VALU_DEP_1)
	v_and_b32_e32 v0, 7, v0
	v_mad_nc_u64_u32 v[2:3], v0, 24, v[6:7]
	v_and_b32_e32 v0, 64, v30
	s_delay_alu instid0(VALU_DEP_1)
	v_cmp_eq_u32_e64 s0, 0, v0
	flat_load_b64 v[4:5], v[2:3] offset:8 scope:SCOPE_SYS
	s_wait_loadcnt_dscnt 0x0
	v_cmp_ne_u64_e32 vcc_lo, -1, v[4:5]
	s_and_b32 s0, vcc_lo, s0
	s_wait_xcnt 0x0
	s_and_b32 exec_lo, exec_lo, s0
	s_cbranch_execz .LBB2_5881
; %bb.5873:
	s_mov_b32 s5, 0
                                        ; implicit-def: $sgpr0
                                        ; implicit-def: $sgpr4
	s_branch .LBB2_5876
.LBB2_5874:                             ;   in Loop: Header=BB2_5876 Depth=1
	flat_load_b64 v[4:5], v[2:3] offset:8 scope:SCOPE_SYS
	s_wait_loadcnt 0x0
	s_and_not1_b32 s4, s4, exec_lo
	s_wait_dscnt 0x0
	v_cmp_eq_u64_e32 vcc_lo, -1, v[4:5]
	s_or_not1_b32 s7, vcc_lo, exec_lo
.LBB2_5875:                             ;   in Loop: Header=BB2_5876 Depth=1
	s_wait_xcnt 0x0
	s_or_b32 exec_lo, exec_lo, s10
	s_delay_alu instid0(SALU_CYCLE_1) | instskip(NEXT) | instid1(SALU_CYCLE_1)
	s_and_b32 s6, exec_lo, s7
	s_or_b32 s3, s6, s3
	s_and_not1_b32 s0, s0, exec_lo
	s_and_b32 s6, s4, exec_lo
	s_delay_alu instid0(SALU_CYCLE_1)
	s_or_b32 s0, s0, s6
	s_and_not1_b32 exec_lo, exec_lo, s3
	s_cbranch_execz .LBB2_5879
.LBB2_5876:                             ; =>This Inner Loop Header: Depth=1
	s_cmp_lt_i32 s5, 0x270f
	s_cselect_b32 s6, -1, 0
	s_delay_alu instid0(SALU_CYCLE_1)
	s_and_b32 vcc_lo, exec_lo, s6
	s_cbranch_vccnz .LBB2_5878
; %bb.5877:                             ;   in Loop: Header=BB2_5876 Depth=1
	s_trap 2
	ds_load_b64 v[4:5], v0
	s_and_not1_b32 s6, s6, exec_lo
	s_mov_b32 s5, 0
	s_wait_storecnt_dscnt 0x0
	flat_load_b32 v0, v[4:5] scope:SCOPE_SYS
	s_wait_loadcnt_dscnt 0x0
	global_inv scope:SCOPE_SYS
	v_cmp_eq_u32_e32 vcc_lo, 0, v0
	s_and_b32 s7, vcc_lo, exec_lo
	s_delay_alu instid0(SALU_CYCLE_1)
	s_or_b32 s6, s6, s7
	s_mov_b32 s7, -1
	s_or_b32 s4, s4, exec_lo
	s_wait_xcnt 0x0
	s_and_saveexec_b32 s10, s6
	s_cbranch_execz .LBB2_5875
	s_branch .LBB2_5874
.LBB2_5878:                             ;   in Loop: Header=BB2_5876 Depth=1
	s_add_co_i32 s5, s5, 1
                                        ; implicit-def: $vgpr0
	s_mov_b32 s7, -1
	s_or_b32 s4, s4, exec_lo
	s_and_saveexec_b32 s10, s6
	s_cbranch_execz .LBB2_5875
	s_branch .LBB2_5874
.LBB2_5879:
	s_or_b32 exec_lo, exec_lo, s3
	s_and_saveexec_b32 s3, s0
	s_delay_alu instid0(SALU_CYCLE_1)
	s_xor_b32 s3, exec_lo, s3
	s_cbranch_execz .LBB2_5881
; %bb.5880:
	s_wait_loadcnt 0x0
	s_wait_storecnt 0x0
	ds_store_b32 v0, v0
	s_trap 2
.LBB2_5881:
	s_or_b32 exec_lo, exec_lo, s2
	v_and_b32_e32 v0, 0x2000, v30
	s_mov_b32 s0, exec_lo
	s_delay_alu instid0(VALU_DEP_1)
	v_cmpx_ne_u32_e32 0, v0
	s_cbranch_execz .LBB2_5883
; %bb.5882:
	s_trap 2
	scratch_load_b64 v[4:5], off, s33 offset:196 th:TH_LOAD_LU ; 8-byte Folded Reload
	ds_load_b64 v[2:3], v0
	s_wait_loadcnt_dscnt 0x0
	flat_store_b64 v[4:5], v[2:3] offset:16
.LBB2_5883:
	s_wait_xcnt 0x0
	s_or_b32 exec_lo, exec_lo, s0
	v_cmp_ne_u32_e32 vcc_lo, 32, v1
	s_and_b32 exec_lo, exec_lo, vcc_lo
	s_cbranch_execz .LBB2_5901
; %bb.5884:
	s_mov_b32 s0, exec_lo
	v_cmpx_ne_u32_e64 v1, v106
	s_xor_b32 s0, exec_lo, s0
	s_cbranch_execz .LBB2_5899
; %bb.5885:
	v_and_b32_e32 v0, 31, v31
	s_mov_b32 s2, exec_lo
	s_delay_alu instid0(VALU_DEP_1)
	v_cmpx_eq_u32_e32 0, v0
	s_cbranch_execz .LBB2_5898
; %bb.5886:
	s_mov_b32 s4, exec_lo
	s_mov_b32 s3, exec_lo
	v_mbcnt_lo_u32_b32 v0, s4, 0
	global_wb scope:SCOPE_DEV
	s_wait_storecnt 0x0
	s_wait_loadcnt_dscnt 0x0
	global_inv scope:SCOPE_DEV
	v_cmpx_eq_u32_e32 0, v0
	s_cbranch_execz .LBB2_5888
; %bb.5887:
	s_bcnt1_i32_b32 s4, s4
	s_delay_alu instid0(SALU_CYCLE_1)
	v_dual_mov_b32 v3, 0 :: v_dual_mov_b32 v2, s4
	s_wait_loadcnt 0x0
	ds_add_u64 v0, v[2:3]
	s_trap 2
.LBB2_5888:
	s_or_b32 exec_lo, exec_lo, s3
	s_trap 2
	ds_load_b64 v[2:3], v0
	s_wait_dscnt 0x0
	v_dual_mov_b32 v1, 0 :: v_dual_lshrrev_b32 v0, 5, v1
	s_mov_b32 s3, exec_lo
	s_delay_alu instid0(VALU_DEP_1) | instskip(NEXT) | instid1(VALU_DEP_1)
	v_add_nc_u64_e32 v[0:1], v[32:33], v[0:1]
	v_cmpx_lt_u64_e64 v[2:3], v[0:1]
	s_cbranch_execz .LBB2_5897
; %bb.5889:
	s_mov_b32 s4, 0
	s_mov_b32 s7, 0
                                        ; implicit-def: $sgpr5
                                        ; implicit-def: $sgpr6
	s_branch .LBB2_5891
.LBB2_5890:                             ;   in Loop: Header=BB2_5891 Depth=1
	s_or_b32 exec_lo, exec_lo, s11
	s_delay_alu instid0(SALU_CYCLE_1) | instskip(NEXT) | instid1(SALU_CYCLE_1)
	s_and_b32 s10, exec_lo, s12
	s_or_b32 s4, s10, s4
	s_and_not1_b32 s5, s5, exec_lo
	s_and_b32 s10, s6, exec_lo
	s_delay_alu instid0(SALU_CYCLE_1)
	s_or_b32 s5, s5, s10
	s_and_not1_b32 exec_lo, exec_lo, s4
	s_cbranch_execz .LBB2_5895
.LBB2_5891:                             ; =>This Inner Loop Header: Depth=1
	s_add_co_i32 s7, s7, 1
	s_delay_alu instid0(SALU_CYCLE_1) | instskip(SKIP_1) | instid1(SALU_CYCLE_1)
	s_cmp_lg_u32 s7, 0x2710
	s_cselect_b32 s10, -1, 0
	s_and_b32 vcc_lo, exec_lo, s10
	s_cbranch_vccz .LBB2_5893
; %bb.5892:                             ;   in Loop: Header=BB2_5891 Depth=1
	s_mov_b32 s12, -1
	s_or_b32 s6, s6, exec_lo
	s_and_saveexec_b32 s11, s10
	s_cbranch_execz .LBB2_5890
	s_branch .LBB2_5894
.LBB2_5893:                             ;   in Loop: Header=BB2_5891 Depth=1
	s_trap 2
	ds_load_b64 v[2:3], v0
	s_and_not1_b32 s10, s10, exec_lo
	s_mov_b32 s7, 0
	s_wait_loadcnt_dscnt 0x0
	flat_load_b32 v2, v[2:3] scope:SCOPE_SYS
	s_wait_loadcnt_dscnt 0x0
	global_inv scope:SCOPE_SYS
	v_cmp_eq_u32_e32 vcc_lo, 0, v2
	s_and_b32 s11, vcc_lo, exec_lo
	s_delay_alu instid0(SALU_CYCLE_1)
	s_or_b32 s10, s10, s11
	s_mov_b32 s12, -1
	s_or_b32 s6, s6, exec_lo
	s_and_saveexec_b32 s11, s10
	s_cbranch_execz .LBB2_5890
.LBB2_5894:                             ;   in Loop: Header=BB2_5891 Depth=1
	s_sleep 1
	s_trap 2
	ds_load_b64 v[2:3], v0
	s_wait_dscnt 0x0
	s_and_not1_b32 s6, s6, exec_lo
	v_cmp_ge_u64_e32 vcc_lo, v[2:3], v[0:1]
	s_or_not1_b32 s12, vcc_lo, exec_lo
	s_branch .LBB2_5890
.LBB2_5895:
	s_or_b32 exec_lo, exec_lo, s4
	s_and_saveexec_b32 s4, s5
	s_delay_alu instid0(SALU_CYCLE_1)
	s_xor_b32 s4, exec_lo, s4
	s_cbranch_execz .LBB2_5897
; %bb.5896:
	v_mov_b32_e32 v0, 1
	ds_store_b32 v0, v0
	s_trap 2
.LBB2_5897:
	s_or_b32 exec_lo, exec_lo, s3
	;;#ASMSTART
	s_wakeup
	;;#ASMEND
.LBB2_5898:
	s_or_b32 exec_lo, exec_lo, s2
.LBB2_5899:
	s_and_not1_saveexec_b32 s0, s0
	s_cbranch_execz .LBB2_5901
; %bb.5900:
	global_wb scope:SCOPE_DEV
	s_wait_storecnt 0x0
	s_wait_loadcnt_dscnt 0x0
	global_inv scope:SCOPE_DEV
	s_barrier_signal -1
	s_barrier_wait -1
.LBB2_5901:
	s_or_b32 exec_lo, exec_lo, s1
.LBB2_5902:
	s_and_not1_saveexec_b32 s21, s44
	s_cbranch_execz .LBB2_5904
; %bb.5903:
	s_get_pc_i64 s[0:1]
	s_add_nc_u64 s[0:1], s[0:1], __PRETTY_FUNCTION__._ZN10PrimitivesI14__hip_fp8_e5m28FuncProdIS0_E12FanSymmetricILi1EELi0E11ProtoSimpleILi2ELi2ELi0ELi1ELi0ELi0EELi0ELb0ELi0ELi0ELi0EEC2EiiPKiS9_PKvPvmhhhP15ncclDevWorkCollP14ncclDevWorkP2pii@rel64+4
	s_get_pc_i64 s[2:3]
	s_add_nc_u64 s[2:3], s[2:3], __assert_fail@rel64+4
	v_dual_mov_b32 v0, s0 :: v_dual_mov_b32 v1, s1
	s_swap_pc_i64 s[30:31], s[2:3]
	; divergent unreachable
.LBB2_5904:
	s_or_b32 exec_lo, exec_lo, s21
	s_clause 0x2e
	scratch_load_b32 v126, off, s33
	scratch_load_b32 v125, off, s33 offset:4
	scratch_load_b32 v124, off, s33 offset:8
	;; [unrolled: 1-line block ×46, first 2 shown]
	v_readlane_b32 s30, v127, 0
	v_readlane_b32 s31, v127, 1
	s_mov_b32 s32, s33
	s_wait_xcnt 0x0
	s_or_saveexec_b32 s0, -1
	scratch_load_b32 v127, off, s33 offset:204 ; 4-byte Folded Reload
	s_wait_xcnt 0x0
	s_mov_b32 exec_lo, s0
	s_mov_b32 s33, s89
	s_wait_loadcnt_dscnt 0x0
	s_set_pc_i64 s[30:31]
.Lfunc_end2:
	.size	_ZN12_GLOBAL__N_17runRingI14__hip_fp8_e5m28FuncProdIS1_E11ProtoSimpleILi2ELi2ELi0ELi1ELi0ELi0EELi0ELi0ELi1ELi0EEEviiP15ncclDevWorkColl, .Lfunc_end2-_ZN12_GLOBAL__N_17runRingI14__hip_fp8_e5m28FuncProdIS1_E11ProtoSimpleILi2ELi2ELi0ELi1ELi0ELi0EELi0ELi0ELi1ELi0EEEviiP15ncclDevWorkColl
                                        ; -- End function
	.set .L_ZN12_GLOBAL__N_17runRingI14__hip_fp8_e5m28FuncProdIS1_E11ProtoSimpleILi2ELi2ELi0ELi1ELi0ELi0EELi0ELi0ELi1ELi0EEEviiP15ncclDevWorkColl.num_vgpr, max(128, .L__assert_fail.num_vgpr)
	.set .L_ZN12_GLOBAL__N_17runRingI14__hip_fp8_e5m28FuncProdIS1_E11ProtoSimpleILi2ELi2ELi0ELi1ELi0ELi0EELi0ELi0ELi1ELi0EEEviiP15ncclDevWorkColl.num_agpr, max(0, .L__assert_fail.num_agpr)
	.set .L_ZN12_GLOBAL__N_17runRingI14__hip_fp8_e5m28FuncProdIS1_E11ProtoSimpleILi2ELi2ELi0ELi1ELi0ELi0EELi0ELi0ELi1ELi0EEEviiP15ncclDevWorkColl.numbered_sgpr, max(90, .L__assert_fail.numbered_sgpr)
	.set .L_ZN12_GLOBAL__N_17runRingI14__hip_fp8_e5m28FuncProdIS1_E11ProtoSimpleILi2ELi2ELi0ELi1ELi0ELi0EELi0ELi0ELi1ELi0EEEviiP15ncclDevWorkColl.num_named_barrier, max(0, .L__assert_fail.num_named_barrier)
	.set .L_ZN12_GLOBAL__N_17runRingI14__hip_fp8_e5m28FuncProdIS1_E11ProtoSimpleILi2ELi2ELi0ELi1ELi0ELi0EELi0ELi0ELi1ELi0EEEviiP15ncclDevWorkColl.private_seg_size, 224+max(.L__assert_fail.private_seg_size)
	.set .L_ZN12_GLOBAL__N_17runRingI14__hip_fp8_e5m28FuncProdIS1_E11ProtoSimpleILi2ELi2ELi0ELi1ELi0ELi0EELi0ELi0ELi1ELi0EEEviiP15ncclDevWorkColl.uses_vcc, or(1, .L__assert_fail.uses_vcc)
	.set .L_ZN12_GLOBAL__N_17runRingI14__hip_fp8_e5m28FuncProdIS1_E11ProtoSimpleILi2ELi2ELi0ELi1ELi0ELi0EELi0ELi0ELi1ELi0EEEviiP15ncclDevWorkColl.uses_flat_scratch, or(1, .L__assert_fail.uses_flat_scratch)
	.set .L_ZN12_GLOBAL__N_17runRingI14__hip_fp8_e5m28FuncProdIS1_E11ProtoSimpleILi2ELi2ELi0ELi1ELi0ELi0EELi0ELi0ELi1ELi0EEEviiP15ncclDevWorkColl.has_dyn_sized_stack, or(0, .L__assert_fail.has_dyn_sized_stack)
	.set .L_ZN12_GLOBAL__N_17runRingI14__hip_fp8_e5m28FuncProdIS1_E11ProtoSimpleILi2ELi2ELi0ELi1ELi0ELi0EELi0ELi0ELi1ELi0EEEviiP15ncclDevWorkColl.has_recursion, or(1, .L__assert_fail.has_recursion)
	.set .L_ZN12_GLOBAL__N_17runRingI14__hip_fp8_e5m28FuncProdIS1_E11ProtoSimpleILi2ELi2ELi0ELi1ELi0ELi0EELi0ELi0ELi1ELi0EEEviiP15ncclDevWorkColl.has_indirect_call, or(0, .L__assert_fail.has_indirect_call)
	.section	.AMDGPU.csdata,"",@progbits
; Function info:
; codeLenInByte = 189632
; TotalNumSgprs: 92
; NumVgprs: 128
; ScratchSize: 288
; MemoryBound: 1
	.text
	.p2align	2                               ; -- Begin function _Z51ncclDevFunc_AllReduce_RING_SIMPLE_Prod_f8e5m2_0_0_1v
	.type	_Z51ncclDevFunc_AllReduce_RING_SIMPLE_Prod_f8e5m2_0_0_1v,@function
_Z51ncclDevFunc_AllReduce_RING_SIMPLE_Prod_f8e5m2_0_0_1v: ; @_Z51ncclDevFunc_AllReduce_RING_SIMPLE_Prod_f8e5m2_0_0_1v
; %bb.0:
	s_wait_loadcnt_dscnt 0x0
	s_wait_kmcnt 0x0
	s_mov_b32 s0, s33
	s_mov_b32 s33, s32
	s_or_saveexec_b32 s1, -1
	scratch_store_b32 off, v42, s33 offset:12 ; 4-byte Folded Spill
	s_wait_xcnt 0x0
	s_mov_b32 exec_lo, s1
	v_writelane_b32 v42, s0, 2
	s_add_co_i32 s32, s32, 32
	s_clause 0x2
	scratch_store_b32 off, v40, s33 offset:8
	; meta instruction
	scratch_store_b32 off, v41, s33 offset:4
	; meta instruction
	scratch_store_b32 off, v127, s33
	v_writelane_b32 v42, s30, 0
	v_writelane_b32 v42, s31, 1
	s_trap 2
	ds_load_b32 v0, v0
	s_wait_xcnt 0x2
	v_mov_b32_e32 v40, v31
	s_wait_dscnt 0x0
	v_cmp_gt_i32_e32 vcc_lo, 1, v0
	s_cbranch_vccnz .LBB3_8
; %bb.1:
	s_wait_xcnt 0x1
	v_and_b32_e32 v41, 0x3ff, v40
	s_mov_b32 s92, s12
	s_mov_b64 s[90:91], s[8:9]
	s_mov_b32 s93, 0
	s_get_pc_i64 s[94:95]
	s_add_nc_u64 s[94:95], s[94:95], _ZN12_GLOBAL__N_17runRingI14__hip_fp8_e5m28FuncProdIS1_E11ProtoSimpleILi2ELi2ELi0ELi1ELi0ELi0EELi0ELi0ELi1ELi0EEEviiP15ncclDevWorkColl@rel64+4
	s_branch .LBB3_3
.LBB3_2:                                ;   in Loop: Header=BB3_3 Depth=1
	s_or_b32 exec_lo, exec_lo, vcc_hi
	s_trap 2
	ds_load_b32 v0, v0
	s_add_co_i32 s93, s93, 1
	s_wait_dscnt 0x0
	v_cmp_lt_i32_e32 vcc_lo, s93, v0
	s_cbranch_vccz .LBB3_8
.LBB3_3:                                ; =>This Inner Loop Header: Depth=1
	s_trap 2
	ds_load_b32 v0, v0
	s_cmp_eq_u32 s93, 0
	s_cbranch_scc1 .LBB3_6
; %bb.4:                                ;   in Loop: Header=BB3_3 Depth=1
	s_trap 2
	s_wait_dscnt 0x0
	ds_load_b32 v1, v0
	s_wait_dscnt 0x0
	v_xor_b32_e32 v1, v1, v0
	s_delay_alu instid0(VALU_DEP_1) | instskip(NEXT) | instid1(VALU_DEP_1)
	v_and_b32_e32 v1, 0xff0000, v1
	v_cmp_eq_u32_e32 vcc_lo, 0, v1
	s_cbranch_vccnz .LBB3_6
; %bb.5:                                ;   in Loop: Header=BB3_3 Depth=1
	s_wait_storecnt 0x0
	s_barrier_signal -1
	s_barrier_wait -1
	ds_load_b32 v0, v0
.LBB3_6:                                ;   in Loop: Header=BB3_3 Depth=1
	s_wait_dscnt 0x0
	v_lshrrev_b32_e32 v0, 11, v0
	s_mov_b32 vcc_hi, exec_lo
	s_delay_alu instid0(VALU_DEP_1) | instskip(SKIP_1) | instid1(VALU_DEP_1)
	v_and_b32_e32 v1, 0x1fe0, v0
	s_wait_xcnt 0x0
	v_cmpx_lt_u32_e64 v41, v1
	s_cbranch_execz .LBB3_2
; %bb.7:                                ;   in Loop: Header=BB3_3 Depth=1
	s_mov_b64 s[0:1], src_shared_base
	v_dual_mov_b32 v31, v40 :: v_dual_mov_b32 v0, v41
	v_mov_b32_e32 v3, s1
	s_mov_b64 s[8:9], s[90:91]
	s_mov_b32 s12, s92
	s_swap_pc_i64 s[30:31], s[94:95]
	s_branch .LBB3_2
.LBB3_8:
	s_clause 0x2
	scratch_load_b32 v127, off, s33
	scratch_load_b32 v41, off, s33 offset:4
	scratch_load_b32 v40, off, s33 offset:8
	v_readlane_b32 s30, v42, 0
	v_readlane_b32 s31, v42, 1
	s_mov_b32 s32, s33
	v_readlane_b32 s0, v42, 2
	s_wait_xcnt 0x0
	s_or_saveexec_b32 s1, -1
	scratch_load_b32 v42, off, s33 offset:12 ; 4-byte Folded Reload
	s_wait_xcnt 0x0
	s_mov_b32 exec_lo, s1
	s_mov_b32 s33, s0
	s_wait_loadcnt 0x0
	s_set_pc_i64 s[30:31]
.Lfunc_end3:
	.size	_Z51ncclDevFunc_AllReduce_RING_SIMPLE_Prod_f8e5m2_0_0_1v, .Lfunc_end3-_Z51ncclDevFunc_AllReduce_RING_SIMPLE_Prod_f8e5m2_0_0_1v
                                        ; -- End function
	.set .L_Z51ncclDevFunc_AllReduce_RING_SIMPLE_Prod_f8e5m2_0_0_1v.num_vgpr, max(128, .L_ZN12_GLOBAL__N_17runRingI14__hip_fp8_e5m28FuncProdIS1_E11ProtoSimpleILi2ELi2ELi0ELi1ELi0ELi0EELi0ELi0ELi1ELi0EEEviiP15ncclDevWorkColl.num_vgpr)
	.set .L_Z51ncclDevFunc_AllReduce_RING_SIMPLE_Prod_f8e5m2_0_0_1v.num_agpr, max(0, .L_ZN12_GLOBAL__N_17runRingI14__hip_fp8_e5m28FuncProdIS1_E11ProtoSimpleILi2ELi2ELi0ELi1ELi0ELi0EELi0ELi0ELi1ELi0EEEviiP15ncclDevWorkColl.num_agpr)
	.set .L_Z51ncclDevFunc_AllReduce_RING_SIMPLE_Prod_f8e5m2_0_0_1v.numbered_sgpr, max(96, .L_ZN12_GLOBAL__N_17runRingI14__hip_fp8_e5m28FuncProdIS1_E11ProtoSimpleILi2ELi2ELi0ELi1ELi0ELi0EELi0ELi0ELi1ELi0EEEviiP15ncclDevWorkColl.numbered_sgpr)
	.set .L_Z51ncclDevFunc_AllReduce_RING_SIMPLE_Prod_f8e5m2_0_0_1v.num_named_barrier, max(0, .L_ZN12_GLOBAL__N_17runRingI14__hip_fp8_e5m28FuncProdIS1_E11ProtoSimpleILi2ELi2ELi0ELi1ELi0ELi0EELi0ELi0ELi1ELi0EEEviiP15ncclDevWorkColl.num_named_barrier)
	.set .L_Z51ncclDevFunc_AllReduce_RING_SIMPLE_Prod_f8e5m2_0_0_1v.private_seg_size, 32+max(.L_ZN12_GLOBAL__N_17runRingI14__hip_fp8_e5m28FuncProdIS1_E11ProtoSimpleILi2ELi2ELi0ELi1ELi0ELi0EELi0ELi0ELi1ELi0EEEviiP15ncclDevWorkColl.private_seg_size)
	.set .L_Z51ncclDevFunc_AllReduce_RING_SIMPLE_Prod_f8e5m2_0_0_1v.uses_vcc, or(1, .L_ZN12_GLOBAL__N_17runRingI14__hip_fp8_e5m28FuncProdIS1_E11ProtoSimpleILi2ELi2ELi0ELi1ELi0ELi0EELi0ELi0ELi1ELi0EEEviiP15ncclDevWorkColl.uses_vcc)
	.set .L_Z51ncclDevFunc_AllReduce_RING_SIMPLE_Prod_f8e5m2_0_0_1v.uses_flat_scratch, or(1, .L_ZN12_GLOBAL__N_17runRingI14__hip_fp8_e5m28FuncProdIS1_E11ProtoSimpleILi2ELi2ELi0ELi1ELi0ELi0EELi0ELi0ELi1ELi0EEEviiP15ncclDevWorkColl.uses_flat_scratch)
	.set .L_Z51ncclDevFunc_AllReduce_RING_SIMPLE_Prod_f8e5m2_0_0_1v.has_dyn_sized_stack, or(0, .L_ZN12_GLOBAL__N_17runRingI14__hip_fp8_e5m28FuncProdIS1_E11ProtoSimpleILi2ELi2ELi0ELi1ELi0ELi0EELi0ELi0ELi1ELi0EEEviiP15ncclDevWorkColl.has_dyn_sized_stack)
	.set .L_Z51ncclDevFunc_AllReduce_RING_SIMPLE_Prod_f8e5m2_0_0_1v.has_recursion, or(1, .L_ZN12_GLOBAL__N_17runRingI14__hip_fp8_e5m28FuncProdIS1_E11ProtoSimpleILi2ELi2ELi0ELi1ELi0ELi0EELi0ELi0ELi1ELi0EEEviiP15ncclDevWorkColl.has_recursion)
	.set .L_Z51ncclDevFunc_AllReduce_RING_SIMPLE_Prod_f8e5m2_0_0_1v.has_indirect_call, or(0, .L_ZN12_GLOBAL__N_17runRingI14__hip_fp8_e5m28FuncProdIS1_E11ProtoSimpleILi2ELi2ELi0ELi1ELi0ELi0EELi0ELi0ELi1ELi0EEEviiP15ncclDevWorkColl.has_indirect_call)
	.section	.AMDGPU.csdata,"",@progbits
; Function info:
; codeLenInByte = 480
; TotalNumSgprs: 98
; NumVgprs: 128
; ScratchSize: 320
; MemoryBound: 0
	.text
	.p2align	2                               ; -- Begin function _ZN12_GLOBAL__N_17runRingI14__hip_fp8_e5m28FuncProdIS1_E11ProtoSimpleILi2ELi2ELi0ELi2ELi0ELi0EELi0ELi0ELi2ELi0EEEviiP15ncclDevWorkColl
	.type	_ZN12_GLOBAL__N_17runRingI14__hip_fp8_e5m28FuncProdIS1_E11ProtoSimpleILi2ELi2ELi0ELi2ELi0ELi0EELi0ELi0ELi2ELi0EEEviiP15ncclDevWorkColl,@function
_ZN12_GLOBAL__N_17runRingI14__hip_fp8_e5m28FuncProdIS1_E11ProtoSimpleILi2ELi2ELi0ELi2ELi0ELi0EELi0ELi0ELi2ELi0EEEviiP15ncclDevWorkColl: ; @_ZN12_GLOBAL__N_17runRingI14__hip_fp8_e5m28FuncProdIS1_E11ProtoSimpleILi2ELi2ELi0ELi2ELi0ELi0EELi0ELi0ELi2ELi0EEEviiP15ncclDevWorkColl
; %bb.0:
	s_wait_loadcnt_dscnt 0x0
	s_wait_kmcnt 0x0
	s_mov_b32 s89, s33
	s_mov_b32 s33, s32
	s_or_saveexec_b32 s0, -1
	scratch_store_b32 off, v127, s33 offset:328 ; 4-byte Folded Spill
	s_wait_xcnt 0x0
	s_mov_b32 exec_lo, s0
	s_addk_co_i32 s32, 0x150
	s_clause 0x2e
	scratch_store_b32 off, v40, s33 offset:184
	; meta instruction
	scratch_store_b32 off, v41, s33 offset:180
	; meta instruction
	;; [unrolled: 2-line block ×46, first 2 shown]
	scratch_store_b32 off, v126, s33
	v_writelane_b32 v127, s30, 0
	v_writelane_b32 v127, s31, 1
	v_mov_b32_e32 v19, v1
	s_trap 2
	flat_load_b32 v1, v[2:3]
	ds_load_b32 v6, v0
	s_mov_b32 s0, exec_lo
                                        ; implicit-def: $vgpr4_vgpr5
                                        ; implicit-def: $vgpr10_vgpr11
                                        ; kill: killed $vgpr10_vgpr11
                                        ; implicit-def: $vgpr20_vgpr21
	s_wait_dscnt 0x0
	v_readfirstlane_b32 s16, v6
	s_wait_loadcnt 0x0
	v_and_b32_e32 v8, 0xff, v1
	s_wait_xcnt 0x0
	s_delay_alu instid0(VALU_DEP_1)
	v_cmpx_ne_u32_e64 v6, v8
	s_xor_b32 s0, exec_lo, s0
	s_cbranch_execz .LBB4_6
; %bb.1:
	v_bfe_u32 v7, v1, 8, 8
	v_not_b32_e32 v1, v8
	s_mov_b32 s1, exec_lo
                                        ; implicit-def: $vgpr4_vgpr5
                                        ; implicit-def: $vgpr8_vgpr9
                                        ; kill: killed $vgpr8_vgpr9
                                        ; implicit-def: $vgpr20_vgpr21
	s_delay_alu instid0(VALU_DEP_2)
	v_cmpx_ne_u32_e64 v6, v7
	s_xor_b32 s1, exec_lo, s1
	s_cbranch_execz .LBB4_3
; %bb.2:
	s_clause 0x1
	flat_load_b128 v[8:11], v[2:3] offset:72
	flat_load_b64 v[4:5], v[2:3] offset:96
	v_add_nc_u32_e32 v1, v6, v1
                                        ; implicit-def: $vgpr7
	s_wait_loadcnt_dscnt 0x101
	s_delay_alu instid0(VALU_DEP_1) | instskip(SKIP_3) | instid1(VALU_DEP_3)
	v_mad_nc_u64_u32 v[8:9], v10, v1, v[8:9]
	s_wait_loadcnt_dscnt 0x0
	v_lshrrev_b64 v[4:5], 12, v[4:5]
	v_mov_b64_e32 v[20:21], v[10:11]
	v_mad_u32 v6, v11, v1, v9
	v_ashrrev_i32_e32 v1, 31, v1
	s_delay_alu instid0(VALU_DEP_1)
	v_mad_u32 v9, v10, v1, v6
                                        ; implicit-def: $vgpr1
	scratch_store_b64 off, v[8:9], s33 offset:276 ; 8-byte Folded Spill
.LBB4_3:
	s_wait_xcnt 0x0
	s_and_not1_saveexec_b32 s1, s1
	s_cbranch_execz .LBB4_5
; %bb.4:
	s_clause 0x1
	flat_load_b128 v[8:11], v[2:3] offset:72
	flat_load_b128 v[20:23], v[2:3] offset:88
	v_add_nc_u32_e32 v1, v7, v1
	s_wait_loadcnt_dscnt 0x101
	s_delay_alu instid0(VALU_DEP_1) | instskip(NEXT) | instid1(VALU_DEP_1)
	v_mad_nc_u64_u32 v[6:7], v10, v1, v[8:9]
	v_mad_u32 v4, v11, v1, v7
	v_ashrrev_i32_e32 v1, 31, v1
	s_delay_alu instid0(VALU_DEP_1)
	v_mad_u32 v7, v10, v1, v4
	s_wait_loadcnt_dscnt 0x0
	v_lshrrev_b32_e32 v4, 1, v23
	scratch_store_b64 off, v[6:7], s33 offset:276 ; 8-byte Folded Spill
.LBB4_5:
	s_wait_xcnt 0x0
	s_or_b32 exec_lo, exec_lo, s1
.LBB4_6:
	s_and_not1_saveexec_b32 s0, s0
	s_cbranch_execz .LBB4_8
; %bb.7:
	s_clause 0x1
	flat_load_b64 v[4:5], v[2:3] offset:96
	flat_load_b64 v[20:21], v[2:3] offset:72
	v_mov_b64_e32 v[6:7], 0
	scratch_store_b64 off, v[6:7], s33 offset:276 ; 8-byte Folded Spill
	s_wait_loadcnt_dscnt 0x101
	v_lshlrev_b64_e32 v[4:5], 9, v[4:5]
.LBB4_8:
	s_wait_xcnt 0x0
	s_or_b32 exec_lo, exec_lo, s0
	s_trap 2
	ds_load_b64 v[6:7], v0
	s_mov_b32 s1, 0
	s_mov_b32 s2, exec_lo
	s_wait_dscnt 0x0
	v_cmp_ne_u32_e32 vcc_lo, -1, v6
	v_cndmask_b32_e64 v1, 0, 1, vcc_lo
	v_cmp_ne_u32_e32 vcc_lo, -1, v7
	s_delay_alu instid0(VALU_DEP_2) | instskip(NEXT) | instid1(VALU_DEP_1)
	v_add_co_ci_u32_e64 v8, null, 0, v1, vcc_lo
	v_lshlrev_b32_e32 v5, 1, v8
	s_delay_alu instid0(VALU_DEP_1)
	v_cmpx_le_u32_e64 v5, v19
	s_xor_b32 s44, exec_lo, s2
	s_cbranch_execnz .LBB4_9
; %bb.9073:
	s_add_pc_i64 .LBB4_9066-.Lpost_addpc7
.Lpost_addpc7:
.LBB4_9:
	s_clause 0x3
	flat_load_b128 v[10:13], v[2:3] offset:16
	flat_load_b64 v[14:15], v[2:3] offset:104
	flat_load_u16 v7, v[2:3] offset:8
	flat_load_b32 v6, v[2:3] offset:4
	s_trap 2
	s_load_b32 s0, s[8:9], 0x0
	s_bfe_u32 s2, ttmp6, 0x4000c
	s_and_b32 s3, ttmp6, 15
	s_add_co_i32 s2, s2, 1
	s_getreg_b32 s4, hwreg(HW_REG_IB_STS2, 6, 4)
	s_mul_i32 s2, ttmp9, s2
	v_dual_mov_b32 v5, 0 :: v_dual_mov_b32 v126, 4
	s_add_co_i32 s3, s3, s2
	s_cmp_eq_u32 s4, 0
	ds_load_b32 v9, v0
	s_cselect_b32 s2, ttmp9, s3
	s_wait_kmcnt 0x0
	s_cmp_lt_u32 s2, s0
	s_cselect_b32 s0, 12, 18
	s_delay_alu instid0(SALU_CYCLE_1)
	s_add_nc_u64 s[0:1], s[8:9], s[0:1]
	global_load_u16 v5, v5, s[0:1]
	s_wait_xcnt 0x0
	s_mov_b32 s1, exec_lo
	s_wait_dscnt 0x0
	v_readfirstlane_b32 s7, v9
	v_cmpx_ge_i32_e64 v0, v1
	s_cbranch_execz .LBB4_19
; %bb.10:
	v_cmp_ge_u32_e64 s0, v0, v8
                                        ; implicit-def: $vgpr126
	s_and_saveexec_b32 s2, s0
	s_delay_alu instid0(SALU_CYCLE_1)
	s_xor_b32 s0, exec_lo, s2
	s_cbranch_execz .LBB4_16
; %bb.11:
	v_cndmask_b32_e64 v9, 0, 1, vcc_lo
	s_mov_b32 s2, exec_lo
	s_delay_alu instid0(VALU_DEP_1) | instskip(NEXT) | instid1(VALU_DEP_1)
	v_sub_nc_u32_e32 v9, v19, v9
	v_cmpx_ge_u32_e64 v0, v9
	s_xor_b32 s2, exec_lo, s2
; %bb.12:
                                        ; implicit-def: $vgpr8
; %bb.13:
	s_delay_alu instid0(SALU_CYCLE_1)
	s_or_saveexec_b32 s2, s2
	v_mov_b32_e32 v126, 16
	s_xor_b32 exec_lo, exec_lo, s2
; %bb.14:
	v_sub_nc_u32_e32 v8, v19, v8
	s_delay_alu instid0(VALU_DEP_1)
	v_cmp_lt_i32_e32 vcc_lo, v0, v8
	v_cndmask_b32_e64 v126, 32, 0, vcc_lo
; %bb.15:
	s_or_b32 exec_lo, exec_lo, s2
.LBB4_16:
	s_and_not1_saveexec_b32 s0, s0
; %bb.17:
	v_mov_b32_e32 v126, 8
; %bb.18:
	s_or_b32 exec_lo, exec_lo, s0
.LBB4_19:
	s_delay_alu instid0(SALU_CYCLE_1) | instskip(NEXT) | instid1(VALU_DEP_1)
	s_or_b32 exec_lo, exec_lo, s1
	v_dual_mov_b32 v16, -1 :: v_dual_bitop2_b32 v8, 36, v126 bitop3:0x40
	s_delay_alu instid0(VALU_DEP_1)
	v_cmp_ne_u32_e32 vcc_lo, 0, v8
	s_and_saveexec_b32 s0, vcc_lo
	s_cbranch_execz .LBB4_21
; %bb.20:
	s_trap 2
	ds_load_b32 v16, v0
.LBB4_21:
	s_or_b32 exec_lo, exec_lo, s0
	v_and_b32_e32 v8, 24, v126
	s_mov_b32 s1, exec_lo
	s_delay_alu instid0(VALU_DEP_1)
	v_cmpx_ne_u32_e32 0, v8
	s_cbranch_execz .LBB4_23
; %bb.22:
	s_trap 2
	s_wait_dscnt 0x0
	ds_load_b32 v16, v0
.LBB4_23:
	s_or_b32 exec_lo, exec_lo, s1
	s_wait_loadcnt 0x1
	v_lshrrev_b64 v[8:9], 31, v[6:7]
	v_mov_b64_e32 v[22:23], 0
	v_mov_b64_e32 v[6:7], 0
                                        ; implicit-def: $vgpr34
                                        ; implicit-def: $vgpr114_vgpr115
                                        ; implicit-def: $vgpr36_vgpr37
                                        ; implicit-def: $vgpr50_vgpr51
                                        ; implicit-def: $vgpr32_vgpr33
	s_delay_alu instid0(VALU_DEP_3)
	v_and_b32_e32 v17, 3, v8
                                        ; implicit-def: $vgpr8_vgpr9
                                        ; kill: killed $vgpr8_vgpr9
	s_and_saveexec_b32 s0, vcc_lo
	s_cbranch_execz .LBB4_33
; %bb.24:
	s_trap 2
	ds_load_b64 v[6:7], v0
	v_and_b32_e32 v8, 0xffff, v17
	s_wait_dscnt 0x0
	v_readfirstlane_b32 s2, v6
	v_readfirstlane_b32 s3, v7
	flat_load_b64 v[6:7], v16, s[2:3] scale_offset
	s_wait_loadcnt_dscnt 0x0
	v_mad_nc_u64_u32 v[8:9], 0xa8, v8, v[6:7]
	flat_load_b32 v6, v[8:9] offset:640
	s_wait_loadcnt_dscnt 0x0
	v_cmp_eq_u32_e32 vcc_lo, 1, v6
                                        ; implicit-def: $vgpr6_vgpr7
                                        ; kill: killed $vgpr6_vgpr7
	s_wait_xcnt 0x0
	s_and_saveexec_b32 s1, vcc_lo
	s_cbranch_execz .LBB4_26
; %bb.25:
	flat_load_b64 v[22:23], v[8:9] offset:648
	v_or_b32_e32 v126, 0x2000, v126
	s_wait_loadcnt_dscnt 0x0
	flat_load_b64 v[6:7], v[22:23]
	s_trap 2
	scratch_store_b64 off, v[22:23], s33 offset:320 ; 8-byte Folded Spill
	s_wait_loadcnt_dscnt 0x0
	ds_store_b64 v0, v[6:7]
	flat_load_b64 v[6:7], v[22:23] offset:8
	s_wait_loadcnt_dscnt 0x0
	ds_store_b64 v0, v[6:7]
	flat_load_b64 v[6:7], v[22:23] offset:16
	s_wait_loadcnt_dscnt 0x0
	ds_store_b64 v0, v[6:7]
.LBB4_26:
	s_wait_xcnt 0x0
	s_or_b32 exec_lo, exec_lo, s1
	flat_load_b64 v[6:7], v[8:9] offset:608
	s_mov_b32 s1, exec_lo
                                        ; implicit-def: $vgpr32_vgpr33
	s_wait_loadcnt_dscnt 0x0
	v_add_nc_u64_e32 v[114:115], 3, v[6:7]
	v_and_b32_e32 v6, 32, v126
	s_delay_alu instid0(VALU_DEP_2) | instskip(SKIP_1) | instid1(VALU_DEP_2)
	v_and_b32_e32 v114, -4, v114
	s_wait_xcnt 0x0
	v_cmpx_ne_u32_e32 0, v6
	s_cbranch_execz .LBB4_28
; %bb.27:
	flat_load_b64 v[32:33], v[8:9] offset:560
	global_wb scope:SCOPE_SYS
	s_wait_storecnt 0x0
	s_wait_xcnt 0x0
	s_wait_loadcnt_dscnt 0x0
	flat_store_b64 v[32:33], v[114:115] scope:SCOPE_SYS
.LBB4_28:
	s_wait_xcnt 0x0
	s_or_b32 exec_lo, exec_lo, s1
	v_add_nc_u64_e32 v[22:23], 0x1f8, v[8:9]
	v_mov_b64_e32 v[6:7], 0
	v_and_b32_e32 v18, 4, v126
	s_mov_b32 s1, exec_lo
                                        ; implicit-def: $vgpr34
                                        ; implicit-def: $vgpr36_vgpr37
                                        ; implicit-def: $vgpr50_vgpr51
	s_delay_alu instid0(VALU_DEP_1)
	v_cmpx_ne_u32_e32 0, v18
	s_cbranch_execz .LBB4_32
; %bb.29:
	v_and_b32_e32 v6, 0x800, v126
	s_mov_b32 s2, exec_lo
	s_delay_alu instid0(VALU_DEP_1)
	v_cmpx_eq_u32_e32 0, v6
	s_cbranch_execz .LBB4_31
; %bb.30:
	s_trap 2
	ds_store_b64 v0, v[22:23]
.LBB4_31:
	s_or_b32 exec_lo, exec_lo, s2
	flat_load_b64 v[32:33], v[8:9] offset:552
	s_wait_loadcnt_dscnt 0x0
	flat_load_b64 v[50:51], v[32:33] scope:SCOPE_SYS
	s_clause 0x2
	flat_load_b64 v[6:7], v[8:9] offset:600
	flat_load_b32 v34, v[8:9] offset:576
	flat_load_b64 v[36:37], v[8:9] offset:520
	s_wait_xcnt 0x0
	v_or_b32_e32 v8, 0x100, v126
	s_wait_loadcnt_dscnt 0x202
	v_cmp_eq_u64_e32 vcc_lo, 0, v[6:7]
	s_delay_alu instid0(VALU_DEP_2)
	v_cndmask_b32_e32 v126, v8, v126, vcc_lo
.LBB4_32:
	s_or_b32 exec_lo, exec_lo, s1
.LBB4_33:
	s_delay_alu instid0(SALU_CYCLE_1) | instskip(NEXT) | instid1(VALU_DEP_1)
	s_or_b32 exec_lo, exec_lo, s0
	v_and_b32_e32 v8, 24, v126
	s_mov_b32 s0, exec_lo
                                        ; implicit-def: $vgpr38_vgpr39
	s_delay_alu instid0(VALU_DEP_1)
	v_cmpx_ne_u32_e32 0, v8
	s_cbranch_execz .LBB4_41
; %bb.34:
	s_trap 2
	ds_load_b64 v[6:7], v0
	v_and_b32_e32 v8, 0xffff, v17
	s_mov_b32 s1, exec_lo
                                        ; implicit-def: $vgpr38_vgpr39
	s_wait_dscnt 0x0
	v_readfirstlane_b32 s2, v6
	v_readfirstlane_b32 s3, v7
	flat_load_b64 v[6:7], v16, s[2:3] scale_offset
	s_wait_xcnt 0x0
	v_or_b32_e32 v16, 0x100, v126
	s_wait_loadcnt_dscnt 0x0
	v_mad_nc_u64_u32 v[22:23], 0xa8, v8, v[6:7]
	flat_load_b128 v[6:9], v[22:23] offset:96
	s_wait_loadcnt_dscnt 0x0
	v_cmp_eq_u64_e32 vcc_lo, 0, v[6:7]
	v_cndmask_b32_e32 v126, v16, v126, vcc_lo
	s_delay_alu instid0(VALU_DEP_1) | instskip(SKIP_1) | instid1(VALU_DEP_1)
	v_and_b32_e32 v16, 16, v126
	s_wait_xcnt 0x0
	v_cmpx_ne_u32_e32 0, v16
	s_cbranch_execz .LBB4_36
; %bb.35:
	s_clause 0x2
	flat_load_b64 v[32:33], v[22:23] offset:48
	flat_load_b64 v[38:39], v[22:23] offset:120
	;; [unrolled: 1-line block ×3, first 2 shown]
.LBB4_36:
	s_wait_xcnt 0x0
	s_or_b32 exec_lo, exec_lo, s1
	v_add_nc_u64_e32 v[114:115], 3, v[8:9]
	v_and_b32_e32 v8, 8, v126
	s_mov_b32 s1, exec_lo
	s_delay_alu instid0(VALU_DEP_2) | instskip(NEXT) | instid1(VALU_DEP_2)
	v_and_b32_e32 v114, -4, v114
	v_cmpx_ne_u32_e32 0, v8
	s_cbranch_execz .LBB4_40
; %bb.37:
	v_and_b32_e32 v8, 0x800, v126
	s_mov_b32 s2, exec_lo
	s_delay_alu instid0(VALU_DEP_1)
	v_cmpx_eq_u32_e32 0, v8
	s_cbranch_execz .LBB4_39
; %bb.38:
	s_trap 2
	ds_store_b64 v0, v[22:23]
.LBB4_39:
	s_or_b32 exec_lo, exec_lo, s2
	s_wait_loadcnt_dscnt 0x202
	flat_load_b64 v[32:33], v[22:23] offset:56
	s_wait_loadcnt_dscnt 0x0
	flat_load_b64 v[50:51], v[32:33] scope:SCOPE_SYS
	s_clause 0x1
	flat_load_b32 v34, v[22:23] offset:72
	flat_load_b64 v[36:37], v[22:23] offset:16
.LBB4_40:
	s_wait_xcnt 0x0
	s_or_b32 exec_lo, exec_lo, s1
.LBB4_41:
	s_delay_alu instid0(SALU_CYCLE_1)
	s_or_b32 exec_lo, exec_lo, s0
	v_cmp_eq_u32_e64 s0, 0, v0
	s_and_saveexec_b32 s1, s0
	s_cbranch_execz .LBB4_43
; %bb.42:
	flat_load_b64 v[8:9], v[2:3] offset:32
	ds_store_2addr_b64 v0, v[12:13], v[10:11] offset1:1
	s_trap 2
	s_wait_loadcnt_dscnt 0x1
	ds_store_b64 v0, v[8:9]
	ds_store_b64 v0, v[14:15]
.LBB4_43:
	s_wait_xcnt 0x0
	s_or_b32 exec_lo, exec_lo, s1
	v_mov_b64_e32 v[48:49], 0
	s_wait_loadcnt 0x0
	v_and_b32_e32 v8, 0xffff, v5
	s_mov_b32 s45, exec_lo
	v_cmpx_lt_i64_e32 0, v[20:21]
	s_cbranch_execnz .LBB4_44
; %bb.9075:
	s_add_pc_i64 .LBB4_9032-.Lpost_addpc8
.Lpost_addpc8:
.LBB4_44:
	flat_load_b32 v2, v[2:3] offset:4
	s_wait_xcnt 0x0
	v_mov_b32_e32 v3, 0
	v_and_b32_e32 v10, 0x3ffffe00, v4
	s_ashr_i32 s17, s16, 31
	s_add_co_i32 s46, s16, s16
	s_not_b32 s6, s16
	v_dual_ashrrev_i32 v5, 31, v0 :: v_dual_bitop2_b32 v4, 31, v31 bitop3:0x40
	v_mov_b32_e32 v64, 1
	s_cmp_gt_i32 s16, 0
	v_dual_mov_b32 v112, 0x7f800000 :: v_dual_mov_b32 v11, v3
	s_cselect_b32 s6, s6, -1
	v_and_b32_e32 v54, 0x1fe0, v19
	v_mov_b32_e32 v65, 0x90
	s_add_co_i32 s26, s6, s46
	v_cmp_eq_u32_e64 s6, 0, v4
	v_lshrrev_b32_e32 v4, 27, v5
	v_mul_u64_e32 v[42:43], s[16:17], v[10:11]
	s_wait_dscnt 0x2
	v_dual_ashrrev_i32 v35, 31, v34 :: v_dual_lshrrev_b32 v52, 5, v19
	v_subrev_nc_u32_e32 v82, 32, v54
	v_dual_mov_b32 v69, v3 :: v_dual_add_nc_u32 v4, v0, v4
	s_clause 0x2
	scratch_store_b64 off, v[22:23], s33 offset:308
	scratch_store_b32 off, v8, s33 offset:316
	scratch_store_b32 off, v31, s33 offset:304
	v_dual_lshlrev_b32 v70, 9, v52 :: v_dual_ashrrev_i32 v83, 31, v82
	v_and_b32_e32 v5, 0xffffffe0, v4
	v_ashrrev_i32_e32 v119, 5, v4
	v_cmp_ne_u32_e64 s3, v19, v8
	s_delay_alu instid0(VALU_DEP_4)
	v_add_nc_u32_e32 v86, 0xfffffe00, v70
	s_ashr_i32 s10, s7, 31
	s_wait_xcnt 0x1
	v_dual_sub_nc_u32 v8, v0, v5 :: v_dual_lshlrev_b32 v4, 11, v119
	s_lshr_b32 s10, s10, 25
	v_ashrrev_i32_e32 v87, 31, v86
	s_add_co_i32 s7, s7, s10
	s_ashr_i32 s27, s26, 31
	v_lshl_add_u32 v98, v8, 4, v4
	s_ashr_i32 s47, s7, 7
	s_cmp_gt_i32 s16, 2
	v_cmp_ge_i32_e32 vcc_lo, v0, v19
	s_cselect_b32 s56, -1, 0
	s_add_co_i32 s13, s16, 1
	v_mov_b64_e32 v[60:61], 0
	v_cmp_eq_u64_e64 s4, 0, v[38:39]
	v_cmp_ne_u64_e64 s5, 0, v[38:39]
	v_mov_b64_e32 v[40:41], 0
	v_mov_b64_e32 v[48:49], 0
	v_add_nc_u64_e32 v[96:97], 32, v[82:83]
	v_add_nc_u64_e32 v[62:63], 0x200, v[86:87]
	v_cmp_eq_u32_e64 s1, 32, v19
	v_cmp_ne_u32_e64 s2, 32, v19
	v_dual_mov_b32 v113, 0x7c :: v_dual_lshlrev_b32 v68, 11, v52
	v_dual_mov_b32 v118, 0x88 :: v_dual_mov_b32 v53, v3
	v_dual_mov_b32 v71, v3 :: v_dual_mov_b32 v55, v3
	v_dual_mov_b32 v81, v3 :: v_dual_lshlrev_b32 v80, 10, v52
	v_cmp_gt_i32_e64 s7, 1, v8
	v_cmp_lt_i32_e64 s11, v8, v1
	v_cmp_le_i32_e64 s12, v8, v1
	s_mov_b32 s19, 0
	s_mov_b64 s[20:21], 0xffffffff
	s_mov_b64 s[22:23], 0xffffffffffffff
	s_add_nc_u64 s[24:25], s[16:17], -1
	s_mov_b32 s61, 0
	v_dual_lshlrev_b32 v5, 10, v119 :: v_dual_ashrrev_i32 v99, 31, v98
	scratch_store_b32 off, v8, s33 offset:196 ; 4-byte Folded Spill
	v_sub_nc_u32_e32 v4, v98, v5
	s_delay_alu instid0(VALU_DEP_1)
	v_ashrrev_i32_e32 v5, 31, v4
	s_clause 0x2
	scratch_store_b64 off, v[10:11], s33 offset:208
	scratch_store_b32 off, v19, s33 offset:300
	scratch_store_b64 off, v[4:5], s33 offset:216
	s_trap 2
	s_clause 0x1
	scratch_store_b64 off, v[42:43], s33 offset:240
	scratch_store_b128 off, v[20:23], s33 offset:284
	s_wait_loadcnt_dscnt 0x0
	v_and_b32_e32 v2, 1, v2
	s_delay_alu instid0(VALU_DEP_1)
	v_cmp_eq_u32_e64 s10, 1, v2
	s_xor_b32 s57, s10, -1
	s_cmp_ge_i32 s13, s16
	s_cselect_b32 s14, s16, 0
	s_add_co_i32 s58, s16, -2
	s_sub_co_i32 s40, s13, s14
	s_xor_b32 s59, vcc_lo, -1
	s_ashr_i32 s28, s17, 31
	s_sub_co_i32 s60, 0, s16
	s_ashr_i32 s41, s40, 31
	s_branch .LBB4_47
.LBB4_45:                               ;   in Loop: Header=BB4_47 Depth=1
	s_or_b32 exec_lo, exec_lo, s15
.LBB4_46:                               ;   in Loop: Header=BB4_47 Depth=1
	s_delay_alu instid0(SALU_CYCLE_1) | instskip(SKIP_4) | instid1(VALU_DEP_1)
	s_or_b32 exec_lo, exec_lo, s14
	scratch_load_b128 v[20:23], off, s33 offset:284 ; 16-byte Folded Reload
	s_wait_loadcnt 0x1
	v_add_nc_u64_e32 v[40:41], v[40:41], v[42:43]
	s_wait_loadcnt 0x0
	v_cmp_ge_i64_e32 vcc_lo, v[40:41], v[20:21]
	s_or_b32 s61, vcc_lo, s61
	s_wait_xcnt 0x0
	s_and_not1_b32 exec_lo, exec_lo, s61
	s_cbranch_execnz .LBB4_47
; %bb.9077:
	s_add_pc_i64 .LBB4_9031-.Lpost_addpc9
.Lpost_addpc9:
.LBB4_47:                               ; =>This Loop Header: Depth=1
                                        ;     Child Loop BB4_57 Depth 2
                                        ;       Child Loop BB4_65 Depth 3
                                        ;       Child Loop BB4_89 Depth 3
	;; [unrolled: 1-line block ×9, first 2 shown]
                                        ;     Child Loop BB4_199 Depth 2
                                        ;       Child Loop BB4_205 Depth 3
                                        ;       Child Loop BB4_229 Depth 3
	;; [unrolled: 1-line block ×3, first 2 shown]
                                        ;     Child Loop BB4_271 Depth 2
                                        ;       Child Loop BB4_274 Depth 3
                                        ;         Child Loop BB4_282 Depth 4
                                        ;         Child Loop BB4_310 Depth 4
	;; [unrolled: 1-line block ×9, first 2 shown]
                                        ;       Child Loop BB4_3024 Depth 3
                                        ;         Child Loop BB4_3030 Depth 4
                                        ;         Child Loop BB4_3058 Depth 4
                                        ;         Child Loop BB4_3077 Depth 4
                                        ;     Child Loop BB4_3099 Depth 2
                                        ;       Child Loop BB4_3107 Depth 3
                                        ;       Child Loop BB4_3135 Depth 3
                                        ;       Child Loop BB4_3154 Depth 3
                                        ;       Child Loop BB4_3183 Depth 3
                                        ;       Child Loop BB4_4466 Depth 3
                                        ;         Child Loop BB4_5019 Depth 4
                                        ;       Child Loop BB4_5054 Depth 3
                                        ;       Child Loop BB4_5761 Depth 3
                                        ;         Child Loop BB4_5806 Depth 4
                                        ;       Child Loop BB4_5820 Depth 3
                                        ;       Child Loop BB4_7105 Depth 3
	;; [unrolled: 1-line block ×6, first 2 shown]
                                        ;     Child Loop BB4_8488 Depth 2
                                        ;       Child Loop BB4_8494 Depth 3
                                        ;       Child Loop BB4_8522 Depth 3
	;; [unrolled: 1-line block ×3, first 2 shown]
                                        ;     Child Loop BB4_8563 Depth 2
                                        ;       Child Loop BB4_8566 Depth 3
                                        ;         Child Loop BB4_8574 Depth 4
                                        ;         Child Loop BB4_8602 Depth 4
	;; [unrolled: 1-line block ×5, first 2 shown]
                                        ;           Child Loop BB4_8654 Depth 5
                                        ;         Child Loop BB4_8663 Depth 4
                                        ;         Child Loop BB4_8668 Depth 4
                                        ;           Child Loop BB4_8669 Depth 5
                                        ;         Child Loop BB4_8681 Depth 4
                                        ;         Child Loop BB4_8686 Depth 4
                                        ;         Child Loop BB4_8694 Depth 4
                                        ;         Child Loop BB4_8699 Depth 4
                                        ;         Child Loop BB4_8709 Depth 4
                                        ;         Child Loop BB4_8728 Depth 4
                                        ;       Child Loop BB4_8747 Depth 3
                                        ;         Child Loop BB4_8753 Depth 4
                                        ;         Child Loop BB4_8781 Depth 4
	;; [unrolled: 1-line block ×3, first 2 shown]
                                        ;     Child Loop BB4_8825 Depth 2
                                        ;       Child Loop BB4_8833 Depth 3
                                        ;       Child Loop BB4_8857 Depth 3
                                        ;       Child Loop BB4_8876 Depth 3
                                        ;       Child Loop BB4_8902 Depth 3
                                        ;       Child Loop BB4_8907 Depth 3
                                        ;       Child Loop BB4_8915 Depth 3
                                        ;       Child Loop BB4_8920 Depth 3
                                        ;       Child Loop BB4_8929 Depth 3
                                        ;       Child Loop BB4_8948 Depth 3
                                        ;     Child Loop BB4_8965 Depth 2
                                        ;       Child Loop BB4_8971 Depth 3
                                        ;       Child Loop BB4_8995 Depth 3
	;; [unrolled: 1-line block ×3, first 2 shown]
	s_wait_xcnt 0x2
	v_sub_nc_u64_e32 v[4:5], v[20:21], v[40:41]
	s_mov_b32 s42, exec_lo
	scratch_store_b64 off, v[4:5], s33 offset:200 ; 8-byte Folded Spill
	s_wait_xcnt 0x0
	v_cmpx_lt_i64_e64 v[4:5], v[42:43]
	s_cbranch_execz .LBB4_53
; %bb.48:                               ;   in Loop: Header=BB4_47 Depth=1
	scratch_load_b64 v[4:5], off, s33 offset:200 ; 8-byte Folded Reload
	v_mov_b32_e32 v8, v3
	s_wait_loadcnt 0x0
	v_add_nc_u64_e32 v[4:5], s[24:25], v[4:5]
	s_delay_alu instid0(VALU_DEP_1) | instskip(NEXT) | instid1(VALU_DEP_1)
	v_or_b32_e32 v9, s17, v5
	v_cmp_ne_u64_e32 vcc_lo, 0, v[8:9]
                                        ; implicit-def: $vgpr8_vgpr9
	s_wait_xcnt 0x0
	s_and_saveexec_b32 s13, vcc_lo
	s_delay_alu instid0(SALU_CYCLE_1)
	s_xor_b32 s43, exec_lo, s13
	s_cbranch_execz .LBB4_50
; %bb.49:                               ;   in Loop: Header=BB4_47 Depth=1
	s_mov_b32 s29, s28
	v_dual_mov_b32 v11, v3 :: v_dual_ashrrev_i32 v8, 31, v5
	s_add_nc_u64 s[14:15], s[16:17], s[28:29]
	v_mov_b32_e32 v15, v3
	s_xor_b64 s[14:15], s[14:15], s[28:29]
	s_delay_alu instid0(VALU_DEP_2)
	v_mov_b32_e32 v9, v8
	s_cvt_f32_u32 s13, s14
	s_cvt_f32_u32 s18, s15
	s_sub_nc_u64 s[72:73], 0, s[14:15]
	v_mov_b32_e32 v19, v3
	v_add_nc_u64_e32 v[4:5], v[4:5], v[8:9]
	s_fmamk_f32 s13, s18, 0x4f800000, s13
	s_delay_alu instid0(SALU_CYCLE_3) | instskip(NEXT) | instid1(VALU_DEP_1)
	v_s_rcp_f32 s13, s13
	v_xor_b32_e32 v10, v4, v8
	s_delay_alu instid0(VALU_DEP_2) | instskip(NEXT) | instid1(TRANS32_DEP_1)
	v_xor_b32_e32 v14, v5, v8
	s_mul_f32 s13, s13, 0x5f7ffffc
	s_delay_alu instid0(SALU_CYCLE_3) | instskip(NEXT) | instid1(SALU_CYCLE_3)
	s_mul_f32 s18, s13, 0x2f800000
	s_trunc_f32 s18, s18
	s_delay_alu instid0(SALU_CYCLE_3) | instskip(SKIP_1) | instid1(SALU_CYCLE_2)
	s_fmamk_f32 s13, s18, 0xcf800000, s13
	s_cvt_u32_f32 s63, s18
	s_cvt_u32_f32 s62, s13
	s_delay_alu instid0(SALU_CYCLE_3) | instskip(NEXT) | instid1(SALU_CYCLE_1)
	s_mul_u64 s[74:75], s[72:73], s[62:63]
	s_mul_hi_u32 s77, s62, s75
	s_mul_i32 s76, s62, s75
	s_mul_hi_u32 s18, s62, s74
	s_mul_i32 s29, s63, s74
	s_add_nc_u64 s[76:77], s[18:19], s[76:77]
	s_mul_hi_u32 s13, s63, s74
	s_mul_hi_u32 s78, s63, s75
	s_add_co_u32 s18, s76, s29
	s_add_co_ci_u32 s18, s77, s13
	s_mul_i32 s74, s63, s75
	s_add_co_ci_u32 s75, s78, 0
	s_delay_alu instid0(SALU_CYCLE_1) | instskip(NEXT) | instid1(SALU_CYCLE_1)
	s_add_nc_u64 s[74:75], s[18:19], s[74:75]
	s_add_co_u32 s62, s62, s74
	s_cselect_b32 s13, -1, 0
	s_delay_alu instid0(SALU_CYCLE_1) | instskip(SKIP_1) | instid1(SALU_CYCLE_1)
	s_cmp_lg_u32 s13, 0
	s_add_co_ci_u32 s63, s63, s75
	s_mul_u64 s[72:73], s[72:73], s[62:63]
	s_delay_alu instid0(SALU_CYCLE_1)
	s_mul_hi_u32 s75, s62, s73
	s_mul_i32 s74, s62, s73
	s_mul_hi_u32 s18, s62, s72
	s_mul_i32 s29, s63, s72
	s_add_nc_u64 s[74:75], s[18:19], s[74:75]
	s_mul_hi_u32 s13, s63, s72
	s_mul_hi_u32 s76, s63, s73
	s_add_co_u32 s18, s74, s29
	s_add_co_ci_u32 s18, s75, s13
	s_mul_i32 s72, s63, s73
	s_add_co_ci_u32 s73, s76, 0
	s_delay_alu instid0(SALU_CYCLE_1) | instskip(NEXT) | instid1(SALU_CYCLE_1)
	s_add_nc_u64 s[72:73], s[18:19], s[72:73]
	s_add_co_u32 s62, s62, s72
	s_cselect_b32 s13, -1, 0
	v_mul_hi_u32 v18, v10, s62
	s_cmp_lg_u32 s13, 0
	s_add_co_ci_u32 s18, s63, s73
	s_and_b64 s[72:73], s[62:63], s[20:21]
	v_mul_u64_e32 v[12:13], s[18:19], v[10:11]
	v_mul_u64_e32 v[4:5], s[72:73], v[14:15]
	;; [unrolled: 1-line block ×3, first 2 shown]
	s_delay_alu instid0(VALU_DEP_3) | instskip(NEXT) | instid1(VALU_DEP_1)
	v_add_nc_u64_e32 v[12:13], v[18:19], v[12:13]
	v_add_co_u32 v1, vcc_lo, v12, v4
	s_delay_alu instid0(VALU_DEP_2) | instskip(NEXT) | instid1(VALU_DEP_4)
	v_add_co_ci_u32_e32 v18, vcc_lo, v13, v5, vcc_lo
	v_add_co_ci_u32_e32 v17, vcc_lo, 0, v17, vcc_lo
	s_delay_alu instid0(VALU_DEP_1) | instskip(NEXT) | instid1(VALU_DEP_1)
	v_add_nc_u64_e32 v[4:5], v[18:19], v[16:17]
	v_mul_u64_e32 v[12:13], s[14:15], v[4:5]
	s_delay_alu instid0(VALU_DEP_1) | instskip(NEXT) | instid1(VALU_DEP_2)
	v_sub_nc_u32_e32 v1, v14, v13
	v_sub_co_u32 v2, vcc_lo, v10, v12
	s_delay_alu instid0(VALU_DEP_1) | instskip(NEXT) | instid1(VALU_DEP_3)
	v_sub_co_ci_u32_e64 v14, null, v14, v13, vcc_lo
	v_subrev_co_ci_u32_e64 v1, null, s15, v1, vcc_lo
	s_delay_alu instid0(VALU_DEP_3) | instskip(SKIP_1) | instid1(VALU_DEP_3)
	v_sub_co_u32 v9, s13, v2, s14
	v_add_nc_u64_e32 v[12:13], 1, v[4:5]
	v_subrev_co_ci_u32_e64 v1, null, 0, v1, s13
	s_delay_alu instid0(VALU_DEP_3) | instskip(SKIP_1) | instid1(VALU_DEP_3)
	v_cmp_le_u32_e32 vcc_lo, s14, v9
	v_cndmask_b32_e64 v9, 0, -1, vcc_lo
	v_cmp_le_u32_e32 vcc_lo, s15, v1
	v_cndmask_b32_e64 v10, 0, -1, vcc_lo
	;; [unrolled: 2-line block ×4, first 2 shown]
	v_cmp_eq_u32_e32 vcc_lo, s15, v1
	v_cndmask_b32_e32 v1, v10, v9, vcc_lo
	v_cmp_eq_u32_e32 vcc_lo, s15, v14
	v_add_nc_u64_e32 v[10:11], 2, v[4:5]
	v_cndmask_b32_e32 v2, v15, v2, vcc_lo
	s_delay_alu instid0(VALU_DEP_4) | instskip(NEXT) | instid1(VALU_DEP_2)
	v_cmp_ne_u32_e32 vcc_lo, 0, v1
	v_cmp_ne_u32_e64 s13, 0, v2
	s_delay_alu instid0(VALU_DEP_4) | instskip(NEXT) | instid1(VALU_DEP_1)
	v_dual_cndmask_b32 v1, v13, v11 :: v_dual_cndmask_b32 v2, v12, v10
	v_dual_cndmask_b32 v1, v5, v1, s13 :: v_dual_bitop2_b32 v8, s28, v8 bitop3:0x14
	s_delay_alu instid0(VALU_DEP_1) | instskip(NEXT) | instid1(VALU_DEP_1)
	v_dual_cndmask_b32 v2, v4, v2, s13 :: v_dual_bitop2_b32 v5, v1, v8 bitop3:0x14
	v_dual_mov_b32 v9, v8 :: v_dual_bitop2_b32 v4, v2, v8 bitop3:0x14
	s_delay_alu instid0(VALU_DEP_1)
	v_sub_nc_u64_e32 v[8:9], v[4:5], v[8:9]
                                        ; implicit-def: $vgpr4_vgpr5
.LBB4_50:                               ;   in Loop: Header=BB4_47 Depth=1
	s_and_not1_saveexec_b32 s13, s43
	s_cbranch_execz .LBB4_52
; %bb.51:                               ;   in Loop: Header=BB4_47 Depth=1
	v_cvt_f32_u32_e32 v1, s16
	v_mov_b32_e32 v9, v3
	s_delay_alu instid0(VALU_DEP_2) | instskip(SKIP_1) | instid1(TRANS32_DEP_1)
	v_rcp_iflag_f32_e32 v1, v1
	v_nop
	v_mul_f32_e32 v1, 0x4f7ffffe, v1
	s_delay_alu instid0(VALU_DEP_1) | instskip(NEXT) | instid1(VALU_DEP_1)
	v_cvt_u32_f32_e32 v1, v1
	v_mul_lo_u32 v2, s60, v1
	s_delay_alu instid0(VALU_DEP_1) | instskip(NEXT) | instid1(VALU_DEP_1)
	v_mul_hi_u32 v2, v1, v2
	v_add_nc_u32_e32 v1, v1, v2
	s_delay_alu instid0(VALU_DEP_1) | instskip(NEXT) | instid1(VALU_DEP_1)
	v_mul_hi_u32 v1, v4, v1
	v_mul_lo_u32 v2, v1, s16
	s_delay_alu instid0(VALU_DEP_1) | instskip(NEXT) | instid1(VALU_DEP_1)
	v_dual_sub_nc_u32 v2, v4, v2 :: v_dual_add_nc_u32 v4, 1, v1
	v_subrev_nc_u32_e32 v5, s16, v2
	v_cmp_le_u32_e32 vcc_lo, s16, v2
	s_delay_alu instid0(VALU_DEP_2) | instskip(NEXT) | instid1(VALU_DEP_1)
	v_dual_cndmask_b32 v2, v2, v5 :: v_dual_cndmask_b32 v1, v1, v4
	v_cmp_le_u32_e32 vcc_lo, s16, v2
	s_delay_alu instid0(VALU_DEP_2) | instskip(NEXT) | instid1(VALU_DEP_1)
	v_add_nc_u32_e32 v4, 1, v1
	v_cndmask_b32_e32 v8, v1, v4, vcc_lo
.LBB4_52:                               ;   in Loop: Header=BB4_47 Depth=1
	s_or_b32 exec_lo, exec_lo, s13
	s_delay_alu instid0(VALU_DEP_1) | instskip(NEXT) | instid1(VALU_DEP_1)
	v_add_nc_u64_e32 v[4:5], 15, v[8:9]
	v_and_b32_e32 v4, -16, v4
	scratch_store_b64 off, v[4:5], s33 offset:208 ; 8-byte Folded Spill
.LBB4_53:                               ;   in Loop: Header=BB4_47 Depth=1
	s_wait_xcnt 0x0
	s_or_b32 exec_lo, exec_lo, s42
	s_clause 0x1
	scratch_load_b64 v[8:9], off, s33 offset:208
	scratch_load_b64 v[4:5], off, s33 offset:200
	v_mov_b32_e32 v10, 0
	s_wait_loadcnt 0x1
	v_mul_u64_e32 v[12:13], s[26:27], v[8:9]
	s_wait_loadcnt 0x0
	s_delay_alu instid0(VALU_DEP_1) | instskip(NEXT) | instid1(VALU_DEP_1)
	v_sub_nc_u64_e32 v[4:5], v[4:5], v[12:13]
	v_min_i64 v[4:5], v[8:9], v[4:5]
	scratch_load_b64 v[8:9], off, s33 offset:276 ; 8-byte Folded Reload
	v_max_i32_e32 v1, 0, v4
	v_cmp_lt_i32_e32 vcc_lo, 0, v4
	s_delay_alu instid0(VALU_DEP_2) | instskip(SKIP_1) | instid1(VALU_DEP_1)
	v_add_nc_u32_e32 v2, 31, v1
	s_and_b32 s13, s59, vcc_lo
	v_lshrrev_b32_e32 v2, 1, v2
	s_delay_alu instid0(VALU_DEP_1)
	v_and_b32_e32 v5, 0x3ffffff0, v2
	v_mov_b32_e32 v2, 0
	s_wait_loadcnt 0x0
	v_add_nc_u64_e32 v[8:9], v[40:41], v[8:9]
	scratch_store_b64 off, v[8:9], s33 offset:188 ; 8-byte Folded Spill
	s_wait_xcnt 0x0
	v_max_i32_e32 v8, s47, v5
	s_mov_b32 s14, exec_lo
	s_delay_alu instid0(SALU_CYCLE_1)
	s_and_b32 s13, s14, s13
	scratch_store_b64 off, v[40:41], s33 offset:232 ; 8-byte Folded Spill
	s_wait_xcnt 0x0
	s_mov_b32 exec_lo, s13
	s_cbranch_execz .LBB4_195
; %bb.54:                               ;   in Loop: Header=BB4_47 Depth=1
	v_mov_b32_e32 v10, 0
	s_mov_b32 s29, 1
	s_mov_b32 s18, -1
	s_mov_b32 s15, 0
	s_branch .LBB4_57
.LBB4_55:                               ;   in Loop: Header=BB4_57 Depth=2
	s_wait_xcnt 0x0
	s_or_b32 exec_lo, exec_lo, s42
	v_add_nc_u64_e32 v[114:115], 2, v[114:115]
	global_wb scope:SCOPE_SYS
	s_wait_storecnt 0x0
	s_wait_loadcnt_dscnt 0x0
	flat_store_b64 v[32:33], v[114:115] scope:SCOPE_SYS
.LBB4_56:                               ;   in Loop: Header=BB4_57 Depth=2
	s_wait_xcnt 0x0
	s_or_b32 exec_lo, exec_lo, s13
	v_dual_add_nc_u32 v10, v8, v10 :: v_dual_mov_b32 v2, s29
	s_xor_b32 s13, s18, -1
	s_mov_b32 s18, 0
	s_mov_b32 s29, 2
	s_delay_alu instid0(VALU_DEP_1) | instskip(SKIP_1) | instid1(SALU_CYCLE_1)
	v_cmp_ge_i32_e32 vcc_lo, v10, v1
	s_or_b32 s13, s13, vcc_lo
	s_and_b32 s13, exec_lo, s13
	s_delay_alu instid0(SALU_CYCLE_1) | instskip(NEXT) | instid1(SALU_CYCLE_1)
	s_or_b32 s15, s13, s15
	s_and_not1_b32 exec_lo, exec_lo, s15
	s_cbranch_execz .LBB4_194
.LBB4_57:                               ;   Parent Loop BB4_47 Depth=1
                                        ; =>  This Loop Header: Depth=2
                                        ;       Child Loop BB4_65 Depth 3
                                        ;       Child Loop BB4_89 Depth 3
	;; [unrolled: 1-line block ×9, first 2 shown]
	s_and_saveexec_b32 s13, s0
	s_cbranch_execz .LBB4_59
; %bb.58:                               ;   in Loop: Header=BB4_57 Depth=2
	s_trap 2
	scratch_load_b64 v[14:15], off, s33 offset:188 ; 8-byte Folded Reload
	ds_load_b64 v[4:5], v0
	v_ashrrev_i32_e32 v11, 31, v10
	s_wait_loadcnt_dscnt 0x0
	v_add_nc_u64_e32 v[4:5], v[4:5], v[14:15]
	s_delay_alu instid0(VALU_DEP_1) | instskip(NEXT) | instid1(VALU_DEP_1)
	v_add_nc_u64_e32 v[4:5], v[4:5], v[12:13]
	v_add_nc_u64_e32 v[4:5], v[4:5], v[10:11]
	ds_store_b64 v0, v[4:5]
	ds_store_b64 v0, v[60:61]
.LBB4_59:                               ;   in Loop: Header=BB4_57 Depth=2
	s_wait_xcnt 0x0
	s_or_b32 exec_lo, exec_lo, s13
	v_sub_nc_u32_e32 v2, v1, v10
	v_and_b32_e32 v4, 8, v126
	s_mov_b32 s42, exec_lo
	s_delay_alu instid0(VALU_DEP_2) | instskip(NEXT) | instid1(VALU_DEP_2)
	v_min_i32_e32 v8, v8, v2
	v_cmpx_ne_u32_e32 0, v4
	s_cbranch_execz .LBB4_81
; %bb.60:                               ;   in Loop: Header=BB4_57 Depth=2
	s_wait_loadcnt_dscnt 0x1
	v_add_nc_u64_e32 v[14:15], 8, v[50:51]
	v_add_nc_u64_e32 v[4:5], 2, v[114:115]
	s_mov_b32 s43, exec_lo
	s_delay_alu instid0(VALU_DEP_1)
	v_cmpx_lt_u64_e64 v[14:15], v[4:5]
	s_cbranch_execz .LBB4_72
; %bb.61:                               ;   in Loop: Header=BB4_57 Depth=2
	v_and_b32_e32 v2, 64, v126
	s_mov_b32 s62, 0
	s_mov_b32 s74, 0
                                        ; implicit-def: $sgpr63
                                        ; implicit-def: $sgpr72
                                        ; implicit-def: $sgpr73
	s_delay_alu instid0(VALU_DEP_1)
	v_cmp_eq_u32_e32 vcc_lo, 0, v2
	s_branch .LBB4_65
.LBB4_62:                               ;   in Loop: Header=BB4_65 Depth=3
	s_wait_loadcnt_dscnt 0x0
	v_add_nc_u64_e32 v[14:15], 8, v[50:51]
	s_or_b32 s77, s77, exec_lo
	s_delay_alu instid0(VALU_DEP_1)
	v_cmp_ge_u64_e64 s13, v[14:15], v[4:5]
	s_or_not1_b32 s76, s13, exec_lo
.LBB4_63:                               ;   in Loop: Header=BB4_65 Depth=3
	s_or_b32 exec_lo, exec_lo, s79
	s_delay_alu instid0(SALU_CYCLE_1)
	s_and_not1_b32 s13, s73, exec_lo
	s_and_b32 s73, s77, exec_lo
	s_and_not1_b32 s72, s72, exec_lo
	s_and_b32 s76, s76, exec_lo
	s_or_b32 s73, s13, s73
	s_or_b32 s72, s72, s76
.LBB4_64:                               ;   in Loop: Header=BB4_65 Depth=3
	s_or_b32 exec_lo, exec_lo, s75
	s_delay_alu instid0(SALU_CYCLE_1) | instskip(NEXT) | instid1(SALU_CYCLE_1)
	s_and_b32 s13, exec_lo, s72
	s_or_b32 s62, s13, s62
	s_and_not1_b32 s13, s63, exec_lo
	s_and_b32 s63, s73, exec_lo
	s_delay_alu instid0(SALU_CYCLE_1)
	s_or_b32 s63, s13, s63
	s_and_not1_b32 exec_lo, exec_lo, s62
	s_cbranch_execz .LBB4_69
.LBB4_65:                               ;   Parent Loop BB4_47 Depth=1
                                        ;     Parent Loop BB4_57 Depth=2
                                        ; =>    This Inner Loop Header: Depth=3
	s_sleep 1
	s_wait_loadcnt_dscnt 0x0
	flat_load_b64 v[50:51], v[32:33] scope:SCOPE_SYS
	s_or_b32 s73, s73, exec_lo
	s_or_b32 s72, s72, exec_lo
                                        ; implicit-def: $vgpr2
	s_wait_xcnt 0x0
	s_and_saveexec_b32 s75, vcc_lo
	s_cbranch_execz .LBB4_64
; %bb.66:                               ;   in Loop: Header=BB4_65 Depth=3
	s_cmp_lt_i32 s74, 0x270f
	s_mov_b32 s76, -1
	s_cselect_b32 s78, -1, 0
	s_cmp_gt_i32 s74, 0x270e
	s_cbranch_scc0 .LBB4_68
; %bb.67:                               ;   in Loop: Header=BB4_65 Depth=3
	s_trap 2
	ds_load_b64 v[14:15], v0
	s_and_not1_b32 s74, s78, exec_lo
	s_mov_b32 s77, 0
	s_wait_storecnt 0x0
	s_wait_loadcnt_dscnt 0x0
	flat_load_b32 v2, v[14:15] scope:SCOPE_SYS
	s_wait_loadcnt_dscnt 0x0
	global_inv scope:SCOPE_SYS
	v_cmp_eq_u32_e64 s13, 0, v2
	s_and_b32 s13, s13, exec_lo
	s_delay_alu instid0(SALU_CYCLE_1)
	s_or_b32 s78, s74, s13
	s_mov_b32 s74, 0
	s_wait_xcnt 0x0
	s_and_saveexec_b32 s79, s78
	s_cbranch_execz .LBB4_63
	s_branch .LBB4_62
.LBB4_68:                               ;   in Loop: Header=BB4_65 Depth=3
	s_add_co_i32 s74, s74, 1
	s_mov_b32 s77, -1
                                        ; implicit-def: $vgpr2
	s_and_saveexec_b32 s79, s78
	s_cbranch_execz .LBB4_63
	s_branch .LBB4_62
.LBB4_69:                               ;   in Loop: Header=BB4_57 Depth=2
	s_or_b32 exec_lo, exec_lo, s62
	s_xor_b32 s13, s63, -1
	s_delay_alu instid0(SALU_CYCLE_1) | instskip(NEXT) | instid1(SALU_CYCLE_1)
	s_and_saveexec_b32 s62, s13
	s_xor_b32 s13, exec_lo, s62
	s_cbranch_execz .LBB4_71
; %bb.70:                               ;   in Loop: Header=BB4_57 Depth=2
	v_or_b32_e32 v126, 64, v126
	s_wait_storecnt 0x0
	s_wait_loadcnt_dscnt 0x0
	ds_store_b32 v0, v2
	s_trap 2
.LBB4_71:                               ;   in Loop: Header=BB4_57 Depth=2
	s_or_b32 exec_lo, exec_lo, s13
.LBB4_72:                               ;   in Loop: Header=BB4_57 Depth=2
	s_delay_alu instid0(SALU_CYCLE_1)
	s_or_b32 exec_lo, exec_lo, s43
	v_and_b32_e32 v2, 0x100, v126
	v_dual_mov_b32 v15, v3 :: v_dual_bitop2_b32 v14, 7, v114 bitop3:0x40
	s_mov_b32 s13, -1
	s_mov_b32 s43, exec_lo
	;;#ASMSTART
	s_wakeup
	;;#ASMEND
                                        ; implicit-def: $vgpr16_vgpr17
	v_cmpx_ne_u32_e32 0, v2
	s_cbranch_execz .LBB4_76
; %bb.73:                               ;   in Loop: Header=BB4_57 Depth=2
	v_mad_nc_u64_u32 v[18:19], v14, 24, v[6:7]
	v_ashrrev_i32_e32 v9, 31, v8
	s_mov_b32 s62, exec_lo
                                        ; implicit-def: $vgpr16_vgpr17
	s_clause 0x1
	flat_load_b32 v2, v[18:19]
	flat_store_b64 v[18:19], v[8:9] offset:8
	s_wait_loadcnt_dscnt 0x1
	v_cmp_ne_u32_e32 vcc_lo, 1, v2
	s_wait_xcnt 0x0
	v_cmpx_eq_u32_e32 1, v2
	s_cbranch_execz .LBB4_75
; %bb.74:                               ;   in Loop: Header=BB4_57 Depth=2
	flat_load_b32 v16, v[18:19] offset:4 scope:SCOPE_SYS
	s_wait_loadcnt_dscnt 0x0
	v_ashrrev_i32_e32 v17, 31, v16
.LBB4_75:                               ;   in Loop: Header=BB4_57 Depth=2
	s_wait_xcnt 0x0
	s_or_b32 exec_lo, exec_lo, s62
	s_delay_alu instid0(SALU_CYCLE_1)
	s_or_not1_b32 s13, vcc_lo, exec_lo
.LBB4_76:                               ;   in Loop: Header=BB4_57 Depth=2
	s_or_b32 exec_lo, exec_lo, s43
	s_and_saveexec_b32 s43, s13
; %bb.77:                               ;   in Loop: Header=BB4_57 Depth=2
	v_mul_u64_e32 v[16:17], v[14:15], v[34:35]
; %bb.78:                               ;   in Loop: Header=BB4_57 Depth=2
	s_or_b32 exec_lo, exec_lo, s43
	s_delay_alu instid0(VALU_DEP_1)
	v_add_nc_u64_e32 v[14:15], v[36:37], v[16:17]
	v_and_b32_e32 v2, 0x2000, v126
	s_mov_b32 s13, exec_lo
	ds_store_b64 v0, v[14:15] offset:784
	v_cmpx_ne_u32_e32 0, v2
	s_cbranch_execz .LBB4_80
; %bb.79:                               ;   in Loop: Header=BB4_57 Depth=2
	ds_load_b64 v[14:15], v0 offset:872
	s_wait_dscnt 0x0
	v_add_nc_u64_e32 v[14:15], 1, v[14:15]
	ds_store_b64 v0, v[14:15] offset:872
.LBB4_80:                               ;   in Loop: Header=BB4_57 Depth=2
	s_or_b32 exec_lo, exec_lo, s13
	v_mov_b64_e32 v[114:115], v[4:5]
.LBB4_81:                               ;   in Loop: Header=BB4_57 Depth=2
	s_or_b32 exec_lo, exec_lo, s42
	s_and_saveexec_b32 s13, s2
	s_cbranch_execz .LBB4_100
; %bb.82:                               ;   in Loop: Header=BB4_57 Depth=2
	s_and_saveexec_b32 s42, s3
	s_delay_alu instid0(SALU_CYCLE_1)
	s_xor_b32 s42, exec_lo, s42
	s_cbranch_execz .LBB4_97
; %bb.83:                               ;   in Loop: Header=BB4_57 Depth=2
	s_and_saveexec_b32 s43, s6
	s_cbranch_execz .LBB4_96
; %bb.84:                               ;   in Loop: Header=BB4_57 Depth=2
	s_mov_b32 s63, exec_lo
	s_mov_b32 s62, exec_lo
	v_mbcnt_lo_u32_b32 v2, s63, 0
	global_wb scope:SCOPE_DEV
	s_wait_storecnt 0x0
	s_wait_loadcnt_dscnt 0x0
	global_inv scope:SCOPE_DEV
	v_cmpx_eq_u32_e32 0, v2
	s_cbranch_execz .LBB4_86
; %bb.85:                               ;   in Loop: Header=BB4_57 Depth=2
	s_bcnt1_i32_b32 s63, s63
	s_delay_alu instid0(SALU_CYCLE_1)
	v_dual_mov_b32 v5, v3 :: v_dual_mov_b32 v4, s63
	s_wait_loadcnt 0x0
	ds_add_u64 v0, v[4:5]
	s_trap 2
.LBB4_86:                               ;   in Loop: Header=BB4_57 Depth=2
	s_or_b32 exec_lo, exec_lo, s62
	s_trap 2
	ds_load_b64 v[4:5], v0
	s_wait_dscnt 0x0
	v_add_nc_u64_e32 v[48:49], v[48:49], v[52:53]
	s_mov_b32 s62, exec_lo
	s_delay_alu instid0(VALU_DEP_1)
	v_cmpx_lt_u64_e64 v[4:5], v[48:49]
	s_cbranch_execz .LBB4_95
; %bb.87:                               ;   in Loop: Header=BB4_57 Depth=2
	s_mov_b32 s63, 0
	s_mov_b32 s74, 0
                                        ; implicit-def: $sgpr72
                                        ; implicit-def: $sgpr73
	s_branch .LBB4_89
.LBB4_88:                               ;   in Loop: Header=BB4_89 Depth=3
	s_or_b32 exec_lo, exec_lo, s76
	s_delay_alu instid0(SALU_CYCLE_1) | instskip(NEXT) | instid1(SALU_CYCLE_1)
	s_and_b32 s75, exec_lo, s77
	s_or_b32 s63, s75, s63
	s_and_not1_b32 s72, s72, exec_lo
	s_and_b32 s75, s73, exec_lo
	s_delay_alu instid0(SALU_CYCLE_1)
	s_or_b32 s72, s72, s75
	s_and_not1_b32 exec_lo, exec_lo, s63
	s_cbranch_execz .LBB4_93
.LBB4_89:                               ;   Parent Loop BB4_47 Depth=1
                                        ;     Parent Loop BB4_57 Depth=2
                                        ; =>    This Inner Loop Header: Depth=3
	s_add_co_i32 s74, s74, 1
	s_delay_alu instid0(SALU_CYCLE_1) | instskip(SKIP_1) | instid1(SALU_CYCLE_1)
	s_cmp_lg_u32 s74, 0x2710
	s_cselect_b32 s75, -1, 0
	s_and_b32 vcc_lo, exec_lo, s75
	s_cbranch_vccz .LBB4_91
; %bb.90:                               ;   in Loop: Header=BB4_89 Depth=3
	s_mov_b32 s77, -1
	s_or_b32 s73, s73, exec_lo
	s_and_saveexec_b32 s76, s75
	s_cbranch_execz .LBB4_88
	s_branch .LBB4_92
.LBB4_91:                               ;   in Loop: Header=BB4_89 Depth=3
	s_trap 2
	ds_load_b64 v[4:5], v0
	s_and_not1_b32 s75, s75, exec_lo
	s_mov_b32 s74, 0
	s_wait_loadcnt_dscnt 0x0
	flat_load_b32 v2, v[4:5] scope:SCOPE_SYS
	s_wait_loadcnt_dscnt 0x0
	global_inv scope:SCOPE_SYS
	v_cmp_eq_u32_e32 vcc_lo, 0, v2
	s_and_b32 s76, vcc_lo, exec_lo
	s_delay_alu instid0(SALU_CYCLE_1)
	s_or_b32 s75, s75, s76
	s_mov_b32 s77, -1
	s_or_b32 s73, s73, exec_lo
	s_wait_xcnt 0x0
	s_and_saveexec_b32 s76, s75
	s_cbranch_execz .LBB4_88
.LBB4_92:                               ;   in Loop: Header=BB4_89 Depth=3
	s_sleep 1
	s_trap 2
	ds_load_b64 v[4:5], v0
	s_wait_dscnt 0x0
	s_and_not1_b32 s73, s73, exec_lo
	v_cmp_ge_u64_e32 vcc_lo, v[4:5], v[48:49]
	s_or_not1_b32 s77, vcc_lo, exec_lo
	s_branch .LBB4_88
.LBB4_93:                               ;   in Loop: Header=BB4_57 Depth=2
	s_or_b32 exec_lo, exec_lo, s63
	s_and_saveexec_b32 s63, s72
	s_delay_alu instid0(SALU_CYCLE_1)
	s_xor_b32 s63, exec_lo, s63
	s_cbranch_execz .LBB4_95
; %bb.94:                               ;   in Loop: Header=BB4_57 Depth=2
	ds_store_b32 v0, v64
	s_trap 2
.LBB4_95:                               ;   in Loop: Header=BB4_57 Depth=2
	s_or_b32 exec_lo, exec_lo, s62
	;;#ASMSTART
	s_wakeup
	;;#ASMEND
.LBB4_96:                               ;   in Loop: Header=BB4_57 Depth=2
	s_or_b32 exec_lo, exec_lo, s43
.LBB4_97:                               ;   in Loop: Header=BB4_57 Depth=2
	s_and_not1_saveexec_b32 s42, s42
	s_cbranch_execz .LBB4_99
; %bb.98:                               ;   in Loop: Header=BB4_57 Depth=2
	global_wb scope:SCOPE_DEV
	s_wait_storecnt 0x0
	s_wait_loadcnt_dscnt 0x0
	global_inv scope:SCOPE_DEV
	s_barrier_signal -1
	s_barrier_wait -1
.LBB4_99:                               ;   in Loop: Header=BB4_57 Depth=2
	s_or_b32 exec_lo, exec_lo, s42
.LBB4_100:                              ;   in Loop: Header=BB4_57 Depth=2
	s_delay_alu instid0(SALU_CYCLE_1) | instskip(SKIP_4) | instid1(VALU_DEP_1)
	s_or_b32 exec_lo, exec_lo, s13
	s_trap 2
	ds_load_b32 v2, v0
	v_and_b32_e32 v4, 0x4000, v126
	s_xor_b32 s13, s1, -1
	v_cmp_ne_u32_e32 vcc_lo, 0, v4
	s_and_b32 s42, s13, vcc_lo
	s_delay_alu instid0(SALU_CYCLE_1)
	s_and_saveexec_b32 s13, s42
	s_cbranch_execz .LBB4_119
; %bb.101:                              ;   in Loop: Header=BB4_57 Depth=2
	s_and_saveexec_b32 s42, s3
	s_delay_alu instid0(SALU_CYCLE_1)
	s_xor_b32 s42, exec_lo, s42
	s_cbranch_execz .LBB4_116
; %bb.102:                              ;   in Loop: Header=BB4_57 Depth=2
	s_and_saveexec_b32 s43, s6
	s_cbranch_execz .LBB4_115
; %bb.103:                              ;   in Loop: Header=BB4_57 Depth=2
	s_mov_b32 s63, exec_lo
	s_mov_b32 s62, exec_lo
	v_mbcnt_lo_u32_b32 v4, s63, 0
	global_wb scope:SCOPE_DEV
	s_wait_storecnt 0x0
	s_wait_loadcnt_dscnt 0x0
	global_inv scope:SCOPE_DEV
	v_cmpx_eq_u32_e32 0, v4
	s_cbranch_execz .LBB4_105
; %bb.104:                              ;   in Loop: Header=BB4_57 Depth=2
	s_bcnt1_i32_b32 s63, s63
	s_delay_alu instid0(SALU_CYCLE_1)
	v_dual_mov_b32 v5, v3 :: v_dual_mov_b32 v4, s63
	s_wait_loadcnt 0x0
	ds_add_u64 v0, v[4:5]
	s_trap 2
.LBB4_105:                              ;   in Loop: Header=BB4_57 Depth=2
	s_or_b32 exec_lo, exec_lo, s62
	s_trap 2
	ds_load_b64 v[4:5], v0
	s_wait_dscnt 0x0
	v_add_nc_u64_e32 v[48:49], v[48:49], v[52:53]
	s_mov_b32 s62, exec_lo
	s_delay_alu instid0(VALU_DEP_1)
	v_cmpx_lt_u64_e64 v[4:5], v[48:49]
	s_cbranch_execz .LBB4_114
; %bb.106:                              ;   in Loop: Header=BB4_57 Depth=2
	s_mov_b32 s63, 0
	s_mov_b32 s74, 0
                                        ; implicit-def: $sgpr72
                                        ; implicit-def: $sgpr73
	s_branch .LBB4_108
.LBB4_107:                              ;   in Loop: Header=BB4_108 Depth=3
	s_or_b32 exec_lo, exec_lo, s76
	s_delay_alu instid0(SALU_CYCLE_1) | instskip(NEXT) | instid1(SALU_CYCLE_1)
	s_and_b32 s75, exec_lo, s77
	s_or_b32 s63, s75, s63
	s_and_not1_b32 s72, s72, exec_lo
	s_and_b32 s75, s73, exec_lo
	s_delay_alu instid0(SALU_CYCLE_1)
	s_or_b32 s72, s72, s75
	s_and_not1_b32 exec_lo, exec_lo, s63
	s_cbranch_execz .LBB4_112
.LBB4_108:                              ;   Parent Loop BB4_47 Depth=1
                                        ;     Parent Loop BB4_57 Depth=2
                                        ; =>    This Inner Loop Header: Depth=3
	s_add_co_i32 s74, s74, 1
	s_delay_alu instid0(SALU_CYCLE_1) | instskip(SKIP_1) | instid1(SALU_CYCLE_1)
	s_cmp_lg_u32 s74, 0x2710
	s_cselect_b32 s75, -1, 0
	s_and_b32 vcc_lo, exec_lo, s75
	s_cbranch_vccz .LBB4_110
; %bb.109:                              ;   in Loop: Header=BB4_108 Depth=3
	s_mov_b32 s77, -1
	s_or_b32 s73, s73, exec_lo
	s_and_saveexec_b32 s76, s75
	s_cbranch_execz .LBB4_107
	s_branch .LBB4_111
.LBB4_110:                              ;   in Loop: Header=BB4_108 Depth=3
	s_trap 2
	ds_load_b64 v[4:5], v0
	s_and_not1_b32 s75, s75, exec_lo
	s_mov_b32 s74, 0
	s_wait_loadcnt_dscnt 0x0
	flat_load_b32 v4, v[4:5] scope:SCOPE_SYS
	s_wait_loadcnt_dscnt 0x0
	global_inv scope:SCOPE_SYS
	v_cmp_eq_u32_e32 vcc_lo, 0, v4
	s_and_b32 s76, vcc_lo, exec_lo
	s_delay_alu instid0(SALU_CYCLE_1)
	s_or_b32 s75, s75, s76
	s_mov_b32 s77, -1
	s_or_b32 s73, s73, exec_lo
	s_wait_xcnt 0x0
	s_and_saveexec_b32 s76, s75
	s_cbranch_execz .LBB4_107
.LBB4_111:                              ;   in Loop: Header=BB4_108 Depth=3
	s_sleep 1
	s_trap 2
	ds_load_b64 v[4:5], v0
	s_wait_dscnt 0x0
	s_and_not1_b32 s73, s73, exec_lo
	v_cmp_ge_u64_e32 vcc_lo, v[4:5], v[48:49]
	s_or_not1_b32 s77, vcc_lo, exec_lo
	s_branch .LBB4_107
.LBB4_112:                              ;   in Loop: Header=BB4_57 Depth=2
	s_or_b32 exec_lo, exec_lo, s63
	s_and_saveexec_b32 s63, s72
	s_delay_alu instid0(SALU_CYCLE_1)
	s_xor_b32 s63, exec_lo, s63
	s_cbranch_execz .LBB4_114
; %bb.113:                              ;   in Loop: Header=BB4_57 Depth=2
	ds_store_b32 v0, v64
	s_trap 2
.LBB4_114:                              ;   in Loop: Header=BB4_57 Depth=2
	s_or_b32 exec_lo, exec_lo, s62
	;;#ASMSTART
	s_wakeup
	;;#ASMEND
.LBB4_115:                              ;   in Loop: Header=BB4_57 Depth=2
	s_or_b32 exec_lo, exec_lo, s43
.LBB4_116:                              ;   in Loop: Header=BB4_57 Depth=2
	s_and_not1_saveexec_b32 s42, s42
	s_cbranch_execz .LBB4_118
; %bb.117:                              ;   in Loop: Header=BB4_57 Depth=2
	global_wb scope:SCOPE_DEV
	s_wait_storecnt 0x0
	s_wait_loadcnt_dscnt 0x0
	global_inv scope:SCOPE_DEV
	s_barrier_signal -1
	s_barrier_wait -1
.LBB4_118:                              ;   in Loop: Header=BB4_57 Depth=2
	s_or_b32 exec_lo, exec_lo, s42
.LBB4_119:                              ;   in Loop: Header=BB4_57 Depth=2
	s_delay_alu instid0(SALU_CYCLE_1)
	s_or_b32 exec_lo, exec_lo, s13
	s_trap 2
	ds_load_b64 v[4:5], v0
	s_wait_dscnt 0x0
	v_cmp_eq_u64_e32 vcc_lo, 0, v[4:5]
	s_cbranch_vccnz .LBB4_127
; %bb.120:                              ;   in Loop: Header=BB4_57 Depth=2
	s_trap 2
	ds_load_b64 v[14:15], v0
	s_wait_dscnt 0x0
	v_cmp_eq_u64_e32 vcc_lo, 0, v[14:15]
	s_cbranch_vccnz .LBB4_127
; %bb.121:                              ;   in Loop: Header=BB4_57 Depth=2
	s_mov_b32 s13, -1
	s_and_saveexec_b32 s42, s7
	s_cbranch_execz .LBB4_123
; %bb.122:                              ;   in Loop: Header=BB4_57 Depth=2
	ds_load_b32 v9, v0 offset:720
	s_wait_dscnt 0x0
	v_and_b32_e32 v9, 15, v9
	s_delay_alu instid0(VALU_DEP_1)
	v_cmp_eq_u32_e32 vcc_lo, 0, v9
	s_or_not1_b32 s13, vcc_lo, exec_lo
.LBB4_123:                              ;   in Loop: Header=BB4_57 Depth=2
	s_or_b32 exec_lo, exec_lo, s42
	s_and_saveexec_b32 s42, s11
	s_cbranch_execz .LBB4_125
; %bb.124:                              ;   in Loop: Header=BB4_57 Depth=2
	ds_load_b32 v9, v0 offset:784
	s_wait_dscnt 0x0
	v_and_b32_e32 v9, 15, v9
	s_delay_alu instid0(VALU_DEP_1) | instskip(SKIP_3) | instid1(SALU_CYCLE_1)
	v_cmp_eq_u32_e32 vcc_lo, 0, v9
	s_and_b32 s43, s13, vcc_lo
	s_and_not1_b32 s13, s13, exec_lo
	s_and_b32 s43, s43, exec_lo
	s_or_b32 s13, s13, s43
.LBB4_125:                              ;   in Loop: Header=BB4_57 Depth=2
	s_or_b32 exec_lo, exec_lo, s42
	v_cmp_eq_u32_e32 vcc_lo, 0, v2
	s_xor_b32 s13, s13, -1
	v_mov_b32_e32 v16, v119
	v_cndmask_b32_e64 v9, 0, 1, s13
	s_mov_b32 s43, -1
	v_dual_cndmask_b32 v2, 0, v8, vcc_lo :: v_dual_mov_b32 v18, v0
	s_delay_alu instid0(VALU_DEP_2) | instskip(NEXT) | instid1(VALU_DEP_2)
	v_cmp_ne_u32_e32 vcc_lo, 0, v9
	v_dual_mov_b32 v9, 0 :: v_dual_mov_b32 v11, v2
	s_cbranch_vccz .LBB4_132
; %bb.126:                              ;   in Loop: Header=BB4_57 Depth=2
	s_and_saveexec_b32 s13, s43
	s_cbranch_execnz .LBB4_145
	s_branch .LBB4_153
.LBB4_127:                              ;   in Loop: Header=BB4_57 Depth=2
	s_mov_b32 s13, 0
	s_and_saveexec_b32 s42, s2
	s_cbranch_execnz .LBB4_154
.LBB4_128:                              ;   in Loop: Header=BB4_57 Depth=2
	s_or_b32 exec_lo, exec_lo, s42
                                        ; implicit-def: $vgpr2
	s_and_saveexec_b32 s42, s10
	s_delay_alu instid0(SALU_CYCLE_1)
	s_xor_b32 s42, exec_lo, s42
	s_cbranch_execz .LBB4_172
.LBB4_129:                              ;   in Loop: Header=BB4_57 Depth=2
	v_and_b32_e32 v2, 16, v126
	s_delay_alu instid0(VALU_DEP_1) | instskip(SKIP_2) | instid1(SALU_CYCLE_1)
	v_cmp_ne_u32_e32 vcc_lo, 0, v2
	v_and_b32_e32 v2, 16, v126
	s_and_b32 s43, vcc_lo, s13
	s_and_saveexec_b32 s13, s43
	s_cbranch_execz .LBB4_131
; %bb.130:                              ;   in Loop: Header=BB4_57 Depth=2
	v_mov_b32_e32 v2, 1
	global_wb scope:SCOPE_SYS
	s_wait_storecnt 0x0
	s_wait_loadcnt_dscnt 0x0
	global_inv scope:SCOPE_SYS
.LBB4_131:                              ;   in Loop: Header=BB4_57 Depth=2
	s_or_b32 exec_lo, exec_lo, s13
	s_and_not1_saveexec_b32 s13, s42
	s_cbranch_execz .LBB4_191
	s_branch .LBB4_173
.LBB4_132:                              ;   in Loop: Header=BB4_57 Depth=2
	v_ashrrev_i32_e32 v9, 31, v2
	s_mov_b32 s13, exec_lo
	s_delay_alu instid0(VALU_DEP_1) | instskip(NEXT) | instid1(VALU_DEP_1)
	v_lshrrev_b32_e32 v9, 21, v9
	v_add_nc_u32_e32 v9, v2, v9
	s_delay_alu instid0(VALU_DEP_1) | instskip(NEXT) | instid1(VALU_DEP_1)
	v_ashrrev_i32_e32 v9, 11, v9
	v_sub_nc_u32_e32 v20, v9, v119
	s_delay_alu instid0(VALU_DEP_1)
	v_cmpx_lt_i32_e32 0, v20
	s_cbranch_execz .LBB4_136
; %bb.133:                              ;   in Loop: Header=BB4_57 Depth=2
	v_mov_b64_e32 v[16:17], v[14:15]
	v_mov_b64_e32 v[18:19], v[4:5]
	s_mov_b32 s42, 0
.LBB4_134:                              ;   Parent Loop BB4_47 Depth=1
                                        ;     Parent Loop BB4_57 Depth=2
                                        ; =>    This Inner Loop Header: Depth=3
	s_delay_alu instid0(VALU_DEP_1)
	v_add_nc_u64_e32 v[30:31], v[98:99], v[18:19]
	v_sub_nc_u32_e32 v20, v20, v52
	v_add_nc_u64_e32 v[18:19], v[18:19], v[68:69]
	s_clause 0x3
	global_load_b128 v[22:25], v[30:31], off th:TH_LOAD_NT
	global_load_b128 v[26:29], v[30:31], off offset:512 th:TH_LOAD_NT
	global_load_b128 v[100:103], v[30:31], off offset:1024 th:TH_LOAD_NT
	;; [unrolled: 1-line block ×3, first 2 shown]
	s_wait_xcnt 0x0
	v_add_nc_u64_e32 v[30:31], v[98:99], v[16:17]
	v_cmp_gt_i32_e32 vcc_lo, 1, v20
	v_add_nc_u64_e32 v[16:17], v[16:17], v[68:69]
	s_wait_loadcnt 0x3
	global_store_b128 v[30:31], v[22:25], off th:TH_STORE_NT
	s_wait_loadcnt 0x2
	global_store_b128 v[30:31], v[26:29], off offset:512 th:TH_STORE_NT
	s_wait_loadcnt 0x1
	global_store_b128 v[30:31], v[100:103], off offset:1024 th:TH_STORE_NT
	;; [unrolled: 2-line block ×3, first 2 shown]
	s_or_b32 s42, vcc_lo, s42
	s_wait_xcnt 0x0
	s_and_not1_b32 exec_lo, exec_lo, s42
	s_cbranch_execnz .LBB4_134
; %bb.135:                              ;   in Loop: Header=BB4_57 Depth=2
	s_or_b32 exec_lo, exec_lo, s42
.LBB4_136:                              ;   in Loop: Header=BB4_57 Depth=2
	s_delay_alu instid0(SALU_CYCLE_1) | instskip(SKIP_3) | instid1(VALU_DEP_1)
	s_or_b32 exec_lo, exec_lo, s13
	v_dual_lshlrev_b32 v19, 11, v9 :: v_dual_mov_b32 v9, 0
	s_mov_b32 s43, 0
	s_mov_b32 s42, exec_lo
                                        ; implicit-def: $vgpr11
                                        ; implicit-def: $vgpr18
                                        ; implicit-def: $vgpr16
	v_cmpx_ne_u32_e64 v2, v19
	s_cbranch_execz .LBB4_144
; %bb.137:                              ;   in Loop: Header=BB4_57 Depth=2
	scratch_load_b32 v11, off, s33 offset:196 ; 4-byte Folded Reload
	v_dual_lshlrev_b32 v9, 5, v20 :: v_dual_sub_nc_u32 v16, v2, v19
	s_mov_b32 s43, exec_lo
	s_delay_alu instid0(VALU_DEP_1) | instskip(NEXT) | instid1(VALU_DEP_1)
	v_ashrrev_i32_e32 v17, 31, v16
	v_lshrrev_b32_e32 v17, 23, v17
	s_wait_loadcnt 0x0
	v_sub_nc_u32_e32 v9, v11, v9
	s_delay_alu instid0(VALU_DEP_1) | instskip(NEXT) | instid1(VALU_DEP_1)
	v_ashrrev_i32_e32 v11, 31, v9
	v_lshrrev_b32_e32 v11, 27, v11
	s_delay_alu instid0(VALU_DEP_1) | instskip(NEXT) | instid1(VALU_DEP_1)
	v_add_nc_u32_e32 v11, v9, v11
	v_and_b32_e32 v18, 0xffffffe0, v11
	s_delay_alu instid0(VALU_DEP_1) | instskip(NEXT) | instid1(VALU_DEP_1)
	v_dual_add_nc_u32 v17, v16, v17 :: v_dual_sub_nc_u32 v21, v9, v18
	v_and_b32_e32 v20, 0xfffffe00, v17
	v_dual_ashrrev_i32 v18, 5, v11 :: v_dual_ashrrev_i32 v17, 9, v17
	s_delay_alu instid0(VALU_DEP_2) | instskip(NEXT) | instid1(VALU_DEP_1)
	v_dual_lshlrev_b32 v9, 4, v21 :: v_dual_sub_nc_u32 v22, v16, v20
	v_lshl_add_u32 v11, v18, 9, v9
	s_delay_alu instid0(VALU_DEP_2) | instskip(NEXT) | instid1(VALU_DEP_4)
	v_cmp_lt_i32_e32 vcc_lo, 15, v22
	v_add_co_ci_u32_e64 v17, null, 0, v17, vcc_lo
	s_delay_alu instid0(VALU_DEP_1) | instskip(SKIP_1) | instid1(VALU_DEP_1)
	v_dual_sub_nc_u32 v9, v16, v11 :: v_dual_sub_nc_u32 v23, v17, v18
	s_wait_xcnt 0x0
	v_cmpx_lt_i32_e32 15, v9
	s_cbranch_execz .LBB4_141
; %bb.138:                              ;   in Loop: Header=BB4_57 Depth=2
	v_add_nc_u32_e32 v16, v11, v19
	s_mov_b32 s62, 0
	s_delay_alu instid0(VALU_DEP_1)
	v_ashrrev_i32_e32 v17, 31, v16
.LBB4_139:                              ;   Parent Loop BB4_47 Depth=1
                                        ;     Parent Loop BB4_57 Depth=2
                                        ; =>    This Inner Loop Header: Depth=3
	s_delay_alu instid0(VALU_DEP_1) | instskip(SKIP_3) | instid1(VALU_DEP_3)
	v_add_nc_u64_e32 v[24:25], v[4:5], v[16:17]
	v_dual_sub_nc_u32 v9, v9, v70 :: v_dual_sub_nc_u32 v23, v23, v52
	v_add_nc_u64_e32 v[28:29], v[14:15], v[16:17]
	v_add_nc_u64_e32 v[16:17], v[16:17], v[70:71]
	v_cmp_gt_i32_e64 s13, 16, v9
	global_load_b128 v[24:27], v[24:25], off th:TH_LOAD_NT
	s_or_b32 s62, s13, s62
	s_wait_loadcnt 0x0
	global_store_b128 v[28:29], v[24:27], off th:TH_STORE_NT
	s_wait_xcnt 0x0
	s_and_not1_b32 exec_lo, exec_lo, s62
	s_cbranch_execnz .LBB4_139
; %bb.140:                              ;   in Loop: Header=BB4_57 Depth=2
	s_or_b32 exec_lo, exec_lo, s62
.LBB4_141:                              ;   in Loop: Header=BB4_57 Depth=2
	s_delay_alu instid0(SALU_CYCLE_1) | instskip(SKIP_3) | instid1(VALU_DEP_1)
	s_or_b32 exec_lo, exec_lo, s43
	v_dual_mov_b32 v9, 0 :: v_dual_bitop2_b32 v17, 15, v2 bitop3:0x40
	s_mov_b32 s43, 0
	s_mov_b32 s62, exec_lo
                                        ; implicit-def: $vgpr18
                                        ; implicit-def: $vgpr16
	v_cndmask_b32_e32 v11, v22, v17, vcc_lo
	s_delay_alu instid0(VALU_DEP_1)
	v_cmpx_ne_u32_e32 0, v11
	s_cbranch_execz .LBB4_143
; %bb.142:                              ;   in Loop: Header=BB4_57 Depth=2
	v_cmp_lt_i32_e64 s13, 0, v23
	s_mov_b32 s43, exec_lo
	v_dual_sub_nc_u32 v16, v22, v17 :: v_dual_cndmask_b32 v9, 0, v52, s13
	s_delay_alu instid0(VALU_DEP_1) | instskip(NEXT) | instid1(VALU_DEP_1)
	v_dual_cndmask_b32 v16, 0, v16 :: v_dual_sub_nc_u32 v9, v9, v23
	v_lshl_add_u32 v18, v9, 5, v21
	s_delay_alu instid0(VALU_DEP_1) | instskip(NEXT) | instid1(VALU_DEP_1)
	v_ashrrev_i32_e32 v9, 31, v18
	v_lshrrev_b32_e32 v9, 27, v9
	s_delay_alu instid0(VALU_DEP_1) | instskip(SKIP_1) | instid1(VALU_DEP_2)
	v_add_nc_u32_e32 v17, v18, v9
	v_add3_u32 v9, v20, v19, v16
	v_ashrrev_i32_e32 v16, 5, v17
.LBB4_143:                              ;   in Loop: Header=BB4_57 Depth=2
	s_or_b32 exec_lo, exec_lo, s62
	s_delay_alu instid0(SALU_CYCLE_1)
	s_and_b32 s43, s43, exec_lo
.LBB4_144:                              ;   in Loop: Header=BB4_57 Depth=2
	s_or_b32 exec_lo, exec_lo, s42
	s_and_saveexec_b32 s13, s43
	s_cbranch_execz .LBB4_153
.LBB4_145:                              ;   in Loop: Header=BB4_57 Depth=2
	v_ashrrev_i32_e32 v17, 31, v11
	s_mov_b32 s42, exec_lo
	s_delay_alu instid0(VALU_DEP_1) | instskip(NEXT) | instid1(VALU_DEP_1)
	v_lshrrev_b32_e32 v17, 23, v17
	v_add_nc_u32_e32 v17, v11, v17
	s_delay_alu instid0(VALU_DEP_1) | instskip(NEXT) | instid1(VALU_DEP_1)
	v_dual_ashrrev_i32 v21, 9, v17 :: v_dual_ashrrev_i32 v17, 31, v18
	v_dual_sub_nc_u32 v19, v21, v16 :: v_dual_lshrrev_b32 v20, 27, v17
	s_delay_alu instid0(VALU_DEP_1)
	v_cmpx_lt_i32_e32 0, v19
	s_cbranch_execz .LBB4_149
; %bb.146:                              ;   in Loop: Header=BB4_57 Depth=2
	s_delay_alu instid0(VALU_DEP_2) | instskip(SKIP_2) | instid1(VALU_DEP_2)
	v_add_nc_u32_e32 v17, v18, v20
	s_mov_b32 s43, 0
	v_lshlrev_b32_e32 v16, 9, v16
	v_and_b32_e32 v17, 0xffffffe0, v17
	s_delay_alu instid0(VALU_DEP_1) | instskip(NEXT) | instid1(VALU_DEP_1)
	v_sub_nc_u32_e32 v17, v18, v17
	v_add3_u32 v16, v9, v17, v16
	s_delay_alu instid0(VALU_DEP_1)
	v_ashrrev_i32_e32 v17, 31, v16
.LBB4_147:                              ;   Parent Loop BB4_47 Depth=1
                                        ;     Parent Loop BB4_57 Depth=2
                                        ; =>    This Inner Loop Header: Depth=3
	s_delay_alu instid0(VALU_DEP_1)
	v_add_nc_u64_e32 v[22:23], v[16:17], v[4:5]
	v_sub_nc_u32_e32 v19, v19, v52
	v_add_nc_u64_e32 v[4:5], v[4:5], v[70:71]
	s_clause 0xf
	flat_load_u8 v24, v[22:23] th:TH_LOAD_NT
	flat_load_u8 v25, v[22:23] offset:32 th:TH_LOAD_NT
	flat_load_u8 v26, v[22:23] offset:64 th:TH_LOAD_NT
	flat_load_u8 v27, v[22:23] offset:96 th:TH_LOAD_NT
	flat_load_u8 v28, v[22:23] offset:128 th:TH_LOAD_NT
	flat_load_u8 v29, v[22:23] offset:160 th:TH_LOAD_NT
	flat_load_u8 v30, v[22:23] offset:192 th:TH_LOAD_NT
	flat_load_u8 v31, v[22:23] offset:224 th:TH_LOAD_NT
	flat_load_u8 v66, v[22:23] offset:256 th:TH_LOAD_NT
	flat_load_u8 v67, v[22:23] offset:288 th:TH_LOAD_NT
	flat_load_u8 v84, v[22:23] offset:320 th:TH_LOAD_NT
	flat_load_u8 v85, v[22:23] offset:352 th:TH_LOAD_NT
	flat_load_u8 v100, v[22:23] offset:384 th:TH_LOAD_NT
	flat_load_u8 v101, v[22:23] offset:416 th:TH_LOAD_NT
	flat_load_u8 v102, v[22:23] offset:448 th:TH_LOAD_NT
	flat_load_u8 v103, v[22:23] offset:480 th:TH_LOAD_NT
	s_wait_xcnt 0x0
	v_add_nc_u64_e32 v[22:23], v[16:17], v[14:15]
	v_add_nc_u64_e32 v[14:15], v[14:15], v[70:71]
	v_cmp_gt_i32_e32 vcc_lo, 1, v19
	s_wait_loadcnt_dscnt 0xf0f
	flat_store_b8 v[22:23], v24 th:TH_STORE_NT
	s_wait_loadcnt_dscnt 0xe0f
	flat_store_b8 v[22:23], v25 offset:32 th:TH_STORE_NT
	s_wait_loadcnt_dscnt 0xd0f
	flat_store_b8 v[22:23], v26 offset:64 th:TH_STORE_NT
	;; [unrolled: 2-line block ×15, first 2 shown]
	s_or_b32 s43, vcc_lo, s43
	s_wait_xcnt 0x0
	s_and_not1_b32 exec_lo, exec_lo, s43
	s_cbranch_execnz .LBB4_147
; %bb.148:                              ;   in Loop: Header=BB4_57 Depth=2
	s_or_b32 exec_lo, exec_lo, s43
.LBB4_149:                              ;   in Loop: Header=BB4_57 Depth=2
	s_delay_alu instid0(SALU_CYCLE_1) | instskip(SKIP_1) | instid1(VALU_DEP_1)
	s_or_b32 exec_lo, exec_lo, s42
	v_lshlrev_b32_e32 v4, 9, v21
	v_cmp_ne_u32_e32 vcc_lo, v11, v4
	s_and_b32 exec_lo, exec_lo, vcc_lo
	s_cbranch_execz .LBB4_153
; %bb.150:                              ;   in Loop: Header=BB4_57 Depth=2
	v_dual_add_nc_u32 v5, v18, v20 :: v_dual_lshlrev_b32 v14, 5, v19
	s_delay_alu instid0(VALU_DEP_1) | instskip(NEXT) | instid1(VALU_DEP_1)
	v_and_b32_e32 v5, 0xffffffe0, v5
	v_sub_nc_u32_e32 v5, v18, v5
	s_delay_alu instid0(VALU_DEP_1) | instskip(NEXT) | instid1(VALU_DEP_1)
	v_sub_nc_u32_e32 v5, v5, v14
	v_add_nc_u32_e32 v14, v4, v5
	s_delay_alu instid0(VALU_DEP_1) | instskip(NEXT) | instid1(VALU_DEP_1)
	v_sub_nc_u32_e32 v11, v11, v14
	v_cmp_lt_i32_e32 vcc_lo, 0, v11
	s_and_b32 exec_lo, exec_lo, vcc_lo
	s_cbranch_execz .LBB4_153
; %bb.151:                              ;   in Loop: Header=BB4_57 Depth=2
	s_trap 2
	ds_load_b64 v[4:5], v0
	v_add_nc_u32_e32 v14, v14, v9
	s_mov_b32 s42, 0
	s_delay_alu instid0(VALU_DEP_1)
	v_ashrrev_i32_e32 v15, 31, v14
.LBB4_152:                              ;   Parent Loop BB4_47 Depth=1
                                        ;     Parent Loop BB4_57 Depth=2
                                        ; =>    This Inner Loop Header: Depth=3
	s_wait_dscnt 0x0
	s_delay_alu instid0(VALU_DEP_1) | instskip(SKIP_2) | instid1(VALU_DEP_2)
	v_add_nc_u64_e32 v[16:17], v[4:5], v[14:15]
	v_sub_nc_u32_e32 v11, v11, v54
	v_add_nc_u64_e32 v[14:15], v[14:15], v[54:55]
	v_cmp_gt_i32_e32 vcc_lo, 1, v11
	flat_load_u8 v9, v[16:17] th:TH_LOAD_NT
	s_or_b32 s42, vcc_lo, s42
	s_wait_loadcnt_dscnt 0x0
	flat_store_b8 v[16:17], v9 th:TH_STORE_NT
	s_wait_xcnt 0x0
	s_and_not1_b32 exec_lo, exec_lo, s42
	s_cbranch_execnz .LBB4_152
.LBB4_153:                              ;   in Loop: Header=BB4_57 Depth=2
	s_or_b32 exec_lo, exec_lo, s13
	v_cmp_lt_i32_e64 s13, 0, v2
	s_and_saveexec_b32 s42, s2
	s_cbranch_execz .LBB4_128
.LBB4_154:                              ;   in Loop: Header=BB4_57 Depth=2
	s_and_saveexec_b32 s43, s3
	s_delay_alu instid0(SALU_CYCLE_1)
	s_xor_b32 s43, exec_lo, s43
	s_cbranch_execz .LBB4_169
; %bb.155:                              ;   in Loop: Header=BB4_57 Depth=2
	s_and_saveexec_b32 s62, s6
	s_cbranch_execz .LBB4_168
; %bb.156:                              ;   in Loop: Header=BB4_57 Depth=2
	s_mov_b32 s72, exec_lo
	s_mov_b32 s63, exec_lo
	v_mbcnt_lo_u32_b32 v2, s72, 0
	global_wb scope:SCOPE_DEV
	s_wait_storecnt 0x0
	s_wait_loadcnt_dscnt 0x0
	global_inv scope:SCOPE_DEV
	v_cmpx_eq_u32_e32 0, v2
	s_cbranch_execz .LBB4_158
; %bb.157:                              ;   in Loop: Header=BB4_57 Depth=2
	s_bcnt1_i32_b32 s72, s72
	s_delay_alu instid0(SALU_CYCLE_1)
	v_dual_mov_b32 v5, v3 :: v_dual_mov_b32 v4, s72
	s_wait_loadcnt 0x0
	ds_add_u64 v0, v[4:5]
	s_trap 2
.LBB4_158:                              ;   in Loop: Header=BB4_57 Depth=2
	s_or_b32 exec_lo, exec_lo, s63
	s_trap 2
	ds_load_b64 v[4:5], v0
	s_wait_dscnt 0x0
	v_add_nc_u64_e32 v[48:49], v[48:49], v[52:53]
	s_mov_b32 s63, exec_lo
	s_delay_alu instid0(VALU_DEP_1)
	v_cmpx_lt_u64_e64 v[4:5], v[48:49]
	s_cbranch_execz .LBB4_167
; %bb.159:                              ;   in Loop: Header=BB4_57 Depth=2
	s_mov_b32 s72, 0
	s_mov_b32 s75, 0
                                        ; implicit-def: $sgpr73
                                        ; implicit-def: $sgpr74
	s_branch .LBB4_161
.LBB4_160:                              ;   in Loop: Header=BB4_161 Depth=3
	s_or_b32 exec_lo, exec_lo, s77
	s_delay_alu instid0(SALU_CYCLE_1) | instskip(NEXT) | instid1(SALU_CYCLE_1)
	s_and_b32 s76, exec_lo, s78
	s_or_b32 s72, s76, s72
	s_and_not1_b32 s73, s73, exec_lo
	s_and_b32 s76, s74, exec_lo
	s_delay_alu instid0(SALU_CYCLE_1)
	s_or_b32 s73, s73, s76
	s_and_not1_b32 exec_lo, exec_lo, s72
	s_cbranch_execz .LBB4_165
.LBB4_161:                              ;   Parent Loop BB4_47 Depth=1
                                        ;     Parent Loop BB4_57 Depth=2
                                        ; =>    This Inner Loop Header: Depth=3
	s_add_co_i32 s75, s75, 1
	s_delay_alu instid0(SALU_CYCLE_1) | instskip(SKIP_1) | instid1(SALU_CYCLE_1)
	s_cmp_lg_u32 s75, 0x2710
	s_cselect_b32 s76, -1, 0
	s_and_b32 vcc_lo, exec_lo, s76
	s_cbranch_vccz .LBB4_163
; %bb.162:                              ;   in Loop: Header=BB4_161 Depth=3
	s_mov_b32 s78, -1
	s_or_b32 s74, s74, exec_lo
	s_and_saveexec_b32 s77, s76
	s_cbranch_execz .LBB4_160
	s_branch .LBB4_164
.LBB4_163:                              ;   in Loop: Header=BB4_161 Depth=3
	s_trap 2
	ds_load_b64 v[4:5], v0
	s_and_not1_b32 s76, s76, exec_lo
	s_mov_b32 s75, 0
	s_wait_loadcnt_dscnt 0x0
	flat_load_b32 v2, v[4:5] scope:SCOPE_SYS
	s_wait_loadcnt_dscnt 0x0
	global_inv scope:SCOPE_SYS
	v_cmp_eq_u32_e32 vcc_lo, 0, v2
	s_and_b32 s77, vcc_lo, exec_lo
	s_delay_alu instid0(SALU_CYCLE_1)
	s_or_b32 s76, s76, s77
	s_mov_b32 s78, -1
	s_or_b32 s74, s74, exec_lo
	s_wait_xcnt 0x0
	s_and_saveexec_b32 s77, s76
	s_cbranch_execz .LBB4_160
.LBB4_164:                              ;   in Loop: Header=BB4_161 Depth=3
	s_sleep 1
	s_trap 2
	ds_load_b64 v[4:5], v0
	s_wait_dscnt 0x0
	s_and_not1_b32 s74, s74, exec_lo
	v_cmp_ge_u64_e32 vcc_lo, v[4:5], v[48:49]
	s_or_not1_b32 s78, vcc_lo, exec_lo
	s_branch .LBB4_160
.LBB4_165:                              ;   in Loop: Header=BB4_57 Depth=2
	s_or_b32 exec_lo, exec_lo, s72
	s_and_saveexec_b32 s72, s73
	s_delay_alu instid0(SALU_CYCLE_1)
	s_xor_b32 s72, exec_lo, s72
	s_cbranch_execz .LBB4_167
; %bb.166:                              ;   in Loop: Header=BB4_57 Depth=2
	ds_store_b32 v0, v64
	s_trap 2
.LBB4_167:                              ;   in Loop: Header=BB4_57 Depth=2
	s_or_b32 exec_lo, exec_lo, s63
	;;#ASMSTART
	s_wakeup
	;;#ASMEND
.LBB4_168:                              ;   in Loop: Header=BB4_57 Depth=2
	s_or_b32 exec_lo, exec_lo, s62
.LBB4_169:                              ;   in Loop: Header=BB4_57 Depth=2
	s_and_not1_saveexec_b32 s43, s43
	s_cbranch_execz .LBB4_171
; %bb.170:                              ;   in Loop: Header=BB4_57 Depth=2
	global_wb scope:SCOPE_DEV
	s_wait_storecnt 0x0
	s_wait_loadcnt_dscnt 0x0
	global_inv scope:SCOPE_DEV
	s_barrier_signal -1
	s_barrier_wait -1
.LBB4_171:                              ;   in Loop: Header=BB4_57 Depth=2
	s_or_b32 exec_lo, exec_lo, s43
	s_delay_alu instid0(SALU_CYCLE_1) | instskip(SKIP_1) | instid1(SALU_CYCLE_1)
	s_or_b32 exec_lo, exec_lo, s42
                                        ; implicit-def: $vgpr2
	s_and_saveexec_b32 s42, s10
	s_xor_b32 s42, exec_lo, s42
	s_cbranch_execnz .LBB4_129
.LBB4_172:                              ;   in Loop: Header=BB4_57 Depth=2
	s_and_not1_saveexec_b32 s13, s42
	s_cbranch_execz .LBB4_191
.LBB4_173:                              ;   in Loop: Header=BB4_57 Depth=2
	s_and_saveexec_b32 s42, s3
	s_delay_alu instid0(SALU_CYCLE_1)
	s_xor_b32 s42, exec_lo, s42
	s_cbranch_execz .LBB4_188
; %bb.174:                              ;   in Loop: Header=BB4_57 Depth=2
	s_and_saveexec_b32 s43, s6
	s_cbranch_execz .LBB4_187
; %bb.175:                              ;   in Loop: Header=BB4_57 Depth=2
	s_mov_b32 s63, exec_lo
	s_mov_b32 s62, exec_lo
	v_mbcnt_lo_u32_b32 v2, s63, 0
	;;#ASMSTART
	s_waitcnt lgkmcnt(0) vmcnt(0)
	;;#ASMEND
	s_delay_alu instid0(VALU_DEP_1)
	v_cmpx_eq_u32_e32 0, v2
	s_cbranch_execz .LBB4_177
; %bb.176:                              ;   in Loop: Header=BB4_57 Depth=2
	s_bcnt1_i32_b32 s63, s63
	s_delay_alu instid0(SALU_CYCLE_1)
	v_dual_mov_b32 v5, v3 :: v_dual_mov_b32 v4, s63
	s_wait_storecnt 0x0
	s_wait_loadcnt_dscnt 0x0
	ds_add_u64 v0, v[4:5]
	s_trap 2
.LBB4_177:                              ;   in Loop: Header=BB4_57 Depth=2
	s_or_b32 exec_lo, exec_lo, s62
	s_trap 2
	ds_load_b64 v[4:5], v0
	s_wait_dscnt 0x0
	v_add_nc_u64_e32 v[48:49], v[48:49], v[52:53]
	s_mov_b32 s62, exec_lo
	s_delay_alu instid0(VALU_DEP_1)
	v_cmpx_lt_u64_e64 v[4:5], v[48:49]
	s_cbranch_execz .LBB4_186
; %bb.178:                              ;   in Loop: Header=BB4_57 Depth=2
	s_mov_b32 s63, 0
	s_mov_b32 s74, 0
                                        ; implicit-def: $sgpr72
                                        ; implicit-def: $sgpr73
	s_branch .LBB4_180
.LBB4_179:                              ;   in Loop: Header=BB4_180 Depth=3
	s_or_b32 exec_lo, exec_lo, s76
	s_delay_alu instid0(SALU_CYCLE_1) | instskip(NEXT) | instid1(SALU_CYCLE_1)
	s_and_b32 s75, exec_lo, s77
	s_or_b32 s63, s75, s63
	s_and_not1_b32 s72, s72, exec_lo
	s_and_b32 s75, s73, exec_lo
	s_delay_alu instid0(SALU_CYCLE_1)
	s_or_b32 s72, s72, s75
	s_and_not1_b32 exec_lo, exec_lo, s63
	s_cbranch_execz .LBB4_184
.LBB4_180:                              ;   Parent Loop BB4_47 Depth=1
                                        ;     Parent Loop BB4_57 Depth=2
                                        ; =>    This Inner Loop Header: Depth=3
	s_add_co_i32 s74, s74, 1
	s_delay_alu instid0(SALU_CYCLE_1) | instskip(SKIP_1) | instid1(SALU_CYCLE_1)
	s_cmp_lg_u32 s74, 0x2710
	s_cselect_b32 s75, -1, 0
	s_and_b32 vcc_lo, exec_lo, s75
	s_cbranch_vccz .LBB4_182
; %bb.181:                              ;   in Loop: Header=BB4_180 Depth=3
	s_mov_b32 s77, -1
	s_or_b32 s73, s73, exec_lo
	s_and_saveexec_b32 s76, s75
	s_cbranch_execz .LBB4_179
	s_branch .LBB4_183
.LBB4_182:                              ;   in Loop: Header=BB4_180 Depth=3
	s_trap 2
	ds_load_b64 v[4:5], v0
	s_and_not1_b32 s75, s75, exec_lo
	s_mov_b32 s74, 0
	s_wait_storecnt 0x0
	s_wait_loadcnt_dscnt 0x0
	flat_load_b32 v2, v[4:5] scope:SCOPE_SYS
	s_wait_loadcnt_dscnt 0x0
	global_inv scope:SCOPE_SYS
	v_cmp_eq_u32_e32 vcc_lo, 0, v2
	s_and_b32 s76, vcc_lo, exec_lo
	s_delay_alu instid0(SALU_CYCLE_1)
	s_or_b32 s75, s75, s76
	s_mov_b32 s77, -1
	s_or_b32 s73, s73, exec_lo
	s_wait_xcnt 0x0
	s_and_saveexec_b32 s76, s75
	s_cbranch_execz .LBB4_179
.LBB4_183:                              ;   in Loop: Header=BB4_180 Depth=3
	s_sleep 1
	s_trap 2
	ds_load_b64 v[4:5], v0
	s_wait_dscnt 0x0
	s_and_not1_b32 s73, s73, exec_lo
	v_cmp_ge_u64_e32 vcc_lo, v[4:5], v[48:49]
	s_or_not1_b32 s77, vcc_lo, exec_lo
	s_branch .LBB4_179
.LBB4_184:                              ;   in Loop: Header=BB4_57 Depth=2
	s_or_b32 exec_lo, exec_lo, s63
	s_and_saveexec_b32 s63, s72
	s_delay_alu instid0(SALU_CYCLE_1)
	s_xor_b32 s63, exec_lo, s63
	s_cbranch_execz .LBB4_186
; %bb.185:                              ;   in Loop: Header=BB4_57 Depth=2
	ds_store_b32 v0, v64
	s_trap 2
.LBB4_186:                              ;   in Loop: Header=BB4_57 Depth=2
	s_or_b32 exec_lo, exec_lo, s62
	;;#ASMSTART
	s_wakeup
	;;#ASMEND
.LBB4_187:                              ;   in Loop: Header=BB4_57 Depth=2
	s_or_b32 exec_lo, exec_lo, s43
.LBB4_188:                              ;   in Loop: Header=BB4_57 Depth=2
	s_and_not1_saveexec_b32 s42, s42
	s_cbranch_execz .LBB4_190
; %bb.189:                              ;   in Loop: Header=BB4_57 Depth=2
	;;#ASMSTART
	s_waitcnt lgkmcnt(0) vmcnt(0)
	;;#ASMEND
	s_barrier_signal -1
	s_barrier_wait -1
.LBB4_190:                              ;   in Loop: Header=BB4_57 Depth=2
	s_or_b32 exec_lo, exec_lo, s42
	v_and_b32_e32 v2, 16, v126
.LBB4_191:                              ;   in Loop: Header=BB4_57 Depth=2
	s_or_b32 exec_lo, exec_lo, s13
	s_delay_alu instid0(SALU_CYCLE_1) | instskip(NEXT) | instid1(VALU_DEP_1)
	s_mov_b32 s13, exec_lo
	v_cmpx_ne_u32_e32 0, v2
	s_cbranch_execz .LBB4_56
; %bb.192:                              ;   in Loop: Header=BB4_57 Depth=2
	s_and_saveexec_b32 s42, s5
	s_cbranch_execz .LBB4_55
; %bb.193:                              ;   in Loop: Header=BB4_57 Depth=2
	global_wb scope:SCOPE_SYS
	s_wait_storecnt 0x0
	s_wait_loadcnt_dscnt 0x0
	flat_store_b32 v[38:39], v64 scope:SCOPE_SYS
	s_branch .LBB4_55
.LBB4_194:                              ;   in Loop: Header=BB4_47 Depth=1
	s_or_b32 exec_lo, exec_lo, s15
.LBB4_195:                              ;   in Loop: Header=BB4_47 Depth=1
	s_delay_alu instid0(SALU_CYCLE_1) | instskip(NEXT) | instid1(SALU_CYCLE_1)
	s_or_b32 exec_lo, exec_lo, s14
	s_mov_b32 s14, exec_lo
	v_cmpx_gt_i32_e32 2, v2
	s_cbranch_execz .LBB4_267
; %bb.196:                              ;   in Loop: Header=BB4_47 Depth=1
	v_cmp_eq_u32_e64 s18, 0, v2
	s_mov_b32 s15, 0
	s_branch .LBB4_199
.LBB4_197:                              ;   in Loop: Header=BB4_199 Depth=2
	s_wait_xcnt 0x0
	s_or_b32 exec_lo, exec_lo, s18
	v_add_nc_u64_e32 v[114:115], 2, v[114:115]
	global_wb scope:SCOPE_SYS
	s_wait_storecnt 0x0
	s_wait_loadcnt_dscnt 0x0
	flat_store_b64 v[32:33], v[114:115] scope:SCOPE_SYS
.LBB4_198:                              ;   in Loop: Header=BB4_199 Depth=2
	s_wait_xcnt 0x0
	s_or_b32 exec_lo, exec_lo, s13
	v_add_nc_u32_e32 v10, v8, v10
	s_mov_b32 s18, 0
	s_and_not1_b32 exec_lo, exec_lo, s15
	s_cbranch_execz .LBB4_266
.LBB4_199:                              ;   Parent Loop BB4_47 Depth=1
                                        ; =>  This Loop Header: Depth=2
                                        ;       Child Loop BB4_205 Depth 3
                                        ;       Child Loop BB4_229 Depth 3
	;; [unrolled: 1-line block ×3, first 2 shown]
	s_delay_alu instid0(VALU_DEP_1) | instskip(SKIP_2) | instid1(VALU_DEP_2)
	v_sub_nc_u32_e32 v2, v1, v10
	v_and_b32_e32 v4, 8, v126
	s_mov_b32 s29, exec_lo
	v_min_i32_e32 v8, v8, v2
	s_delay_alu instid0(VALU_DEP_2)
	v_cmpx_ne_u32_e32 0, v4
	s_cbranch_execz .LBB4_221
; %bb.200:                              ;   in Loop: Header=BB4_199 Depth=2
	s_wait_loadcnt_dscnt 0x1
	v_add_nc_u64_e32 v[12:13], 8, v[50:51]
	v_add_nc_u64_e32 v[4:5], 2, v[114:115]
	s_mov_b32 s42, exec_lo
	s_delay_alu instid0(VALU_DEP_1)
	v_cmpx_lt_u64_e64 v[12:13], v[4:5]
	s_cbranch_execz .LBB4_212
; %bb.201:                              ;   in Loop: Header=BB4_199 Depth=2
	v_and_b32_e32 v2, 64, v126
	s_mov_b32 s43, 0
	s_mov_b32 s73, 0
                                        ; implicit-def: $sgpr62
                                        ; implicit-def: $sgpr63
                                        ; implicit-def: $sgpr72
	s_delay_alu instid0(VALU_DEP_1)
	v_cmp_eq_u32_e32 vcc_lo, 0, v2
	s_branch .LBB4_205
.LBB4_202:                              ;   in Loop: Header=BB4_205 Depth=3
	s_wait_loadcnt_dscnt 0x0
	v_add_nc_u64_e32 v[12:13], 8, v[50:51]
	s_or_b32 s76, s76, exec_lo
	s_delay_alu instid0(VALU_DEP_1)
	v_cmp_ge_u64_e64 s13, v[12:13], v[4:5]
	s_or_not1_b32 s75, s13, exec_lo
.LBB4_203:                              ;   in Loop: Header=BB4_205 Depth=3
	s_or_b32 exec_lo, exec_lo, s78
	s_delay_alu instid0(SALU_CYCLE_1)
	s_and_not1_b32 s13, s72, exec_lo
	s_and_b32 s72, s76, exec_lo
	s_and_not1_b32 s63, s63, exec_lo
	s_and_b32 s75, s75, exec_lo
	s_or_b32 s72, s13, s72
	s_or_b32 s63, s63, s75
.LBB4_204:                              ;   in Loop: Header=BB4_205 Depth=3
	s_or_b32 exec_lo, exec_lo, s74
	s_delay_alu instid0(SALU_CYCLE_1) | instskip(NEXT) | instid1(SALU_CYCLE_1)
	s_and_b32 s13, exec_lo, s63
	s_or_b32 s43, s13, s43
	s_and_not1_b32 s13, s62, exec_lo
	s_and_b32 s62, s72, exec_lo
	s_delay_alu instid0(SALU_CYCLE_1)
	s_or_b32 s62, s13, s62
	s_and_not1_b32 exec_lo, exec_lo, s43
	s_cbranch_execz .LBB4_209
.LBB4_205:                              ;   Parent Loop BB4_47 Depth=1
                                        ;     Parent Loop BB4_199 Depth=2
                                        ; =>    This Inner Loop Header: Depth=3
	s_sleep 1
	s_wait_loadcnt_dscnt 0x0
	flat_load_b64 v[50:51], v[32:33] scope:SCOPE_SYS
	s_or_b32 s72, s72, exec_lo
	s_or_b32 s63, s63, exec_lo
                                        ; implicit-def: $vgpr2
	s_wait_xcnt 0x0
	s_and_saveexec_b32 s74, vcc_lo
	s_cbranch_execz .LBB4_204
; %bb.206:                              ;   in Loop: Header=BB4_205 Depth=3
	s_cmp_lt_i32 s73, 0x270f
	s_mov_b32 s75, -1
	s_cselect_b32 s77, -1, 0
	s_cmp_gt_i32 s73, 0x270e
	s_cbranch_scc0 .LBB4_208
; %bb.207:                              ;   in Loop: Header=BB4_205 Depth=3
	s_trap 2
	ds_load_b64 v[12:13], v0
	s_and_not1_b32 s73, s77, exec_lo
	s_mov_b32 s76, 0
	s_wait_storecnt 0x0
	s_wait_loadcnt_dscnt 0x0
	flat_load_b32 v2, v[12:13] scope:SCOPE_SYS
	s_wait_loadcnt_dscnt 0x0
	global_inv scope:SCOPE_SYS
	v_cmp_eq_u32_e64 s13, 0, v2
	s_and_b32 s13, s13, exec_lo
	s_delay_alu instid0(SALU_CYCLE_1)
	s_or_b32 s77, s73, s13
	s_mov_b32 s73, 0
	s_wait_xcnt 0x0
	s_and_saveexec_b32 s78, s77
	s_cbranch_execz .LBB4_203
	s_branch .LBB4_202
.LBB4_208:                              ;   in Loop: Header=BB4_205 Depth=3
	s_add_co_i32 s73, s73, 1
	s_mov_b32 s76, -1
                                        ; implicit-def: $vgpr2
	s_and_saveexec_b32 s78, s77
	s_cbranch_execz .LBB4_203
	s_branch .LBB4_202
.LBB4_209:                              ;   in Loop: Header=BB4_199 Depth=2
	s_or_b32 exec_lo, exec_lo, s43
	s_xor_b32 s13, s62, -1
	s_delay_alu instid0(SALU_CYCLE_1) | instskip(NEXT) | instid1(SALU_CYCLE_1)
	s_and_saveexec_b32 s43, s13
	s_xor_b32 s13, exec_lo, s43
	s_cbranch_execz .LBB4_211
; %bb.210:                              ;   in Loop: Header=BB4_199 Depth=2
	v_or_b32_e32 v126, 64, v126
	s_wait_storecnt 0x0
	s_wait_loadcnt_dscnt 0x0
	ds_store_b32 v0, v2
	s_trap 2
.LBB4_211:                              ;   in Loop: Header=BB4_199 Depth=2
	s_or_b32 exec_lo, exec_lo, s13
.LBB4_212:                              ;   in Loop: Header=BB4_199 Depth=2
	s_delay_alu instid0(SALU_CYCLE_1)
	s_or_b32 exec_lo, exec_lo, s42
	v_and_b32_e32 v2, 0x100, v126
	v_dual_mov_b32 v13, v3 :: v_dual_bitop2_b32 v12, 7, v114 bitop3:0x40
	s_mov_b32 s13, -1
	s_mov_b32 s42, exec_lo
	;;#ASMSTART
	s_wakeup
	;;#ASMEND
                                        ; implicit-def: $vgpr14_vgpr15
	v_cmpx_ne_u32_e32 0, v2
	s_cbranch_execz .LBB4_216
; %bb.213:                              ;   in Loop: Header=BB4_199 Depth=2
	v_mad_nc_u64_u32 v[16:17], v12, 24, v[6:7]
	v_ashrrev_i32_e32 v9, 31, v8
	s_mov_b32 s43, exec_lo
                                        ; implicit-def: $vgpr14_vgpr15
	s_clause 0x1
	flat_load_b32 v2, v[16:17]
	flat_store_b64 v[16:17], v[8:9] offset:8
	s_wait_loadcnt_dscnt 0x1
	v_cmp_ne_u32_e32 vcc_lo, 1, v2
	s_wait_xcnt 0x0
	v_cmpx_eq_u32_e32 1, v2
	s_cbranch_execz .LBB4_215
; %bb.214:                              ;   in Loop: Header=BB4_199 Depth=2
	flat_load_b32 v14, v[16:17] offset:4 scope:SCOPE_SYS
	s_wait_loadcnt_dscnt 0x0
	v_ashrrev_i32_e32 v15, 31, v14
.LBB4_215:                              ;   in Loop: Header=BB4_199 Depth=2
	s_wait_xcnt 0x0
	s_or_b32 exec_lo, exec_lo, s43
	s_delay_alu instid0(SALU_CYCLE_1)
	s_or_not1_b32 s13, vcc_lo, exec_lo
.LBB4_216:                              ;   in Loop: Header=BB4_199 Depth=2
	s_or_b32 exec_lo, exec_lo, s42
	s_and_saveexec_b32 s42, s13
; %bb.217:                              ;   in Loop: Header=BB4_199 Depth=2
	v_mul_u64_e32 v[14:15], v[12:13], v[34:35]
; %bb.218:                              ;   in Loop: Header=BB4_199 Depth=2
	s_or_b32 exec_lo, exec_lo, s42
	s_delay_alu instid0(VALU_DEP_1)
	v_add_nc_u64_e32 v[12:13], v[36:37], v[14:15]
	v_and_b32_e32 v2, 0x2000, v126
	s_mov_b32 s13, exec_lo
	ds_store_b64 v0, v[12:13] offset:784
	v_cmpx_ne_u32_e32 0, v2
	s_cbranch_execz .LBB4_220
; %bb.219:                              ;   in Loop: Header=BB4_199 Depth=2
	ds_load_b64 v[12:13], v0 offset:872
	s_wait_dscnt 0x0
	v_add_nc_u64_e32 v[12:13], 1, v[12:13]
	ds_store_b64 v0, v[12:13] offset:872
.LBB4_220:                              ;   in Loop: Header=BB4_199 Depth=2
	s_or_b32 exec_lo, exec_lo, s13
	v_mov_b64_e32 v[114:115], v[4:5]
.LBB4_221:                              ;   in Loop: Header=BB4_199 Depth=2
	s_or_b32 exec_lo, exec_lo, s29
	s_xor_b32 s13, s18, -1
	s_delay_alu instid0(SALU_CYCLE_1) | instskip(NEXT) | instid1(SALU_CYCLE_1)
	s_and_b32 s13, exec_lo, s13
	s_or_b32 s15, s13, s15
	s_and_saveexec_b32 s13, s2
	s_cbranch_execz .LBB4_240
; %bb.222:                              ;   in Loop: Header=BB4_199 Depth=2
	s_and_saveexec_b32 s18, s3
	s_delay_alu instid0(SALU_CYCLE_1)
	s_xor_b32 s18, exec_lo, s18
	s_cbranch_execz .LBB4_237
; %bb.223:                              ;   in Loop: Header=BB4_199 Depth=2
	s_and_saveexec_b32 s29, s6
	s_cbranch_execz .LBB4_236
; %bb.224:                              ;   in Loop: Header=BB4_199 Depth=2
	s_mov_b32 s43, exec_lo
	s_mov_b32 s42, exec_lo
	v_mbcnt_lo_u32_b32 v2, s43, 0
	global_wb scope:SCOPE_DEV
	s_wait_storecnt 0x0
	s_wait_loadcnt_dscnt 0x0
	global_inv scope:SCOPE_DEV
	v_cmpx_eq_u32_e32 0, v2
	s_cbranch_execz .LBB4_226
; %bb.225:                              ;   in Loop: Header=BB4_199 Depth=2
	s_bcnt1_i32_b32 s43, s43
	s_delay_alu instid0(SALU_CYCLE_1)
	v_dual_mov_b32 v5, v3 :: v_dual_mov_b32 v4, s43
	s_wait_loadcnt 0x0
	ds_add_u64 v0, v[4:5]
	s_trap 2
.LBB4_226:                              ;   in Loop: Header=BB4_199 Depth=2
	s_or_b32 exec_lo, exec_lo, s42
	s_trap 2
	ds_load_b64 v[4:5], v0
	s_wait_dscnt 0x0
	v_add_nc_u64_e32 v[48:49], v[48:49], v[52:53]
	s_mov_b32 s42, exec_lo
	s_delay_alu instid0(VALU_DEP_1)
	v_cmpx_lt_u64_e64 v[4:5], v[48:49]
	s_cbranch_execz .LBB4_235
; %bb.227:                              ;   in Loop: Header=BB4_199 Depth=2
	s_mov_b32 s43, 0
	s_mov_b32 s72, 0
                                        ; implicit-def: $sgpr62
                                        ; implicit-def: $sgpr63
	s_branch .LBB4_229
.LBB4_228:                              ;   in Loop: Header=BB4_229 Depth=3
	s_or_b32 exec_lo, exec_lo, s74
	s_delay_alu instid0(SALU_CYCLE_1) | instskip(NEXT) | instid1(SALU_CYCLE_1)
	s_and_b32 s73, exec_lo, s75
	s_or_b32 s43, s73, s43
	s_and_not1_b32 s62, s62, exec_lo
	s_and_b32 s73, s63, exec_lo
	s_delay_alu instid0(SALU_CYCLE_1)
	s_or_b32 s62, s62, s73
	s_and_not1_b32 exec_lo, exec_lo, s43
	s_cbranch_execz .LBB4_233
.LBB4_229:                              ;   Parent Loop BB4_47 Depth=1
                                        ;     Parent Loop BB4_199 Depth=2
                                        ; =>    This Inner Loop Header: Depth=3
	s_add_co_i32 s72, s72, 1
	s_delay_alu instid0(SALU_CYCLE_1) | instskip(SKIP_1) | instid1(SALU_CYCLE_1)
	s_cmp_lg_u32 s72, 0x2710
	s_cselect_b32 s73, -1, 0
	s_and_b32 vcc_lo, exec_lo, s73
	s_cbranch_vccz .LBB4_231
; %bb.230:                              ;   in Loop: Header=BB4_229 Depth=3
	s_mov_b32 s75, -1
	s_or_b32 s63, s63, exec_lo
	s_and_saveexec_b32 s74, s73
	s_cbranch_execz .LBB4_228
	s_branch .LBB4_232
.LBB4_231:                              ;   in Loop: Header=BB4_229 Depth=3
	s_trap 2
	ds_load_b64 v[4:5], v0
	s_and_not1_b32 s73, s73, exec_lo
	s_mov_b32 s72, 0
	s_wait_loadcnt_dscnt 0x0
	flat_load_b32 v2, v[4:5] scope:SCOPE_SYS
	s_wait_loadcnt_dscnt 0x0
	global_inv scope:SCOPE_SYS
	v_cmp_eq_u32_e32 vcc_lo, 0, v2
	s_and_b32 s74, vcc_lo, exec_lo
	s_delay_alu instid0(SALU_CYCLE_1)
	s_or_b32 s73, s73, s74
	s_mov_b32 s75, -1
	s_or_b32 s63, s63, exec_lo
	s_wait_xcnt 0x0
	s_and_saveexec_b32 s74, s73
	s_cbranch_execz .LBB4_228
.LBB4_232:                              ;   in Loop: Header=BB4_229 Depth=3
	s_sleep 1
	s_trap 2
	ds_load_b64 v[4:5], v0
	s_wait_dscnt 0x0
	s_and_not1_b32 s63, s63, exec_lo
	v_cmp_ge_u64_e32 vcc_lo, v[4:5], v[48:49]
	s_or_not1_b32 s75, vcc_lo, exec_lo
	s_branch .LBB4_228
.LBB4_233:                              ;   in Loop: Header=BB4_199 Depth=2
	s_or_b32 exec_lo, exec_lo, s43
	s_and_saveexec_b32 s43, s62
	s_delay_alu instid0(SALU_CYCLE_1)
	s_xor_b32 s43, exec_lo, s43
	s_cbranch_execz .LBB4_235
; %bb.234:                              ;   in Loop: Header=BB4_199 Depth=2
	ds_store_b32 v0, v64
	s_trap 2
.LBB4_235:                              ;   in Loop: Header=BB4_199 Depth=2
	s_or_b32 exec_lo, exec_lo, s42
	;;#ASMSTART
	s_wakeup
	;;#ASMEND
.LBB4_236:                              ;   in Loop: Header=BB4_199 Depth=2
	s_or_b32 exec_lo, exec_lo, s29
.LBB4_237:                              ;   in Loop: Header=BB4_199 Depth=2
	s_and_not1_saveexec_b32 s18, s18
	s_cbranch_execz .LBB4_239
; %bb.238:                              ;   in Loop: Header=BB4_199 Depth=2
	global_wb scope:SCOPE_DEV
	s_wait_storecnt 0x0
	s_wait_loadcnt_dscnt 0x0
	global_inv scope:SCOPE_DEV
	s_barrier_signal -1
	s_barrier_wait -1
.LBB4_239:                              ;   in Loop: Header=BB4_199 Depth=2
	s_or_b32 exec_lo, exec_lo, s18
.LBB4_240:                              ;   in Loop: Header=BB4_199 Depth=2
	s_delay_alu instid0(SALU_CYCLE_1) | instskip(SKIP_1) | instid1(SALU_CYCLE_1)
	s_or_b32 exec_lo, exec_lo, s13
                                        ; implicit-def: $vgpr2
	s_and_saveexec_b32 s13, s10
	s_xor_b32 s18, exec_lo, s13
	s_cbranch_execz .LBB4_244
; %bb.241:                              ;   in Loop: Header=BB4_199 Depth=2
	s_trap 2
	ds_load_b32 v2, v0
	v_cmp_lt_i32_e32 vcc_lo, 0, v8
	s_wait_dscnt 0x0
	v_readfirstlane_b32 s13, v2
	v_and_b32_e32 v2, 16, v126
	s_cmp_eq_u32 s13, 0
	s_delay_alu instid0(VALU_DEP_1) | instskip(SKIP_3) | instid1(SALU_CYCLE_1)
	v_cmp_ne_u32_e64 s13, 0, v2
	s_cselect_b32 s29, -1, 0
	v_and_b32_e32 v2, 16, v126
	s_and_b32 s29, vcc_lo, s29
	s_and_b32 s29, s13, s29
	s_delay_alu instid0(SALU_CYCLE_1)
	s_and_saveexec_b32 s13, s29
	s_cbranch_execz .LBB4_243
; %bb.242:                              ;   in Loop: Header=BB4_199 Depth=2
	v_mov_b32_e32 v2, 1
	global_wb scope:SCOPE_SYS
	s_wait_loadcnt 0x0
	s_wait_storecnt 0x0
	global_inv scope:SCOPE_SYS
.LBB4_243:                              ;   in Loop: Header=BB4_199 Depth=2
	s_or_b32 exec_lo, exec_lo, s13
	s_and_not1_saveexec_b32 s13, s18
	s_cbranch_execz .LBB4_263
	s_branch .LBB4_245
.LBB4_244:                              ;   in Loop: Header=BB4_199 Depth=2
	s_and_not1_saveexec_b32 s13, s18
	s_cbranch_execz .LBB4_263
.LBB4_245:                              ;   in Loop: Header=BB4_199 Depth=2
	s_and_saveexec_b32 s18, s3
	s_delay_alu instid0(SALU_CYCLE_1)
	s_xor_b32 s18, exec_lo, s18
	s_cbranch_execz .LBB4_260
; %bb.246:                              ;   in Loop: Header=BB4_199 Depth=2
	s_and_saveexec_b32 s29, s6
	s_cbranch_execz .LBB4_259
; %bb.247:                              ;   in Loop: Header=BB4_199 Depth=2
	s_mov_b32 s43, exec_lo
	s_mov_b32 s42, exec_lo
	v_mbcnt_lo_u32_b32 v2, s43, 0
	;;#ASMSTART
	s_waitcnt lgkmcnt(0) vmcnt(0)
	;;#ASMEND
	s_delay_alu instid0(VALU_DEP_1)
	v_cmpx_eq_u32_e32 0, v2
	s_cbranch_execz .LBB4_249
; %bb.248:                              ;   in Loop: Header=BB4_199 Depth=2
	s_bcnt1_i32_b32 s43, s43
	s_delay_alu instid0(SALU_CYCLE_1)
	v_dual_mov_b32 v5, v3 :: v_dual_mov_b32 v4, s43
	s_wait_storecnt 0x0
	s_wait_loadcnt_dscnt 0x0
	ds_add_u64 v0, v[4:5]
	s_trap 2
.LBB4_249:                              ;   in Loop: Header=BB4_199 Depth=2
	s_or_b32 exec_lo, exec_lo, s42
	s_trap 2
	ds_load_b64 v[4:5], v0
	s_wait_dscnt 0x0
	v_add_nc_u64_e32 v[48:49], v[48:49], v[52:53]
	s_mov_b32 s42, exec_lo
	s_delay_alu instid0(VALU_DEP_1)
	v_cmpx_lt_u64_e64 v[4:5], v[48:49]
	s_cbranch_execz .LBB4_258
; %bb.250:                              ;   in Loop: Header=BB4_199 Depth=2
	s_mov_b32 s43, 0
	s_mov_b32 s72, 0
                                        ; implicit-def: $sgpr62
                                        ; implicit-def: $sgpr63
	s_branch .LBB4_252
.LBB4_251:                              ;   in Loop: Header=BB4_252 Depth=3
	s_or_b32 exec_lo, exec_lo, s74
	s_delay_alu instid0(SALU_CYCLE_1) | instskip(NEXT) | instid1(SALU_CYCLE_1)
	s_and_b32 s73, exec_lo, s75
	s_or_b32 s43, s73, s43
	s_and_not1_b32 s62, s62, exec_lo
	s_and_b32 s73, s63, exec_lo
	s_delay_alu instid0(SALU_CYCLE_1)
	s_or_b32 s62, s62, s73
	s_and_not1_b32 exec_lo, exec_lo, s43
	s_cbranch_execz .LBB4_256
.LBB4_252:                              ;   Parent Loop BB4_47 Depth=1
                                        ;     Parent Loop BB4_199 Depth=2
                                        ; =>    This Inner Loop Header: Depth=3
	s_add_co_i32 s72, s72, 1
	s_delay_alu instid0(SALU_CYCLE_1) | instskip(SKIP_1) | instid1(SALU_CYCLE_1)
	s_cmp_lg_u32 s72, 0x2710
	s_cselect_b32 s73, -1, 0
	s_and_b32 vcc_lo, exec_lo, s73
	s_cbranch_vccz .LBB4_254
; %bb.253:                              ;   in Loop: Header=BB4_252 Depth=3
	s_mov_b32 s75, -1
	s_or_b32 s63, s63, exec_lo
	s_and_saveexec_b32 s74, s73
	s_cbranch_execz .LBB4_251
	s_branch .LBB4_255
.LBB4_254:                              ;   in Loop: Header=BB4_252 Depth=3
	s_trap 2
	ds_load_b64 v[4:5], v0
	s_and_not1_b32 s73, s73, exec_lo
	s_mov_b32 s72, 0
	s_wait_storecnt 0x0
	s_wait_loadcnt_dscnt 0x0
	flat_load_b32 v2, v[4:5] scope:SCOPE_SYS
	s_wait_loadcnt_dscnt 0x0
	global_inv scope:SCOPE_SYS
	v_cmp_eq_u32_e32 vcc_lo, 0, v2
	s_and_b32 s74, vcc_lo, exec_lo
	s_delay_alu instid0(SALU_CYCLE_1)
	s_or_b32 s73, s73, s74
	s_mov_b32 s75, -1
	s_or_b32 s63, s63, exec_lo
	s_wait_xcnt 0x0
	s_and_saveexec_b32 s74, s73
	s_cbranch_execz .LBB4_251
.LBB4_255:                              ;   in Loop: Header=BB4_252 Depth=3
	s_sleep 1
	s_trap 2
	ds_load_b64 v[4:5], v0
	s_wait_dscnt 0x0
	s_and_not1_b32 s63, s63, exec_lo
	v_cmp_ge_u64_e32 vcc_lo, v[4:5], v[48:49]
	s_or_not1_b32 s75, vcc_lo, exec_lo
	s_branch .LBB4_251
.LBB4_256:                              ;   in Loop: Header=BB4_199 Depth=2
	s_or_b32 exec_lo, exec_lo, s43
	s_and_saveexec_b32 s43, s62
	s_delay_alu instid0(SALU_CYCLE_1)
	s_xor_b32 s43, exec_lo, s43
	s_cbranch_execz .LBB4_258
; %bb.257:                              ;   in Loop: Header=BB4_199 Depth=2
	ds_store_b32 v0, v64
	s_trap 2
.LBB4_258:                              ;   in Loop: Header=BB4_199 Depth=2
	s_or_b32 exec_lo, exec_lo, s42
	;;#ASMSTART
	s_wakeup
	;;#ASMEND
.LBB4_259:                              ;   in Loop: Header=BB4_199 Depth=2
	s_or_b32 exec_lo, exec_lo, s29
.LBB4_260:                              ;   in Loop: Header=BB4_199 Depth=2
	s_and_not1_saveexec_b32 s18, s18
	s_cbranch_execz .LBB4_262
; %bb.261:                              ;   in Loop: Header=BB4_199 Depth=2
	;;#ASMSTART
	s_waitcnt lgkmcnt(0) vmcnt(0)
	;;#ASMEND
	s_barrier_signal -1
	s_barrier_wait -1
.LBB4_262:                              ;   in Loop: Header=BB4_199 Depth=2
	s_or_b32 exec_lo, exec_lo, s18
	v_and_b32_e32 v2, 16, v126
.LBB4_263:                              ;   in Loop: Header=BB4_199 Depth=2
	s_or_b32 exec_lo, exec_lo, s13
	s_delay_alu instid0(SALU_CYCLE_1) | instskip(NEXT) | instid1(VALU_DEP_1)
	s_mov_b32 s13, exec_lo
	v_cmpx_ne_u32_e32 0, v2
	s_cbranch_execz .LBB4_198
; %bb.264:                              ;   in Loop: Header=BB4_199 Depth=2
	s_and_saveexec_b32 s18, s5
	s_cbranch_execz .LBB4_197
; %bb.265:                              ;   in Loop: Header=BB4_199 Depth=2
	global_wb scope:SCOPE_SYS
	s_wait_storecnt 0x0
	s_wait_loadcnt_dscnt 0x0
	flat_store_b32 v[38:39], v64 scope:SCOPE_SYS
	s_branch .LBB4_197
.LBB4_266:                              ;   in Loop: Header=BB4_47 Depth=1
	s_or_b32 exec_lo, exec_lo, s15
.LBB4_267:                              ;   in Loop: Header=BB4_47 Depth=1
	s_delay_alu instid0(SALU_CYCLE_1) | instskip(NEXT) | instid1(SALU_CYCLE_1)
	s_or_b32 exec_lo, exec_lo, s14
	s_and_not1_b32 vcc_lo, exec_lo, s56
	s_cbranch_vccnz .LBB4_3096
; %bb.268:                              ;   in Loop: Header=BB4_47 Depth=1
	s_mov_b32 s15, 2
	s_branch .LBB4_271
.LBB4_269:                              ;   in Loop: Header=BB4_271 Depth=2
	s_or_b32 exec_lo, exec_lo, s18
.LBB4_270:                              ;   in Loop: Header=BB4_271 Depth=2
	s_delay_alu instid0(SALU_CYCLE_1) | instskip(SKIP_1) | instid1(SALU_CYCLE_1)
	s_or_b32 exec_lo, exec_lo, s14
	s_add_co_i32 s15, s15, 1
	s_cmp_eq_u32 s15, s16
	s_cbranch_scc1 .LBB4_3096
.LBB4_271:                              ;   Parent Loop BB4_47 Depth=1
                                        ; =>  This Loop Header: Depth=2
                                        ;       Child Loop BB4_274 Depth 3
                                        ;         Child Loop BB4_282 Depth 4
                                        ;         Child Loop BB4_310 Depth 4
	;; [unrolled: 1-line block ×9, first 2 shown]
                                        ;       Child Loop BB4_3024 Depth 3
                                        ;         Child Loop BB4_3030 Depth 4
                                        ;         Child Loop BB4_3058 Depth 4
	;; [unrolled: 1-line block ×3, first 2 shown]
	s_clause 0x1
	scratch_load_b64 v[8:9], off, s33 offset:208
	scratch_load_b64 v[4:5], off, s33 offset:200
	s_sub_co_i32 s13, s46, s15
	s_mov_b32 s29, 0
	s_cmp_ge_i32 s13, s16
	v_mov_b32_e32 v42, 0
	s_cselect_b32 s14, s16, 0
	s_delay_alu instid0(SALU_CYCLE_1) | instskip(NEXT) | instid1(SALU_CYCLE_1)
	s_sub_co_i32 s42, s13, s14
	s_ashr_i32 s43, s42, 31
	s_wait_loadcnt 0x1
	v_mul_u64_e32 v[44:45], s[42:43], v[8:9]
	s_wait_loadcnt 0x0
	s_delay_alu instid0(VALU_DEP_1) | instskip(NEXT) | instid1(VALU_DEP_1)
	v_sub_nc_u64_e32 v[4:5], v[4:5], v[44:45]
	v_min_i64 v[4:5], v[8:9], v[4:5]
	s_delay_alu instid0(VALU_DEP_1) | instskip(SKIP_1) | instid1(VALU_DEP_2)
	v_max_i32_e32 v1, 0, v4
	v_cmp_lt_i32_e32 vcc_lo, 0, v4
	v_add_nc_u32_e32 v2, 31, v1
	s_and_b32 s13, s59, vcc_lo
	s_delay_alu instid0(VALU_DEP_1) | instskip(NEXT) | instid1(VALU_DEP_1)
	v_lshrrev_b32_e32 v2, 1, v2
	v_and_b32_e32 v5, 0x3ffffff0, v2
	s_delay_alu instid0(VALU_DEP_1)
	v_dual_mov_b32 v2, 0 :: v_dual_max_i32 v40, s47, v5
	s_wait_xcnt 0x0
	s_and_saveexec_b32 s18, s13
	s_cbranch_execz .LBB4_3021
; %bb.272:                              ;   in Loop: Header=BB4_271 Depth=2
	v_mov_b32_e32 v42, 0
	s_mov_b32 s43, 1
	s_mov_b32 s42, -1
	s_branch .LBB4_274
.LBB4_273:                              ;   in Loop: Header=BB4_274 Depth=3
	s_wait_xcnt 0x0
	s_or_b32 exec_lo, exec_lo, s13
	v_dual_add_nc_u32 v42, v40, v42 :: v_dual_mov_b32 v2, s43
	s_xor_b32 s13, s42, -1
	s_mov_b32 s42, 0
	s_mov_b32 s43, 2
	s_delay_alu instid0(VALU_DEP_1) | instskip(SKIP_1) | instid1(SALU_CYCLE_1)
	v_cmp_ge_i32_e32 vcc_lo, v42, v1
	s_or_b32 s13, s13, vcc_lo
	s_and_b32 s13, exec_lo, s13
	s_delay_alu instid0(SALU_CYCLE_1) | instskip(NEXT) | instid1(SALU_CYCLE_1)
	s_or_b32 s29, s13, s29
	s_and_not1_b32 exec_lo, exec_lo, s29
	s_cbranch_execz .LBB4_3020
.LBB4_274:                              ;   Parent Loop BB4_47 Depth=1
                                        ;     Parent Loop BB4_271 Depth=2
                                        ; =>    This Loop Header: Depth=3
                                        ;         Child Loop BB4_282 Depth 4
                                        ;         Child Loop BB4_310 Depth 4
	;; [unrolled: 1-line block ×9, first 2 shown]
	s_and_saveexec_b32 s13, s0
	s_cbranch_execz .LBB4_276
; %bb.275:                              ;   in Loop: Header=BB4_274 Depth=3
	s_trap 2
	scratch_load_b64 v[8:9], off, s33 offset:188 ; 8-byte Folded Reload
	ds_load_b64 v[4:5], v0
	v_ashrrev_i32_e32 v43, 31, v42
	s_wait_loadcnt_dscnt 0x0
	v_add_nc_u64_e32 v[4:5], v[4:5], v[8:9]
	s_delay_alu instid0(VALU_DEP_1) | instskip(NEXT) | instid1(VALU_DEP_1)
	v_add_nc_u64_e32 v[4:5], v[4:5], v[44:45]
	v_add_nc_u64_e32 v[4:5], v[4:5], v[42:43]
	ds_store_b64 v0, v[4:5]
	ds_store_b64 v0, v[60:61]
.LBB4_276:                              ;   in Loop: Header=BB4_274 Depth=3
	s_wait_xcnt 0x0
	s_or_b32 exec_lo, exec_lo, s13
	v_sub_nc_u32_e32 v2, v1, v42
	v_and_b32_e32 v4, 12, v126
	s_mov_b32 s14, exec_lo
	s_delay_alu instid0(VALU_DEP_2) | instskip(NEXT) | instid1(VALU_DEP_2)
	v_min_i32_e32 v40, v40, v2
	v_cmpx_ne_u32_e32 0, v4
	s_cbranch_execz .LBB4_302
; %bb.277:                              ;   in Loop: Header=BB4_274 Depth=3
	v_and_b32_e32 v2, 8, v126
	v_add_nc_u64_e32 v[4:5], 2, v[114:115]
	s_mov_b32 s62, exec_lo
	s_wait_loadcnt_dscnt 0x1
	s_delay_alu instid0(VALU_DEP_2) | instskip(NEXT) | instid1(VALU_DEP_1)
	v_add_nc_u64_e32 v[8:9], v[50:51], v[2:3]
	v_cmpx_lt_u64_e64 v[8:9], v[4:5]
	s_cbranch_execz .LBB4_289
; %bb.278:                              ;   in Loop: Header=BB4_274 Depth=3
	v_and_b32_e32 v8, 64, v126
	s_mov_b32 s63, 0
	s_mov_b32 s75, 0
                                        ; implicit-def: $sgpr72
                                        ; implicit-def: $sgpr73
                                        ; implicit-def: $sgpr74
	s_delay_alu instid0(VALU_DEP_1)
	v_cmp_eq_u32_e32 vcc_lo, 0, v8
	s_branch .LBB4_282
.LBB4_279:                              ;   in Loop: Header=BB4_282 Depth=4
	s_wait_loadcnt_dscnt 0x0
	v_add_nc_u64_e32 v[10:11], v[50:51], v[2:3]
	s_or_b32 s78, s78, exec_lo
	s_delay_alu instid0(VALU_DEP_1)
	v_cmp_ge_u64_e64 s13, v[10:11], v[4:5]
	s_or_not1_b32 s77, s13, exec_lo
.LBB4_280:                              ;   in Loop: Header=BB4_282 Depth=4
	s_or_b32 exec_lo, exec_lo, s88
	s_delay_alu instid0(SALU_CYCLE_1)
	s_and_not1_b32 s13, s74, exec_lo
	s_and_b32 s74, s78, exec_lo
	s_and_not1_b32 s73, s73, exec_lo
	s_and_b32 s77, s77, exec_lo
	s_or_b32 s74, s13, s74
	s_or_b32 s73, s73, s77
.LBB4_281:                              ;   in Loop: Header=BB4_282 Depth=4
	s_or_b32 exec_lo, exec_lo, s76
	s_delay_alu instid0(SALU_CYCLE_1) | instskip(NEXT) | instid1(SALU_CYCLE_1)
	s_and_b32 s13, exec_lo, s73
	s_or_b32 s63, s13, s63
	s_and_not1_b32 s13, s72, exec_lo
	s_and_b32 s72, s74, exec_lo
	s_delay_alu instid0(SALU_CYCLE_1)
	s_or_b32 s72, s13, s72
	s_and_not1_b32 exec_lo, exec_lo, s63
	s_cbranch_execz .LBB4_286
.LBB4_282:                              ;   Parent Loop BB4_47 Depth=1
                                        ;     Parent Loop BB4_271 Depth=2
                                        ;       Parent Loop BB4_274 Depth=3
                                        ; =>      This Inner Loop Header: Depth=4
	s_sleep 1
	s_wait_loadcnt_dscnt 0x0
	flat_load_b64 v[50:51], v[32:33] scope:SCOPE_SYS
	s_or_b32 s74, s74, exec_lo
	s_or_b32 s73, s73, exec_lo
                                        ; implicit-def: $vgpr8
	s_wait_xcnt 0x0
	s_and_saveexec_b32 s76, vcc_lo
	s_cbranch_execz .LBB4_281
; %bb.283:                              ;   in Loop: Header=BB4_282 Depth=4
	s_cmp_lt_i32 s75, 0x270f
	s_mov_b32 s77, -1
	s_cselect_b32 s79, -1, 0
	s_cmp_gt_i32 s75, 0x270e
	s_cbranch_scc0 .LBB4_285
; %bb.284:                              ;   in Loop: Header=BB4_282 Depth=4
	s_trap 2
	ds_load_b64 v[8:9], v0
	s_and_not1_b32 s75, s79, exec_lo
	s_mov_b32 s78, 0
	s_wait_storecnt 0x0
	s_wait_loadcnt_dscnt 0x0
	flat_load_b32 v8, v[8:9] scope:SCOPE_SYS
	s_wait_loadcnt_dscnt 0x0
	global_inv scope:SCOPE_SYS
	v_cmp_eq_u32_e64 s13, 0, v8
	s_and_b32 s13, s13, exec_lo
	s_delay_alu instid0(SALU_CYCLE_1)
	s_or_b32 s79, s75, s13
	s_mov_b32 s75, 0
	s_wait_xcnt 0x0
	s_and_saveexec_b32 s88, s79
	s_cbranch_execz .LBB4_280
	s_branch .LBB4_279
.LBB4_285:                              ;   in Loop: Header=BB4_282 Depth=4
	s_add_co_i32 s75, s75, 1
	s_mov_b32 s78, -1
                                        ; implicit-def: $vgpr8
	s_and_saveexec_b32 s88, s79
	s_cbranch_execz .LBB4_280
	s_branch .LBB4_279
.LBB4_286:                              ;   in Loop: Header=BB4_274 Depth=3
	s_or_b32 exec_lo, exec_lo, s63
	s_xor_b32 s13, s72, -1
	s_delay_alu instid0(SALU_CYCLE_1) | instskip(NEXT) | instid1(SALU_CYCLE_1)
	s_and_saveexec_b32 s63, s13
	s_xor_b32 s13, exec_lo, s63
	s_cbranch_execz .LBB4_288
; %bb.287:                              ;   in Loop: Header=BB4_274 Depth=3
	v_or_b32_e32 v126, 64, v126
	s_wait_storecnt 0x0
	s_wait_loadcnt_dscnt 0x0
	ds_store_b32 v0, v8
	s_trap 2
.LBB4_288:                              ;   in Loop: Header=BB4_274 Depth=3
	s_or_b32 exec_lo, exec_lo, s13
.LBB4_289:                              ;   in Loop: Header=BB4_274 Depth=3
	s_delay_alu instid0(SALU_CYCLE_1) | instskip(SKIP_2) | instid1(VALU_DEP_1)
	s_or_b32 exec_lo, exec_lo, s62
	v_and_b32_e32 v8, 0x108, v126
	;;#ASMSTART
	s_wakeup
	;;#ASMEND
	v_cmp_ne_u32_e32 vcc_lo, 0x108, v8
                                        ; implicit-def: $vgpr8_vgpr9
	s_and_saveexec_b32 s13, vcc_lo
	s_delay_alu instid0(SALU_CYCLE_1)
	s_xor_b32 s13, exec_lo, s13
; %bb.290:                              ;   in Loop: Header=BB4_274 Depth=3
	v_dual_mov_b32 v9, v3 :: v_dual_bitop2_b32 v8, 7, v114 bitop3:0x40
                                        ; implicit-def: $vgpr114_vgpr115
; %bb.291:                              ;   in Loop: Header=BB4_274 Depth=3
	s_and_not1_saveexec_b32 s13, s13
	s_cbranch_execz .LBB4_293
; %bb.292:                              ;   in Loop: Header=BB4_274 Depth=3
	v_dual_ashrrev_i32 v41, 31, v40 :: v_dual_bitop2_b32 v8, 7, v114 bitop3:0x40
	v_mov_b32_e32 v9, v3
	s_delay_alu instid0(VALU_DEP_2)
	v_mad_nc_u64_u32 v[10:11], v8, 24, v[6:7]
	flat_store_b64 v[10:11], v[40:41] offset:8
.LBB4_293:                              ;   in Loop: Header=BB4_274 Depth=3
	s_wait_xcnt 0x0
	s_or_b32 exec_lo, exec_lo, s13
	v_and_b32_e32 v10, 0x100, v126
	s_mov_b32 s13, -1
	s_delay_alu instid0(VALU_DEP_1)
	v_cmp_ne_u32_e32 vcc_lo, 0, v10
                                        ; implicit-def: $vgpr10_vgpr11
	s_and_saveexec_b32 s62, vcc_lo
	s_cbranch_execz .LBB4_297
; %bb.294:                              ;   in Loop: Header=BB4_274 Depth=3
	v_mad_nc_u64_u32 v[12:13], v8, 24, v[6:7]
	s_delay_alu instid0(VALU_DEP_1)
	v_mad_u32 v13, v9, 24, v13
	flat_load_b32 v10, v[12:13]
	s_wait_loadcnt_dscnt 0x0
	v_cmp_eq_u32_e64 s13, 1, v10
	v_cmp_ne_u32_e32 vcc_lo, 1, v10
                                        ; implicit-def: $vgpr10_vgpr11
	s_wait_xcnt 0x0
	s_and_saveexec_b32 s63, s13
	s_cbranch_execz .LBB4_296
; %bb.295:                              ;   in Loop: Header=BB4_274 Depth=3
	flat_load_b32 v10, v[12:13] offset:4 scope:SCOPE_SYS
	s_wait_loadcnt_dscnt 0x0
	v_ashrrev_i32_e32 v11, 31, v10
.LBB4_296:                              ;   in Loop: Header=BB4_274 Depth=3
	s_wait_xcnt 0x0
	s_or_b32 exec_lo, exec_lo, s63
	s_delay_alu instid0(SALU_CYCLE_1)
	s_or_not1_b32 s13, vcc_lo, exec_lo
.LBB4_297:                              ;   in Loop: Header=BB4_274 Depth=3
	s_or_b32 exec_lo, exec_lo, s62
	s_and_saveexec_b32 s62, s13
; %bb.298:                              ;   in Loop: Header=BB4_274 Depth=3
	v_mul_u64_e32 v[10:11], v[8:9], v[34:35]
; %bb.299:                              ;   in Loop: Header=BB4_274 Depth=3
	s_or_b32 exec_lo, exec_lo, s62
	v_cmp_eq_u32_e32 vcc_lo, 0, v2
	s_delay_alu instid0(VALU_DEP_2) | instskip(SKIP_3) | instid1(VALU_DEP_1)
	v_add_nc_u64_e32 v[8:9], v[36:37], v[10:11]
	v_and_b32_e32 v12, 0x2000, v126
	s_mov_b32 s13, exec_lo
	v_cndmask_b32_e32 v2, 0xc8, v65, vcc_lo
	v_add_nc_u32_e32 v2, v0, v2
	ds_store_b64 v2, v[8:9] offset:584
	v_cmpx_ne_u32_e32 0, v12
	s_cbranch_execz .LBB4_301
; %bb.300:                              ;   in Loop: Header=BB4_274 Depth=3
	ds_load_b64 v[8:9], v0 offset:872
	s_wait_dscnt 0x0
	v_add_nc_u64_e32 v[8:9], 1, v[8:9]
	ds_store_b64 v0, v[8:9] offset:872
.LBB4_301:                              ;   in Loop: Header=BB4_274 Depth=3
	s_or_b32 exec_lo, exec_lo, s13
	v_mov_b64_e32 v[114:115], v[4:5]
.LBB4_302:                              ;   in Loop: Header=BB4_274 Depth=3
	s_or_b32 exec_lo, exec_lo, s14
	s_and_saveexec_b32 s13, s2
	s_cbranch_execz .LBB4_321
; %bb.303:                              ;   in Loop: Header=BB4_274 Depth=3
	s_and_saveexec_b32 s14, s3
	s_delay_alu instid0(SALU_CYCLE_1)
	s_xor_b32 s14, exec_lo, s14
	s_cbranch_execz .LBB4_318
; %bb.304:                              ;   in Loop: Header=BB4_274 Depth=3
	s_and_saveexec_b32 s62, s6
	s_cbranch_execz .LBB4_317
; %bb.305:                              ;   in Loop: Header=BB4_274 Depth=3
	s_mov_b32 s72, exec_lo
	s_mov_b32 s63, exec_lo
	v_mbcnt_lo_u32_b32 v2, s72, 0
	global_wb scope:SCOPE_DEV
	s_wait_storecnt 0x0
	s_wait_loadcnt_dscnt 0x0
	global_inv scope:SCOPE_DEV
	v_cmpx_eq_u32_e32 0, v2
	s_cbranch_execz .LBB4_307
; %bb.306:                              ;   in Loop: Header=BB4_274 Depth=3
	s_bcnt1_i32_b32 s72, s72
	s_delay_alu instid0(SALU_CYCLE_1)
	v_dual_mov_b32 v5, v3 :: v_dual_mov_b32 v4, s72
	s_wait_loadcnt 0x0
	ds_add_u64 v0, v[4:5]
	s_trap 2
.LBB4_307:                              ;   in Loop: Header=BB4_274 Depth=3
	s_or_b32 exec_lo, exec_lo, s63
	s_trap 2
	ds_load_b64 v[4:5], v0
	s_wait_dscnt 0x0
	v_add_nc_u64_e32 v[48:49], v[48:49], v[52:53]
	s_mov_b32 s63, exec_lo
	s_delay_alu instid0(VALU_DEP_1)
	v_cmpx_lt_u64_e64 v[4:5], v[48:49]
	s_cbranch_execz .LBB4_316
; %bb.308:                              ;   in Loop: Header=BB4_274 Depth=3
	s_mov_b32 s72, 0
	s_mov_b32 s75, 0
                                        ; implicit-def: $sgpr73
                                        ; implicit-def: $sgpr74
	s_branch .LBB4_310
.LBB4_309:                              ;   in Loop: Header=BB4_310 Depth=4
	s_or_b32 exec_lo, exec_lo, s77
	s_delay_alu instid0(SALU_CYCLE_1) | instskip(NEXT) | instid1(SALU_CYCLE_1)
	s_and_b32 s76, exec_lo, s78
	s_or_b32 s72, s76, s72
	s_and_not1_b32 s73, s73, exec_lo
	s_and_b32 s76, s74, exec_lo
	s_delay_alu instid0(SALU_CYCLE_1)
	s_or_b32 s73, s73, s76
	s_and_not1_b32 exec_lo, exec_lo, s72
	s_cbranch_execz .LBB4_314
.LBB4_310:                              ;   Parent Loop BB4_47 Depth=1
                                        ;     Parent Loop BB4_271 Depth=2
                                        ;       Parent Loop BB4_274 Depth=3
                                        ; =>      This Inner Loop Header: Depth=4
	s_add_co_i32 s75, s75, 1
	s_delay_alu instid0(SALU_CYCLE_1) | instskip(SKIP_1) | instid1(SALU_CYCLE_1)
	s_cmp_lg_u32 s75, 0x2710
	s_cselect_b32 s76, -1, 0
	s_and_b32 vcc_lo, exec_lo, s76
	s_cbranch_vccz .LBB4_312
; %bb.311:                              ;   in Loop: Header=BB4_310 Depth=4
	s_mov_b32 s78, -1
	s_or_b32 s74, s74, exec_lo
	s_and_saveexec_b32 s77, s76
	s_cbranch_execz .LBB4_309
	s_branch .LBB4_313
.LBB4_312:                              ;   in Loop: Header=BB4_310 Depth=4
	s_trap 2
	ds_load_b64 v[4:5], v0
	s_and_not1_b32 s76, s76, exec_lo
	s_mov_b32 s75, 0
	s_wait_loadcnt_dscnt 0x0
	flat_load_b32 v2, v[4:5] scope:SCOPE_SYS
	s_wait_loadcnt_dscnt 0x0
	global_inv scope:SCOPE_SYS
	v_cmp_eq_u32_e32 vcc_lo, 0, v2
	s_and_b32 s77, vcc_lo, exec_lo
	s_delay_alu instid0(SALU_CYCLE_1)
	s_or_b32 s76, s76, s77
	s_mov_b32 s78, -1
	s_or_b32 s74, s74, exec_lo
	s_wait_xcnt 0x0
	s_and_saveexec_b32 s77, s76
	s_cbranch_execz .LBB4_309
.LBB4_313:                              ;   in Loop: Header=BB4_310 Depth=4
	s_sleep 1
	s_trap 2
	ds_load_b64 v[4:5], v0
	s_wait_dscnt 0x0
	s_and_not1_b32 s74, s74, exec_lo
	v_cmp_ge_u64_e32 vcc_lo, v[4:5], v[48:49]
	s_or_not1_b32 s78, vcc_lo, exec_lo
	s_branch .LBB4_309
.LBB4_314:                              ;   in Loop: Header=BB4_274 Depth=3
	s_or_b32 exec_lo, exec_lo, s72
	s_and_saveexec_b32 s72, s73
	s_delay_alu instid0(SALU_CYCLE_1)
	s_xor_b32 s72, exec_lo, s72
	s_cbranch_execz .LBB4_316
; %bb.315:                              ;   in Loop: Header=BB4_274 Depth=3
	ds_store_b32 v0, v64
	s_trap 2
.LBB4_316:                              ;   in Loop: Header=BB4_274 Depth=3
	s_or_b32 exec_lo, exec_lo, s63
	;;#ASMSTART
	s_wakeup
	;;#ASMEND
.LBB4_317:                              ;   in Loop: Header=BB4_274 Depth=3
	s_or_b32 exec_lo, exec_lo, s62
.LBB4_318:                              ;   in Loop: Header=BB4_274 Depth=3
	s_and_not1_saveexec_b32 s14, s14
	s_cbranch_execz .LBB4_320
; %bb.319:                              ;   in Loop: Header=BB4_274 Depth=3
	global_wb scope:SCOPE_DEV
	s_wait_storecnt 0x0
	s_wait_loadcnt_dscnt 0x0
	global_inv scope:SCOPE_DEV
	s_barrier_signal -1
	s_barrier_wait -1
.LBB4_320:                              ;   in Loop: Header=BB4_274 Depth=3
	s_or_b32 exec_lo, exec_lo, s14
.LBB4_321:                              ;   in Loop: Header=BB4_274 Depth=3
	s_delay_alu instid0(SALU_CYCLE_1) | instskip(SKIP_4) | instid1(VALU_DEP_1)
	s_or_b32 exec_lo, exec_lo, s13
	s_trap 2
	ds_load_b32 v2, v0
	v_and_b32_e32 v4, 0x4000, v126
	s_xor_b32 s13, s1, -1
	v_cmp_ne_u32_e32 vcc_lo, 0, v4
	s_and_b32 s14, s13, vcc_lo
	s_delay_alu instid0(SALU_CYCLE_1)
	s_and_saveexec_b32 s13, s14
	s_cbranch_execz .LBB4_340
; %bb.322:                              ;   in Loop: Header=BB4_274 Depth=3
	s_and_saveexec_b32 s14, s3
	s_delay_alu instid0(SALU_CYCLE_1)
	s_xor_b32 s14, exec_lo, s14
	s_cbranch_execz .LBB4_337
; %bb.323:                              ;   in Loop: Header=BB4_274 Depth=3
	s_and_saveexec_b32 s62, s6
	s_cbranch_execz .LBB4_336
; %bb.324:                              ;   in Loop: Header=BB4_274 Depth=3
	s_mov_b32 s72, exec_lo
	s_mov_b32 s63, exec_lo
	v_mbcnt_lo_u32_b32 v4, s72, 0
	global_wb scope:SCOPE_DEV
	s_wait_storecnt 0x0
	s_wait_loadcnt_dscnt 0x0
	global_inv scope:SCOPE_DEV
	v_cmpx_eq_u32_e32 0, v4
	s_cbranch_execz .LBB4_326
; %bb.325:                              ;   in Loop: Header=BB4_274 Depth=3
	s_bcnt1_i32_b32 s72, s72
	s_delay_alu instid0(SALU_CYCLE_1)
	v_dual_mov_b32 v5, v3 :: v_dual_mov_b32 v4, s72
	s_wait_loadcnt 0x0
	ds_add_u64 v0, v[4:5]
	s_trap 2
.LBB4_326:                              ;   in Loop: Header=BB4_274 Depth=3
	s_or_b32 exec_lo, exec_lo, s63
	s_trap 2
	ds_load_b64 v[4:5], v0
	s_wait_dscnt 0x0
	v_add_nc_u64_e32 v[48:49], v[48:49], v[52:53]
	s_mov_b32 s63, exec_lo
	s_delay_alu instid0(VALU_DEP_1)
	v_cmpx_lt_u64_e64 v[4:5], v[48:49]
	s_cbranch_execz .LBB4_335
; %bb.327:                              ;   in Loop: Header=BB4_274 Depth=3
	s_mov_b32 s72, 0
	s_mov_b32 s75, 0
                                        ; implicit-def: $sgpr73
                                        ; implicit-def: $sgpr74
	s_branch .LBB4_329
.LBB4_328:                              ;   in Loop: Header=BB4_329 Depth=4
	s_or_b32 exec_lo, exec_lo, s77
	s_delay_alu instid0(SALU_CYCLE_1) | instskip(NEXT) | instid1(SALU_CYCLE_1)
	s_and_b32 s76, exec_lo, s78
	s_or_b32 s72, s76, s72
	s_and_not1_b32 s73, s73, exec_lo
	s_and_b32 s76, s74, exec_lo
	s_delay_alu instid0(SALU_CYCLE_1)
	s_or_b32 s73, s73, s76
	s_and_not1_b32 exec_lo, exec_lo, s72
	s_cbranch_execz .LBB4_333
.LBB4_329:                              ;   Parent Loop BB4_47 Depth=1
                                        ;     Parent Loop BB4_271 Depth=2
                                        ;       Parent Loop BB4_274 Depth=3
                                        ; =>      This Inner Loop Header: Depth=4
	s_add_co_i32 s75, s75, 1
	s_delay_alu instid0(SALU_CYCLE_1) | instskip(SKIP_1) | instid1(SALU_CYCLE_1)
	s_cmp_lg_u32 s75, 0x2710
	s_cselect_b32 s76, -1, 0
	s_and_b32 vcc_lo, exec_lo, s76
	s_cbranch_vccz .LBB4_331
; %bb.330:                              ;   in Loop: Header=BB4_329 Depth=4
	s_mov_b32 s78, -1
	s_or_b32 s74, s74, exec_lo
	s_and_saveexec_b32 s77, s76
	s_cbranch_execz .LBB4_328
	s_branch .LBB4_332
.LBB4_331:                              ;   in Loop: Header=BB4_329 Depth=4
	s_trap 2
	ds_load_b64 v[4:5], v0
	s_and_not1_b32 s76, s76, exec_lo
	s_mov_b32 s75, 0
	s_wait_loadcnt_dscnt 0x0
	flat_load_b32 v4, v[4:5] scope:SCOPE_SYS
	s_wait_loadcnt_dscnt 0x0
	global_inv scope:SCOPE_SYS
	v_cmp_eq_u32_e32 vcc_lo, 0, v4
	s_and_b32 s77, vcc_lo, exec_lo
	s_delay_alu instid0(SALU_CYCLE_1)
	s_or_b32 s76, s76, s77
	s_mov_b32 s78, -1
	s_or_b32 s74, s74, exec_lo
	s_wait_xcnt 0x0
	s_and_saveexec_b32 s77, s76
	s_cbranch_execz .LBB4_328
.LBB4_332:                              ;   in Loop: Header=BB4_329 Depth=4
	s_sleep 1
	s_trap 2
	ds_load_b64 v[4:5], v0
	s_wait_dscnt 0x0
	s_and_not1_b32 s74, s74, exec_lo
	v_cmp_ge_u64_e32 vcc_lo, v[4:5], v[48:49]
	s_or_not1_b32 s78, vcc_lo, exec_lo
	s_branch .LBB4_328
.LBB4_333:                              ;   in Loop: Header=BB4_274 Depth=3
	s_or_b32 exec_lo, exec_lo, s72
	s_and_saveexec_b32 s72, s73
	s_delay_alu instid0(SALU_CYCLE_1)
	s_xor_b32 s72, exec_lo, s72
	s_cbranch_execz .LBB4_335
; %bb.334:                              ;   in Loop: Header=BB4_274 Depth=3
	ds_store_b32 v0, v64
	s_trap 2
.LBB4_335:                              ;   in Loop: Header=BB4_274 Depth=3
	s_or_b32 exec_lo, exec_lo, s63
	;;#ASMSTART
	s_wakeup
	;;#ASMEND
.LBB4_336:                              ;   in Loop: Header=BB4_274 Depth=3
	s_or_b32 exec_lo, exec_lo, s62
.LBB4_337:                              ;   in Loop: Header=BB4_274 Depth=3
	s_and_not1_saveexec_b32 s14, s14
	s_cbranch_execz .LBB4_339
; %bb.338:                              ;   in Loop: Header=BB4_274 Depth=3
	global_wb scope:SCOPE_DEV
	s_wait_storecnt 0x0
	s_wait_loadcnt_dscnt 0x0
	global_inv scope:SCOPE_DEV
	s_barrier_signal -1
	s_barrier_wait -1
.LBB4_339:                              ;   in Loop: Header=BB4_274 Depth=3
	s_or_b32 exec_lo, exec_lo, s14
.LBB4_340:                              ;   in Loop: Header=BB4_274 Depth=3
	s_delay_alu instid0(SALU_CYCLE_1)
	s_or_b32 exec_lo, exec_lo, s13
	s_trap 2
	ds_load_b64 v[46:47], v0
	s_wait_dscnt 0x0
	v_cmp_eq_u64_e32 vcc_lo, 0, v[46:47]
	s_cbranch_vccnz .LBB4_348
; %bb.341:                              ;   in Loop: Header=BB4_274 Depth=3
	s_trap 2
	ds_load_b64 v[56:57], v0
	s_wait_dscnt 0x0
	v_cmp_eq_u64_e32 vcc_lo, 0, v[56:57]
	s_cbranch_vccnz .LBB4_348
; %bb.342:                              ;   in Loop: Header=BB4_274 Depth=3
	s_mov_b32 s13, -1
	s_and_saveexec_b32 s14, s12
	s_cbranch_execz .LBB4_344
; %bb.343:                              ;   in Loop: Header=BB4_274 Depth=3
	ds_load_b32 v4, v0 offset:720
	s_wait_dscnt 0x0
	v_and_b32_e32 v4, 15, v4
	s_delay_alu instid0(VALU_DEP_1)
	v_cmp_eq_u32_e32 vcc_lo, 0, v4
	s_or_not1_b32 s13, vcc_lo, exec_lo
.LBB4_344:                              ;   in Loop: Header=BB4_274 Depth=3
	s_or_b32 exec_lo, exec_lo, s14
	s_and_saveexec_b32 s14, s11
	s_cbranch_execz .LBB4_346
; %bb.345:                              ;   in Loop: Header=BB4_274 Depth=3
	ds_load_b32 v4, v0 offset:784
	s_wait_dscnt 0x0
	v_and_b32_e32 v4, 15, v4
	s_delay_alu instid0(VALU_DEP_1) | instskip(SKIP_3) | instid1(SALU_CYCLE_1)
	v_cmp_eq_u32_e32 vcc_lo, 0, v4
	s_and_b32 s62, s13, vcc_lo
	s_and_not1_b32 s13, s13, exec_lo
	s_and_b32 s62, s62, exec_lo
	s_or_b32 s13, s13, s62
.LBB4_346:                              ;   in Loop: Header=BB4_274 Depth=3
	s_or_b32 exec_lo, exec_lo, s14
	v_cmp_eq_u32_e32 vcc_lo, 0, v2
	s_xor_b32 s13, s13, -1
	v_mov_b32_e32 v2, v119
	v_cndmask_b32_e64 v4, 0, 1, s13
	s_mov_b32 s13, -1
	v_dual_cndmask_b32 v41, 0, v40, vcc_lo :: v_dual_mov_b32 v43, 0
	v_mov_b32_e32 v125, v0
	s_delay_alu instid0(VALU_DEP_3) | instskip(NEXT) | instid1(VALU_DEP_3)
	v_cmp_ne_u32_e32 vcc_lo, 0, v4
	v_mov_b32_e32 v124, v41
	s_cbranch_vccz .LBB4_353
; %bb.347:                              ;   in Loop: Header=BB4_274 Depth=3
	s_and_saveexec_b32 s14, s13
	s_cbranch_execnz .LBB4_2222
	s_branch .LBB4_2978
.LBB4_348:                              ;   in Loop: Header=BB4_274 Depth=3
	s_mov_b32 s13, 0
	s_and_saveexec_b32 s14, s2
	s_cbranch_execnz .LBB4_2979
.LBB4_349:                              ;   in Loop: Header=BB4_274 Depth=3
	s_or_b32 exec_lo, exec_lo, s14
                                        ; implicit-def: $vgpr2
	s_and_saveexec_b32 s14, s10
	s_delay_alu instid0(SALU_CYCLE_1)
	s_xor_b32 s14, exec_lo, s14
	s_cbranch_execz .LBB4_2997
.LBB4_350:                              ;   in Loop: Header=BB4_274 Depth=3
	v_and_b32_e32 v2, 16, v126
	s_delay_alu instid0(VALU_DEP_1) | instskip(SKIP_2) | instid1(SALU_CYCLE_1)
	v_cmp_ne_u32_e32 vcc_lo, 0, v2
	v_and_b32_e32 v2, 16, v126
	s_and_b32 s62, vcc_lo, s13
	s_and_saveexec_b32 s13, s62
	s_cbranch_execz .LBB4_352
; %bb.351:                              ;   in Loop: Header=BB4_274 Depth=3
	v_mov_b32_e32 v2, 1
	global_wb scope:SCOPE_SYS
	s_wait_storecnt 0x0
	s_wait_loadcnt_dscnt 0x0
	global_inv scope:SCOPE_SYS
.LBB4_352:                              ;   in Loop: Header=BB4_274 Depth=3
	s_or_b32 exec_lo, exec_lo, s13
	s_and_not1_saveexec_b32 s13, s14
	s_cbranch_execz .LBB4_3016
	s_branch .LBB4_2998
.LBB4_353:                              ;   in Loop: Header=BB4_274 Depth=3
	v_ashrrev_i32_e32 v2, 31, v41
	s_mov_b32 s14, exec_lo
	s_delay_alu instid0(VALU_DEP_1) | instskip(NEXT) | instid1(VALU_DEP_1)
	v_lshrrev_b32_e32 v2, 22, v2
	v_add_nc_u32_e32 v2, v41, v2
	s_delay_alu instid0(VALU_DEP_1) | instskip(NEXT) | instid1(VALU_DEP_1)
	v_ashrrev_i32_e32 v27, 10, v2
	v_sub_nc_u32_e32 v26, v27, v119
	s_delay_alu instid0(VALU_DEP_1)
	v_cmpx_lt_i32_e32 0, v26
	s_cbranch_execz .LBB4_1637
; %bb.354:                              ;   in Loop: Header=BB4_274 Depth=3
	s_trap 2
	scratch_load_b64 v[8:9], off, s33 offset:216 ; 8-byte Folded Reload
	ds_load_b64 v[4:5], v0
	s_mov_b32 s62, 0
	s_wait_loadcnt 0x0
	v_add_nc_u64_e32 v[58:59], v[46:47], v[8:9]
	s_wait_dscnt 0x0
	v_add_nc_u64_e32 v[60:61], v[4:5], v[8:9]
	v_add_nc_u64_e32 v[62:63], v[56:57], v[8:9]
	s_branch .LBB4_357
.LBB4_355:                              ;   in Loop: Header=BB4_357 Depth=4
	s_or_b32 exec_lo, exec_lo, s63
.LBB4_356:                              ;   in Loop: Header=BB4_357 Depth=4
	s_delay_alu instid0(SALU_CYCLE_1)
	s_or_b32 exec_lo, exec_lo, s13
	v_lshl_or_b32 v2, v67, 8, v66
	v_dual_lshlrev_b32 v5, 16, v24 :: v_dual_lshlrev_b32 v11, 16, v30
	v_dual_lshlrev_b32 v8, 24, v20 :: v_dual_lshlrev_b32 v14, 24, v31
	v_lshl_or_b32 v10, v29, 8, v28
	v_lshl_or_b32 v15, v25, 8, v21
	v_dual_lshlrev_b32 v20, 16, v84 :: v_dual_lshlrev_b32 v21, 24, v85
	s_delay_alu instid0(VALU_DEP_4) | instskip(NEXT) | instid1(VALU_DEP_4)
	v_or3_b32 v9, v2, v5, v8
	v_or3_b32 v8, v10, v11, v14
	v_dual_lshlrev_b32 v2, 24, v18 :: v_dual_lshlrev_b32 v5, 16, v43
	v_lshl_or_b32 v11, v117, 8, v116
	v_or3_b32 v10, v15, v20, v21
	v_lshl_or_b32 v14, v102, 8, v101
	v_dual_lshlrev_b32 v15, 16, v16 :: v_dual_lshlrev_b32 v18, 16, v23
	v_dual_lshlrev_b32 v12, 24, v12 :: v_dual_lshlrev_b32 v20, 16, v103
	v_lshl_or_b32 v16, v22, 8, v19
	v_dual_lshlrev_b32 v19, 24, v100 :: v_dual_lshlrev_b32 v22, 16, v75
	v_lshl_or_b32 v17, v17, 8, v13
	v_lshlrev_b32_e32 v21, 24, v72
	v_lshlrev_b32_e32 v4, 24, v4
	v_lshl_or_b32 v23, v74, 8, v73
	v_or3_b32 v11, v11, v5, v2
	v_sub_nc_u32_e32 v26, v26, v52
	v_or3_b32 v13, v14, v15, v12
	v_or3_b32 v12, v16, v18, v19
	;; [unrolled: 1-line block ×4, first 2 shown]
	s_clause 0x1
	global_store_b128 v[62:63], v[8:11], off th:TH_STORE_NT
	global_store_b128 v[62:63], v[12:15], off offset:512 th:TH_STORE_NT
	v_add_nc_u64_e32 v[58:59], v[58:59], v[80:81]
	v_add_nc_u64_e32 v[60:61], v[60:61], v[80:81]
	v_cmp_gt_i32_e32 vcc_lo, 1, v26
	s_wait_xcnt 0x0
	v_add_nc_u64_e32 v[62:63], v[62:63], v[80:81]
	s_or_b32 s62, vcc_lo, s62
	s_delay_alu instid0(SALU_CYCLE_1)
	s_and_not1_b32 exec_lo, exec_lo, s62
	s_cbranch_execz .LBB4_1636
.LBB4_357:                              ;   Parent Loop BB4_47 Depth=1
                                        ;     Parent Loop BB4_271 Depth=2
                                        ;       Parent Loop BB4_274 Depth=3
                                        ; =>      This Inner Loop Header: Depth=4
	s_clause 0x1
	global_load_b128 v[20:23], v[58:59], off th:TH_LOAD_NT
	global_load_b128 v[12:15], v[58:59], off offset:512 th:TH_LOAD_NT
	s_clause 0x1
	global_load_b128 v[16:19], v[60:61], off th:TH_LOAD_NT
	global_load_b128 v[8:11], v[60:61], off offset:512 th:TH_LOAD_NT
	v_mov_b32_e32 v2, 0
	s_wait_loadcnt 0x3
	v_and_b32_e32 v4, 0xff, v20
	s_delay_alu instid0(VALU_DEP_1)
	v_cmp_ne_u16_e32 vcc_lo, 0, v4
	v_mov_b32_e32 v4, 0
	s_wait_xcnt 0x0
	s_and_saveexec_b32 s13, vcc_lo
	s_cbranch_execz .LBB4_367
; %bb.358:                              ;   in Loop: Header=BB4_357 Depth=4
	v_bfe_i32 v24, v20, 0, 8
	v_bfrev_b32_e32 v4, 1
	s_mov_b32 s63, exec_lo
	s_delay_alu instid0(VALU_DEP_2)
	v_cmpx_ne_u16_e32 0xff80, v24
	s_cbranch_execz .LBB4_366
; %bb.359:                              ;   in Loop: Header=BB4_357 Depth=4
	v_and_b32_e32 v4, 0x7c, v20
	v_and_b32_e32 v5, 3, v20
	s_delay_alu instid0(VALU_DEP_2) | instskip(SKIP_1) | instid1(SALU_CYCLE_1)
	v_cmp_ne_u32_e32 vcc_lo, 0x7c, v4
                                        ; implicit-def: $vgpr4
	s_and_saveexec_b32 s72, vcc_lo
	s_xor_b32 s72, exec_lo, s72
	s_cbranch_execz .LBB4_363
; %bb.360:                              ;   in Loop: Header=BB4_357 Depth=4
	v_bfe_u32 v4, v20, 2, 5
	s_mov_b32 s73, exec_lo
	s_delay_alu instid0(VALU_DEP_1)
	v_cmpx_eq_u32_e32 0, v4
; %bb.361:                              ;   in Loop: Header=BB4_357 Depth=4
	v_clz_i32_u32_e32 v4, v5
	s_delay_alu instid0(VALU_DEP_1) | instskip(NEXT) | instid1(VALU_DEP_1)
	v_min_u32_e32 v4, 32, v4
	v_subrev_nc_u32_e32 v5, 29, v4
	v_sub_nc_u32_e32 v4, 30, v4
	s_delay_alu instid0(VALU_DEP_2) | instskip(NEXT) | instid1(VALU_DEP_1)
	v_lshlrev_b64_e32 v[24:25], v5, v[20:21]
	v_and_b32_e32 v5, 3, v24
; %bb.362:                              ;   in Loop: Header=BB4_357 Depth=4
	s_or_b32 exec_lo, exec_lo, s73
	v_lshlrev_b32_e32 v24, 24, v20
	s_delay_alu instid0(VALU_DEP_1) | instskip(NEXT) | instid1(VALU_DEP_1)
	v_and_b32_e32 v24, 0x80000000, v24
	v_lshl_add_u32 v4, v4, 23, v24
                                        ; implicit-def: $vgpr24
	s_delay_alu instid0(VALU_DEP_1) | instskip(NEXT) | instid1(VALU_DEP_1)
	v_lshl_or_b32 v4, v5, 21, v4
                                        ; implicit-def: $vgpr5
	v_add_nc_u32_e32 v4, 0x38000000, v4
.LBB4_363:                              ;   in Loop: Header=BB4_357 Depth=4
	s_and_not1_saveexec_b32 s72, s72
; %bb.364:                              ;   in Loop: Header=BB4_357 Depth=4
	v_cmp_lt_i16_e32 vcc_lo, -1, v24
	v_cndmask_b32_e32 v4, 0xff800000, v112, vcc_lo
	v_cmp_eq_u32_e32 vcc_lo, 0, v5
	s_delay_alu instid0(VALU_DEP_2)
	v_cndmask_b32_e32 v4, 0x7f800001, v4, vcc_lo
; %bb.365:                              ;   in Loop: Header=BB4_357 Depth=4
	s_or_b32 exec_lo, exec_lo, s72
.LBB4_366:                              ;   in Loop: Header=BB4_357 Depth=4
	s_delay_alu instid0(SALU_CYCLE_1)
	s_or_b32 exec_lo, exec_lo, s63
.LBB4_367:                              ;   in Loop: Header=BB4_357 Depth=4
	s_delay_alu instid0(SALU_CYCLE_1) | instskip(SKIP_3) | instid1(VALU_DEP_1)
	s_or_b32 exec_lo, exec_lo, s13
	s_wait_loadcnt 0x1
	v_and_b32_e32 v5, 0xff, v16
	s_mov_b32 s13, exec_lo
	v_cmpx_ne_u16_e32 0, v5
	s_cbranch_execz .LBB4_377
; %bb.368:                              ;   in Loop: Header=BB4_357 Depth=4
	v_bfe_i32 v24, v16, 0, 8
	v_bfrev_b32_e32 v2, 1
	s_mov_b32 s63, exec_lo
	s_delay_alu instid0(VALU_DEP_2)
	v_cmpx_ne_u16_e32 0xff80, v24
	s_cbranch_execz .LBB4_376
; %bb.369:                              ;   in Loop: Header=BB4_357 Depth=4
	v_and_b32_e32 v2, 0x7c, v16
	v_and_b32_e32 v5, 3, v16
	s_delay_alu instid0(VALU_DEP_2) | instskip(SKIP_1) | instid1(SALU_CYCLE_1)
	v_cmp_ne_u32_e32 vcc_lo, 0x7c, v2
                                        ; implicit-def: $vgpr2
	s_and_saveexec_b32 s72, vcc_lo
	s_xor_b32 s72, exec_lo, s72
	s_cbranch_execz .LBB4_373
; %bb.370:                              ;   in Loop: Header=BB4_357 Depth=4
	v_bfe_u32 v2, v16, 2, 5
	s_mov_b32 s73, exec_lo
	s_delay_alu instid0(VALU_DEP_1)
	v_cmpx_eq_u32_e32 0, v2
; %bb.371:                              ;   in Loop: Header=BB4_357 Depth=4
	v_clz_i32_u32_e32 v2, v5
	s_delay_alu instid0(VALU_DEP_1) | instskip(NEXT) | instid1(VALU_DEP_1)
	v_min_u32_e32 v2, 32, v2
	v_subrev_nc_u32_e32 v5, 29, v2
	s_delay_alu instid0(VALU_DEP_1) | instskip(NEXT) | instid1(VALU_DEP_1)
	v_lshlrev_b64_e32 v[24:25], v5, v[16:17]
	v_dual_sub_nc_u32 v2, 30, v2 :: v_dual_bitop2_b32 v5, 3, v24 bitop3:0x40
; %bb.372:                              ;   in Loop: Header=BB4_357 Depth=4
	s_or_b32 exec_lo, exec_lo, s73
	v_lshlrev_b32_e32 v24, 24, v16
	s_delay_alu instid0(VALU_DEP_1) | instskip(NEXT) | instid1(VALU_DEP_1)
	v_and_b32_e32 v24, 0x80000000, v24
	v_lshl_add_u32 v2, v2, 23, v24
                                        ; implicit-def: $vgpr24
	s_delay_alu instid0(VALU_DEP_1) | instskip(NEXT) | instid1(VALU_DEP_1)
	v_lshl_or_b32 v2, v5, 21, v2
                                        ; implicit-def: $vgpr5
	v_add_nc_u32_e32 v2, 0x38000000, v2
.LBB4_373:                              ;   in Loop: Header=BB4_357 Depth=4
	s_and_not1_saveexec_b32 s72, s72
; %bb.374:                              ;   in Loop: Header=BB4_357 Depth=4
	v_cmp_lt_i16_e32 vcc_lo, -1, v24
	v_cndmask_b32_e32 v2, 0xff800000, v112, vcc_lo
	v_cmp_eq_u32_e32 vcc_lo, 0, v5
	s_delay_alu instid0(VALU_DEP_2)
	v_cndmask_b32_e32 v2, 0x7f800001, v2, vcc_lo
; %bb.375:                              ;   in Loop: Header=BB4_357 Depth=4
	s_or_b32 exec_lo, exec_lo, s72
.LBB4_376:                              ;   in Loop: Header=BB4_357 Depth=4
	s_delay_alu instid0(SALU_CYCLE_1)
	s_or_b32 exec_lo, exec_lo, s63
.LBB4_377:                              ;   in Loop: Header=BB4_357 Depth=4
	s_delay_alu instid0(SALU_CYCLE_1) | instskip(NEXT) | instid1(VALU_DEP_1)
	s_or_b32 exec_lo, exec_lo, s13
	v_dual_mul_f32 v4, v4, v2 :: v_dual_mov_b32 v25, v3
                                        ; implicit-def: $vgpr28
	s_mov_b32 s13, exec_lo
	s_delay_alu instid0(VALU_DEP_1) | instskip(SKIP_2) | instid1(VALU_DEP_3)
	v_and_b32_e32 v24, 0x7f800000, v4
	v_and_b32_e32 v2, 0x7fffff, v4
	v_lshrrev_b32_e32 v5, 24, v4
	v_cmpx_ne_u64_e32 0x7f800000, v[24:25]
	s_xor_b32 s63, exec_lo, s13
	s_cbranch_execz .LBB4_391
; %bb.378:                              ;   in Loop: Header=BB4_357 Depth=4
	v_and_b32_e32 v24, 0x7fffffff, v4
	v_mov_b32_e32 v25, v3
	v_and_b32_e32 v29, 0x80, v5
                                        ; implicit-def: $vgpr28
	s_mov_b32 s13, exec_lo
	s_delay_alu instid0(VALU_DEP_2)
	v_cmpx_gt_u64_e32 0x47600001, v[24:25]
	s_xor_b32 s72, exec_lo, s13
	s_cbranch_execz .LBB4_388
; %bb.379:                              ;   in Loop: Header=BB4_357 Depth=4
	v_mov_b32_e32 v28, 0
	s_mov_b32 s73, exec_lo
	v_cmpx_ne_u32_e32 0, v4
	s_cbranch_execz .LBB4_387
; %bb.380:                              ;   in Loop: Header=BB4_357 Depth=4
	v_bfe_u32 v28, v4, 23, 8
	v_or_b32_e32 v24, 0x800000, v2
	s_delay_alu instid0(VALU_DEP_2) | instskip(SKIP_1) | instid1(VALU_DEP_2)
	v_sub_nc_u32_e32 v4, 0x71, v28
	v_cmp_gt_u32_e32 vcc_lo, 0x72, v28
	v_cndmask_b32_e32 v4, 0, v4, vcc_lo
	v_cmp_eq_u32_e32 vcc_lo, 0, v28
	s_delay_alu instid0(VALU_DEP_2) | instskip(SKIP_1) | instid1(VALU_DEP_2)
	v_cndmask_b32_e64 v30, v4, 0x70, vcc_lo
	v_cndmask_b32_e32 v2, v24, v2, vcc_lo
	v_dual_add_nc_u32 v4, 21, v30 :: v_dual_add_nc_u32 v25, 20, v30
	s_delay_alu instid0(VALU_DEP_1) | instskip(NEXT) | instid1(VALU_DEP_2)
	v_lshlrev_b64_e64 v[4:5], v4, -1
	v_lshlrev_b64_e64 v[24:25], v25, 1
	s_delay_alu instid0(VALU_DEP_2) | instskip(NEXT) | instid1(VALU_DEP_3)
	v_bfi_b32 v67, v5, 0, 0
	v_bfi_b32 v66, v4, 0, v2
	v_lshrrev_b64 v[4:5], v30, v[2:3]
	s_delay_alu instid0(VALU_DEP_2) | instskip(NEXT) | instid1(VALU_DEP_2)
	v_cmp_eq_u64_e64 s13, v[66:67], v[24:25]
	v_mov_b64_e32 v[24:25], v[4:5]
	s_and_saveexec_b32 s74, s13
; %bb.381:                              ;   in Loop: Header=BB4_357 Depth=4
	v_bfe_u32 v2, v4, 21, 1
	s_delay_alu instid0(VALU_DEP_1) | instskip(NEXT) | instid1(VALU_DEP_1)
	v_add_nc_u64_e32 v[24:25], v[4:5], v[2:3]
	v_add_nc_u64_e32 v[24:25], -1, v[24:25]
; %bb.382:                              ;   in Loop: Header=BB4_357 Depth=4
	s_or_b32 exec_lo, exec_lo, s74
	v_add_nc_u32_e32 v2, 0xffffff81, v28
	v_lshrrev_b32_e32 v5, 23, v4
	s_mov_b32 s13, exec_lo
	s_delay_alu instid0(VALU_DEP_2) | instskip(NEXT) | instid1(VALU_DEP_1)
	v_cndmask_b32_e64 v2, v2, 0xffffff82, vcc_lo
	v_add3_u32 v25, v30, v2, v5
	v_and_b32_e32 v2, 0x1fffff, v24
                                        ; implicit-def: $vgpr24
	s_delay_alu instid0(VALU_DEP_1) | instskip(NEXT) | instid1(VALU_DEP_1)
	v_dual_add_nc_u32 v28, 14, v25 :: v_dual_add_nc_u32 v2, v2, v4
                                        ; implicit-def: $vgpr4_vgpr5
	v_cmpx_ne_u32_e32 0, v28
	s_xor_b32 s13, exec_lo, s13
; %bb.383:                              ;   in Loop: Header=BB4_357 Depth=4
	s_delay_alu instid0(VALU_DEP_2) | instskip(SKIP_1) | instid1(VALU_DEP_1)
	v_cmp_lt_u64_e32 vcc_lo, 0xffffff, v[2:3]
	v_add_nc_u32_e32 v4, 15, v25
	v_cndmask_b32_e32 v24, v28, v4, vcc_lo
	v_cndmask_b32_e64 v4, 0, 1, vcc_lo
	s_delay_alu instid0(VALU_DEP_1)
	v_lshrrev_b64 v[4:5], v4, v[2:3]
; %bb.384:                              ;   in Loop: Header=BB4_357 Depth=4
	s_and_not1_saveexec_b32 s13, s13
; %bb.385:                              ;   in Loop: Header=BB4_357 Depth=4
	v_mov_b64_e32 v[4:5], v[2:3]
	v_bfe_u32 v24, v2, 23, 1
; %bb.386:                              ;   in Loop: Header=BB4_357 Depth=4
	s_or_b32 exec_lo, exec_lo, s13
	s_delay_alu instid0(VALU_DEP_2) | instskip(NEXT) | instid1(VALU_DEP_2)
	v_lshrrev_b64 v[4:5], 21, v[4:5]
	v_cmp_gt_i32_e32 vcc_lo, 32, v24
	v_min_i32_e32 v2, 31, v24
	v_cmp_eq_u32_e64 s13, 0, v24
	s_delay_alu instid0(VALU_DEP_2) | instskip(SKIP_1) | instid1(VALU_DEP_2)
	v_dual_cndmask_b32 v5, 0, v5 :: v_dual_lshlrev_b32 v2, 2, v2
	v_cndmask_b32_e32 v4, 3, v4, vcc_lo
	v_and_b32_e32 v2, 0xfc, v2
	s_delay_alu instid0(VALU_DEP_2) | instskip(NEXT) | instid1(VALU_DEP_2)
	v_cmp_eq_u64_e32 vcc_lo, 0, v[4:5]
	v_and_or_b32 v2, v4, 3, v2
	s_and_b32 s13, s13, vcc_lo
	s_delay_alu instid0(VALU_DEP_1) | instid1(SALU_CYCLE_1)
	v_cndmask_b32_e64 v2, v2, 0, s13
	s_delay_alu instid0(VALU_DEP_1)
	v_or_b32_e32 v28, v2, v29
.LBB4_387:                              ;   in Loop: Header=BB4_357 Depth=4
	s_or_b32 exec_lo, exec_lo, s73
                                        ; implicit-def: $vgpr29
.LBB4_388:                              ;   in Loop: Header=BB4_357 Depth=4
	s_and_not1_saveexec_b32 s13, s72
; %bb.389:                              ;   in Loop: Header=BB4_357 Depth=4
	v_or_b32_e32 v28, 0x7b, v29
; %bb.390:                              ;   in Loop: Header=BB4_357 Depth=4
	s_or_b32 exec_lo, exec_lo, s13
                                        ; implicit-def: $vgpr4
                                        ; implicit-def: $vgpr5
.LBB4_391:                              ;   in Loop: Header=BB4_357 Depth=4
	s_and_not1_saveexec_b32 s13, s63
	s_cbranch_execz .LBB4_397
; %bb.392:                              ;   in Loop: Header=BB4_357 Depth=4
	s_mov_b32 s63, exec_lo
                                        ; implicit-def: $vgpr28
	v_cmpx_ne_u64_e32 0, v[2:3]
	s_xor_b32 s63, exec_lo, s63
; %bb.393:                              ;   in Loop: Header=BB4_357 Depth=4
	v_or_b32_e32 v28, 0x7f, v5
                                        ; implicit-def: $vgpr4
; %bb.394:                              ;   in Loop: Header=BB4_357 Depth=4
	s_and_not1_saveexec_b32 s63, s63
; %bb.395:                              ;   in Loop: Header=BB4_357 Depth=4
	v_cmp_lt_i32_e32 vcc_lo, -1, v4
	v_cndmask_b32_e32 v28, 0xfc, v113, vcc_lo
; %bb.396:                              ;   in Loop: Header=BB4_357 Depth=4
	s_or_b32 exec_lo, exec_lo, s63
.LBB4_397:                              ;   in Loop: Header=BB4_357 Depth=4
	s_delay_alu instid0(SALU_CYCLE_1) | instskip(SKIP_3) | instid1(VALU_DEP_2)
	s_or_b32 exec_lo, exec_lo, s13
	v_lshrrev_b16 v2, 8, v20
	v_dual_mov_b32 v4, 0 :: v_dual_mov_b32 v5, 0
	s_mov_b32 s13, exec_lo
	v_cmpx_ne_u16_e32 0, v2
	s_cbranch_execz .LBB4_407
; %bb.398:                              ;   in Loop: Header=BB4_357 Depth=4
	v_bfrev_b32_e32 v5, 1
	s_mov_b32 s63, exec_lo
	v_cmpx_ne_u16_e32 0x80, v2
	s_cbranch_execz .LBB4_406
; %bb.399:                              ;   in Loop: Header=BB4_357 Depth=4
	v_and_b32_e32 v25, 0xffff, v2
	s_delay_alu instid0(VALU_DEP_1) | instskip(SKIP_1) | instid1(VALU_DEP_2)
	v_and_b32_e32 v5, 0x7c, v25
	v_and_b32_e32 v24, 3, v25
	v_cmp_ne_u32_e32 vcc_lo, 0x7c, v5
                                        ; implicit-def: $vgpr5
	s_and_saveexec_b32 s72, vcc_lo
	s_delay_alu instid0(SALU_CYCLE_1)
	s_xor_b32 s72, exec_lo, s72
	s_cbranch_execz .LBB4_403
; %bb.400:                              ;   in Loop: Header=BB4_357 Depth=4
	v_bfe_u32 v5, v25, 2, 5
	s_mov_b32 s73, exec_lo
	s_delay_alu instid0(VALU_DEP_1)
	v_cmpx_eq_u32_e32 0, v5
; %bb.401:                              ;   in Loop: Header=BB4_357 Depth=4
	v_clz_i32_u32_e32 v5, v24
	s_delay_alu instid0(VALU_DEP_1) | instskip(NEXT) | instid1(VALU_DEP_1)
	v_min_u32_e32 v5, 32, v5
	v_subrev_nc_u32_e32 v24, 29, v5
	s_delay_alu instid0(VALU_DEP_1) | instskip(NEXT) | instid1(VALU_DEP_1)
	v_lshlrev_b64_e32 v[24:25], v24, v[2:3]
	v_dual_sub_nc_u32 v5, 30, v5 :: v_dual_bitop2_b32 v24, 3, v24 bitop3:0x40
; %bb.402:                              ;   in Loop: Header=BB4_357 Depth=4
	s_or_b32 exec_lo, exec_lo, s73
	v_lshlrev_b32_e32 v2, 16, v20
	s_delay_alu instid0(VALU_DEP_1) | instskip(NEXT) | instid1(VALU_DEP_1)
	v_and_b32_e32 v2, 0x80000000, v2
	v_lshl_add_u32 v2, v5, 23, v2
	s_delay_alu instid0(VALU_DEP_1) | instskip(NEXT) | instid1(VALU_DEP_1)
	v_lshl_or_b32 v2, v24, 21, v2
                                        ; implicit-def: $vgpr24
	v_add_nc_u32_e32 v5, 0x38000000, v2
.LBB4_403:                              ;   in Loop: Header=BB4_357 Depth=4
	s_and_not1_saveexec_b32 s72, s72
; %bb.404:                              ;   in Loop: Header=BB4_357 Depth=4
	v_cmp_lt_i16_e32 vcc_lo, -1, v20
	v_cndmask_b32_e32 v2, 0xff800000, v112, vcc_lo
	v_cmp_eq_u32_e32 vcc_lo, 0, v24
	s_delay_alu instid0(VALU_DEP_2)
	v_cndmask_b32_e32 v5, 0x7f800001, v2, vcc_lo
; %bb.405:                              ;   in Loop: Header=BB4_357 Depth=4
	s_or_b32 exec_lo, exec_lo, s72
.LBB4_406:                              ;   in Loop: Header=BB4_357 Depth=4
	s_delay_alu instid0(SALU_CYCLE_1)
	s_or_b32 exec_lo, exec_lo, s63
.LBB4_407:                              ;   in Loop: Header=BB4_357 Depth=4
	s_delay_alu instid0(SALU_CYCLE_1) | instskip(SKIP_2) | instid1(VALU_DEP_1)
	s_or_b32 exec_lo, exec_lo, s13
	v_lshrrev_b16 v2, 8, v16
	s_mov_b32 s13, exec_lo
	v_cmpx_ne_u16_e32 0, v2
	s_cbranch_execz .LBB4_417
; %bb.408:                              ;   in Loop: Header=BB4_357 Depth=4
	v_bfrev_b32_e32 v4, 1
	s_mov_b32 s63, exec_lo
	v_cmpx_ne_u16_e32 0x80, v2
	s_cbranch_execz .LBB4_416
; %bb.409:                              ;   in Loop: Header=BB4_357 Depth=4
	v_and_b32_e32 v25, 0xffff, v2
	s_delay_alu instid0(VALU_DEP_1) | instskip(SKIP_1) | instid1(VALU_DEP_2)
	v_and_b32_e32 v4, 0x7c, v25
	v_and_b32_e32 v24, 3, v25
	v_cmp_ne_u32_e32 vcc_lo, 0x7c, v4
                                        ; implicit-def: $vgpr4
	s_and_saveexec_b32 s72, vcc_lo
	s_delay_alu instid0(SALU_CYCLE_1)
	s_xor_b32 s72, exec_lo, s72
	s_cbranch_execz .LBB4_413
; %bb.410:                              ;   in Loop: Header=BB4_357 Depth=4
	v_bfe_u32 v4, v25, 2, 5
	s_mov_b32 s73, exec_lo
	s_delay_alu instid0(VALU_DEP_1)
	v_cmpx_eq_u32_e32 0, v4
; %bb.411:                              ;   in Loop: Header=BB4_357 Depth=4
	v_clz_i32_u32_e32 v4, v24
	s_delay_alu instid0(VALU_DEP_1) | instskip(NEXT) | instid1(VALU_DEP_1)
	v_min_u32_e32 v4, 32, v4
	v_subrev_nc_u32_e32 v24, 29, v4
	v_sub_nc_u32_e32 v4, 30, v4
	s_delay_alu instid0(VALU_DEP_2) | instskip(NEXT) | instid1(VALU_DEP_1)
	v_lshlrev_b64_e32 v[24:25], v24, v[2:3]
	v_and_b32_e32 v24, 3, v24
; %bb.412:                              ;   in Loop: Header=BB4_357 Depth=4
	s_or_b32 exec_lo, exec_lo, s73
	v_lshlrev_b32_e32 v2, 16, v16
	s_delay_alu instid0(VALU_DEP_1) | instskip(NEXT) | instid1(VALU_DEP_1)
	v_and_b32_e32 v2, 0x80000000, v2
	v_lshl_add_u32 v2, v4, 23, v2
	s_delay_alu instid0(VALU_DEP_1) | instskip(NEXT) | instid1(VALU_DEP_1)
	v_lshl_or_b32 v2, v24, 21, v2
                                        ; implicit-def: $vgpr24
	v_add_nc_u32_e32 v4, 0x38000000, v2
.LBB4_413:                              ;   in Loop: Header=BB4_357 Depth=4
	s_and_not1_saveexec_b32 s72, s72
; %bb.414:                              ;   in Loop: Header=BB4_357 Depth=4
	v_cmp_lt_i16_e32 vcc_lo, -1, v16
	v_cndmask_b32_e32 v2, 0xff800000, v112, vcc_lo
	v_cmp_eq_u32_e32 vcc_lo, 0, v24
	s_delay_alu instid0(VALU_DEP_2)
	v_cndmask_b32_e32 v4, 0x7f800001, v2, vcc_lo
; %bb.415:                              ;   in Loop: Header=BB4_357 Depth=4
	s_or_b32 exec_lo, exec_lo, s72
.LBB4_416:                              ;   in Loop: Header=BB4_357 Depth=4
	s_delay_alu instid0(SALU_CYCLE_1)
	s_or_b32 exec_lo, exec_lo, s63
.LBB4_417:                              ;   in Loop: Header=BB4_357 Depth=4
	s_delay_alu instid0(SALU_CYCLE_1) | instskip(NEXT) | instid1(VALU_DEP_1)
	s_or_b32 exec_lo, exec_lo, s13
	v_dual_mul_f32 v4, v5, v4 :: v_dual_mov_b32 v25, v3
                                        ; implicit-def: $vgpr29
	s_mov_b32 s13, exec_lo
	s_delay_alu instid0(VALU_DEP_1) | instskip(SKIP_2) | instid1(VALU_DEP_3)
	v_and_b32_e32 v24, 0x7f800000, v4
	v_and_b32_e32 v2, 0x7fffff, v4
	v_lshrrev_b32_e32 v5, 24, v4
	v_cmpx_ne_u64_e32 0x7f800000, v[24:25]
	s_xor_b32 s63, exec_lo, s13
	s_cbranch_execz .LBB4_431
; %bb.418:                              ;   in Loop: Header=BB4_357 Depth=4
	v_and_b32_e32 v24, 0x7fffffff, v4
	v_mov_b32_e32 v25, v3
	v_and_b32_e32 v30, 0x80, v5
                                        ; implicit-def: $vgpr29
	s_mov_b32 s13, exec_lo
	s_delay_alu instid0(VALU_DEP_2)
	v_cmpx_gt_u64_e32 0x47600001, v[24:25]
	s_xor_b32 s72, exec_lo, s13
	s_cbranch_execz .LBB4_428
; %bb.419:                              ;   in Loop: Header=BB4_357 Depth=4
	v_mov_b32_e32 v29, 0
	s_mov_b32 s73, exec_lo
	v_cmpx_ne_u32_e32 0, v4
	s_cbranch_execz .LBB4_427
; %bb.420:                              ;   in Loop: Header=BB4_357 Depth=4
	v_bfe_u32 v29, v4, 23, 8
	v_or_b32_e32 v24, 0x800000, v2
	s_delay_alu instid0(VALU_DEP_2) | instskip(SKIP_1) | instid1(VALU_DEP_2)
	v_sub_nc_u32_e32 v4, 0x71, v29
	v_cmp_gt_u32_e32 vcc_lo, 0x72, v29
	v_cndmask_b32_e32 v4, 0, v4, vcc_lo
	v_cmp_eq_u32_e32 vcc_lo, 0, v29
	s_delay_alu instid0(VALU_DEP_2) | instskip(NEXT) | instid1(VALU_DEP_1)
	v_cndmask_b32_e64 v31, v4, 0x70, vcc_lo
	v_dual_cndmask_b32 v2, v24, v2, vcc_lo :: v_dual_add_nc_u32 v4, 21, v31
	v_add_nc_u32_e32 v25, 20, v31
	s_delay_alu instid0(VALU_DEP_2) | instskip(NEXT) | instid1(VALU_DEP_2)
	v_lshlrev_b64_e64 v[4:5], v4, -1
	v_lshlrev_b64_e64 v[24:25], v25, 1
	s_delay_alu instid0(VALU_DEP_2) | instskip(NEXT) | instid1(VALU_DEP_3)
	v_bfi_b32 v67, v5, 0, 0
	v_bfi_b32 v66, v4, 0, v2
	v_lshrrev_b64 v[4:5], v31, v[2:3]
	s_delay_alu instid0(VALU_DEP_2) | instskip(NEXT) | instid1(VALU_DEP_2)
	v_cmp_eq_u64_e64 s13, v[66:67], v[24:25]
	v_mov_b64_e32 v[24:25], v[4:5]
	s_and_saveexec_b32 s74, s13
; %bb.421:                              ;   in Loop: Header=BB4_357 Depth=4
	v_bfe_u32 v2, v4, 21, 1
	s_delay_alu instid0(VALU_DEP_1) | instskip(NEXT) | instid1(VALU_DEP_1)
	v_add_nc_u64_e32 v[24:25], v[4:5], v[2:3]
	v_add_nc_u64_e32 v[24:25], -1, v[24:25]
; %bb.422:                              ;   in Loop: Header=BB4_357 Depth=4
	s_or_b32 exec_lo, exec_lo, s74
	v_add_nc_u32_e32 v2, 0xffffff81, v29
	v_lshrrev_b32_e32 v5, 23, v4
	s_mov_b32 s13, exec_lo
	s_delay_alu instid0(VALU_DEP_2) | instskip(NEXT) | instid1(VALU_DEP_1)
	v_cndmask_b32_e64 v2, v2, 0xffffff82, vcc_lo
	v_add3_u32 v25, v31, v2, v5
	v_and_b32_e32 v2, 0x1fffff, v24
                                        ; implicit-def: $vgpr24
	s_delay_alu instid0(VALU_DEP_1) | instskip(NEXT) | instid1(VALU_DEP_1)
	v_dual_add_nc_u32 v29, 14, v25 :: v_dual_add_nc_u32 v2, v2, v4
                                        ; implicit-def: $vgpr4_vgpr5
	v_cmpx_ne_u32_e32 0, v29
	s_xor_b32 s13, exec_lo, s13
; %bb.423:                              ;   in Loop: Header=BB4_357 Depth=4
	s_delay_alu instid0(VALU_DEP_2) | instskip(SKIP_1) | instid1(VALU_DEP_1)
	v_cmp_lt_u64_e32 vcc_lo, 0xffffff, v[2:3]
	v_add_nc_u32_e32 v4, 15, v25
	v_cndmask_b32_e32 v24, v29, v4, vcc_lo
	v_cndmask_b32_e64 v4, 0, 1, vcc_lo
	s_delay_alu instid0(VALU_DEP_1)
	v_lshrrev_b64 v[4:5], v4, v[2:3]
; %bb.424:                              ;   in Loop: Header=BB4_357 Depth=4
	s_and_not1_saveexec_b32 s13, s13
; %bb.425:                              ;   in Loop: Header=BB4_357 Depth=4
	v_mov_b64_e32 v[4:5], v[2:3]
	v_bfe_u32 v24, v2, 23, 1
; %bb.426:                              ;   in Loop: Header=BB4_357 Depth=4
	s_or_b32 exec_lo, exec_lo, s13
	s_delay_alu instid0(VALU_DEP_2) | instskip(NEXT) | instid1(VALU_DEP_2)
	v_lshrrev_b64 v[4:5], 21, v[4:5]
	v_cmp_gt_i32_e32 vcc_lo, 32, v24
	v_min_i32_e32 v2, 31, v24
	v_cmp_eq_u32_e64 s13, 0, v24
	s_delay_alu instid0(VALU_DEP_2) | instskip(SKIP_1) | instid1(VALU_DEP_2)
	v_dual_cndmask_b32 v5, 0, v5 :: v_dual_lshlrev_b32 v2, 2, v2
	v_cndmask_b32_e32 v4, 3, v4, vcc_lo
	v_and_b32_e32 v2, 0xfc, v2
	s_delay_alu instid0(VALU_DEP_2) | instskip(NEXT) | instid1(VALU_DEP_2)
	v_cmp_eq_u64_e32 vcc_lo, 0, v[4:5]
	v_and_or_b32 v2, v4, 3, v2
	s_and_b32 s13, s13, vcc_lo
	s_delay_alu instid0(VALU_DEP_1) | instid1(SALU_CYCLE_1)
	v_cndmask_b32_e64 v2, v2, 0, s13
	s_delay_alu instid0(VALU_DEP_1)
	v_or_b32_e32 v29, v2, v30
.LBB4_427:                              ;   in Loop: Header=BB4_357 Depth=4
	s_or_b32 exec_lo, exec_lo, s73
                                        ; implicit-def: $vgpr30
.LBB4_428:                              ;   in Loop: Header=BB4_357 Depth=4
	s_and_not1_saveexec_b32 s13, s72
; %bb.429:                              ;   in Loop: Header=BB4_357 Depth=4
	v_or_b32_e32 v29, 0x7b, v30
; %bb.430:                              ;   in Loop: Header=BB4_357 Depth=4
	s_or_b32 exec_lo, exec_lo, s13
                                        ; implicit-def: $vgpr4
                                        ; implicit-def: $vgpr5
.LBB4_431:                              ;   in Loop: Header=BB4_357 Depth=4
	s_and_not1_saveexec_b32 s13, s63
	s_cbranch_execz .LBB4_437
; %bb.432:                              ;   in Loop: Header=BB4_357 Depth=4
	s_mov_b32 s63, exec_lo
                                        ; implicit-def: $vgpr29
	v_cmpx_ne_u64_e32 0, v[2:3]
	s_xor_b32 s63, exec_lo, s63
; %bb.433:                              ;   in Loop: Header=BB4_357 Depth=4
	v_or_b32_e32 v29, 0x7f, v5
                                        ; implicit-def: $vgpr4
; %bb.434:                              ;   in Loop: Header=BB4_357 Depth=4
	s_and_not1_saveexec_b32 s63, s63
; %bb.435:                              ;   in Loop: Header=BB4_357 Depth=4
	v_cmp_lt_i32_e32 vcc_lo, -1, v4
	v_cndmask_b32_e32 v29, 0xfc, v113, vcc_lo
; %bb.436:                              ;   in Loop: Header=BB4_357 Depth=4
	s_or_b32 exec_lo, exec_lo, s63
.LBB4_437:                              ;   in Loop: Header=BB4_357 Depth=4
	s_delay_alu instid0(SALU_CYCLE_1) | instskip(SKIP_3) | instid1(VALU_DEP_2)
	s_or_b32 exec_lo, exec_lo, s13
	v_dual_lshrrev_b32 v2, 16, v20 :: v_dual_mov_b32 v4, 0
	v_mov_b32_e32 v5, 0
	s_mov_b32 s13, exec_lo
	v_and_b32_e32 v24, 0xff, v2
	s_delay_alu instid0(VALU_DEP_1)
	v_cmpx_ne_u16_e32 0, v24
	s_cbranch_execz .LBB4_447
; %bb.438:                              ;   in Loop: Header=BB4_357 Depth=4
	v_bfrev_b32_e32 v5, 1
	s_mov_b32 s63, exec_lo
	v_cmpx_ne_u16_e32 0x80, v24
	s_cbranch_execz .LBB4_446
; %bb.439:                              ;   in Loop: Header=BB4_357 Depth=4
	v_and_b32_e32 v5, 0x7c0000, v20
	v_bfe_u32 v24, v20, 16, 2
	s_delay_alu instid0(VALU_DEP_2) | instskip(SKIP_1) | instid1(SALU_CYCLE_1)
	v_cmp_ne_u32_e32 vcc_lo, 0x7c0000, v5
                                        ; implicit-def: $vgpr5
	s_and_saveexec_b32 s72, vcc_lo
	s_xor_b32 s72, exec_lo, s72
	s_cbranch_execz .LBB4_443
; %bb.440:                              ;   in Loop: Header=BB4_357 Depth=4
	v_bfe_u32 v5, v20, 18, 5
	s_mov_b32 s73, exec_lo
	s_delay_alu instid0(VALU_DEP_1)
	v_cmpx_eq_u32_e32 0, v5
; %bb.441:                              ;   in Loop: Header=BB4_357 Depth=4
	v_clz_i32_u32_e32 v5, v24
	s_delay_alu instid0(VALU_DEP_1) | instskip(NEXT) | instid1(VALU_DEP_1)
	v_min_u32_e32 v5, 32, v5
	v_subrev_nc_u32_e32 v24, 29, v5
	s_delay_alu instid0(VALU_DEP_1) | instskip(NEXT) | instid1(VALU_DEP_1)
	v_lshlrev_b64_e32 v[24:25], v24, v[2:3]
	v_dual_sub_nc_u32 v5, 30, v5 :: v_dual_bitop2_b32 v24, 3, v24 bitop3:0x40
; %bb.442:                              ;   in Loop: Header=BB4_357 Depth=4
	s_or_b32 exec_lo, exec_lo, s73
	v_lshlrev_b32_e32 v2, 24, v2
	s_delay_alu instid0(VALU_DEP_1) | instskip(NEXT) | instid1(VALU_DEP_1)
	v_and_b32_e32 v2, 0x80000000, v2
	v_lshl_add_u32 v2, v5, 23, v2
	s_delay_alu instid0(VALU_DEP_1) | instskip(NEXT) | instid1(VALU_DEP_1)
	v_lshl_or_b32 v2, v24, 21, v2
                                        ; implicit-def: $vgpr24
	v_add_nc_u32_e32 v5, 0x38000000, v2
                                        ; implicit-def: $vgpr2
.LBB4_443:                              ;   in Loop: Header=BB4_357 Depth=4
	s_and_not1_saveexec_b32 s72, s72
; %bb.444:                              ;   in Loop: Header=BB4_357 Depth=4
	v_bfe_i32 v2, v2, 0, 8
	s_delay_alu instid0(VALU_DEP_1) | instskip(SKIP_2) | instid1(VALU_DEP_2)
	v_cmp_lt_i16_e32 vcc_lo, -1, v2
	v_cndmask_b32_e32 v2, 0xff800000, v112, vcc_lo
	v_cmp_eq_u32_e32 vcc_lo, 0, v24
	v_cndmask_b32_e32 v5, 0x7f800001, v2, vcc_lo
; %bb.445:                              ;   in Loop: Header=BB4_357 Depth=4
	s_or_b32 exec_lo, exec_lo, s72
.LBB4_446:                              ;   in Loop: Header=BB4_357 Depth=4
	s_delay_alu instid0(SALU_CYCLE_1)
	s_or_b32 exec_lo, exec_lo, s63
.LBB4_447:                              ;   in Loop: Header=BB4_357 Depth=4
	s_delay_alu instid0(SALU_CYCLE_1) | instskip(SKIP_2) | instid1(VALU_DEP_1)
	s_or_b32 exec_lo, exec_lo, s13
	v_lshrrev_b32_e32 v2, 16, v16
	s_mov_b32 s13, exec_lo
	v_and_b32_e32 v24, 0xff, v2
	s_delay_alu instid0(VALU_DEP_1)
	v_cmpx_ne_u16_e32 0, v24
	s_cbranch_execz .LBB4_457
; %bb.448:                              ;   in Loop: Header=BB4_357 Depth=4
	v_bfrev_b32_e32 v4, 1
	s_mov_b32 s63, exec_lo
	v_cmpx_ne_u16_e32 0x80, v24
	s_cbranch_execz .LBB4_456
; %bb.449:                              ;   in Loop: Header=BB4_357 Depth=4
	v_and_b32_e32 v4, 0x7c0000, v16
	v_bfe_u32 v24, v16, 16, 2
	s_delay_alu instid0(VALU_DEP_2) | instskip(SKIP_1) | instid1(SALU_CYCLE_1)
	v_cmp_ne_u32_e32 vcc_lo, 0x7c0000, v4
                                        ; implicit-def: $vgpr4
	s_and_saveexec_b32 s72, vcc_lo
	s_xor_b32 s72, exec_lo, s72
	s_cbranch_execz .LBB4_453
; %bb.450:                              ;   in Loop: Header=BB4_357 Depth=4
	v_bfe_u32 v4, v16, 18, 5
	s_mov_b32 s73, exec_lo
	s_delay_alu instid0(VALU_DEP_1)
	v_cmpx_eq_u32_e32 0, v4
; %bb.451:                              ;   in Loop: Header=BB4_357 Depth=4
	v_clz_i32_u32_e32 v4, v24
	s_delay_alu instid0(VALU_DEP_1) | instskip(NEXT) | instid1(VALU_DEP_1)
	v_min_u32_e32 v4, 32, v4
	v_subrev_nc_u32_e32 v24, 29, v4
	v_sub_nc_u32_e32 v4, 30, v4
	s_delay_alu instid0(VALU_DEP_2) | instskip(NEXT) | instid1(VALU_DEP_1)
	v_lshlrev_b64_e32 v[24:25], v24, v[2:3]
	v_and_b32_e32 v24, 3, v24
; %bb.452:                              ;   in Loop: Header=BB4_357 Depth=4
	s_or_b32 exec_lo, exec_lo, s73
	v_lshlrev_b32_e32 v2, 24, v2
	s_delay_alu instid0(VALU_DEP_1) | instskip(NEXT) | instid1(VALU_DEP_1)
	v_and_b32_e32 v2, 0x80000000, v2
	v_lshl_add_u32 v2, v4, 23, v2
	s_delay_alu instid0(VALU_DEP_1) | instskip(NEXT) | instid1(VALU_DEP_1)
	v_lshl_or_b32 v2, v24, 21, v2
                                        ; implicit-def: $vgpr24
	v_add_nc_u32_e32 v4, 0x38000000, v2
                                        ; implicit-def: $vgpr2
.LBB4_453:                              ;   in Loop: Header=BB4_357 Depth=4
	s_and_not1_saveexec_b32 s72, s72
; %bb.454:                              ;   in Loop: Header=BB4_357 Depth=4
	v_bfe_i32 v2, v2, 0, 8
	s_delay_alu instid0(VALU_DEP_1) | instskip(SKIP_2) | instid1(VALU_DEP_2)
	v_cmp_lt_i16_e32 vcc_lo, -1, v2
	v_cndmask_b32_e32 v2, 0xff800000, v112, vcc_lo
	v_cmp_eq_u32_e32 vcc_lo, 0, v24
	v_cndmask_b32_e32 v4, 0x7f800001, v2, vcc_lo
; %bb.455:                              ;   in Loop: Header=BB4_357 Depth=4
	s_or_b32 exec_lo, exec_lo, s72
.LBB4_456:                              ;   in Loop: Header=BB4_357 Depth=4
	s_delay_alu instid0(SALU_CYCLE_1)
	s_or_b32 exec_lo, exec_lo, s63
.LBB4_457:                              ;   in Loop: Header=BB4_357 Depth=4
	s_delay_alu instid0(SALU_CYCLE_1) | instskip(NEXT) | instid1(VALU_DEP_1)
	s_or_b32 exec_lo, exec_lo, s13
	v_dual_mul_f32 v4, v5, v4 :: v_dual_mov_b32 v25, v3
                                        ; implicit-def: $vgpr30
	s_mov_b32 s13, exec_lo
	s_delay_alu instid0(VALU_DEP_1) | instskip(SKIP_2) | instid1(VALU_DEP_3)
	v_and_b32_e32 v24, 0x7f800000, v4
	v_and_b32_e32 v2, 0x7fffff, v4
	v_lshrrev_b32_e32 v5, 24, v4
	v_cmpx_ne_u64_e32 0x7f800000, v[24:25]
	s_xor_b32 s63, exec_lo, s13
	s_cbranch_execz .LBB4_471
; %bb.458:                              ;   in Loop: Header=BB4_357 Depth=4
	v_and_b32_e32 v24, 0x7fffffff, v4
	v_mov_b32_e32 v25, v3
	v_and_b32_e32 v31, 0x80, v5
                                        ; implicit-def: $vgpr30
	s_mov_b32 s13, exec_lo
	s_delay_alu instid0(VALU_DEP_2)
	v_cmpx_gt_u64_e32 0x47600001, v[24:25]
	s_xor_b32 s72, exec_lo, s13
	s_cbranch_execz .LBB4_468
; %bb.459:                              ;   in Loop: Header=BB4_357 Depth=4
	v_mov_b32_e32 v30, 0
	s_mov_b32 s73, exec_lo
	v_cmpx_ne_u32_e32 0, v4
	s_cbranch_execz .LBB4_467
; %bb.460:                              ;   in Loop: Header=BB4_357 Depth=4
	v_bfe_u32 v30, v4, 23, 8
	v_or_b32_e32 v24, 0x800000, v2
	s_delay_alu instid0(VALU_DEP_2) | instskip(SKIP_1) | instid1(VALU_DEP_2)
	v_sub_nc_u32_e32 v4, 0x71, v30
	v_cmp_gt_u32_e32 vcc_lo, 0x72, v30
	v_cndmask_b32_e32 v4, 0, v4, vcc_lo
	v_cmp_eq_u32_e32 vcc_lo, 0, v30
	s_delay_alu instid0(VALU_DEP_2) | instskip(SKIP_1) | instid1(VALU_DEP_2)
	v_cndmask_b32_e64 v66, v4, 0x70, vcc_lo
	v_cndmask_b32_e32 v2, v24, v2, vcc_lo
	v_dual_add_nc_u32 v4, 21, v66 :: v_dual_add_nc_u32 v25, 20, v66
	s_delay_alu instid0(VALU_DEP_1) | instskip(NEXT) | instid1(VALU_DEP_2)
	v_lshlrev_b64_e64 v[4:5], v4, -1
	v_lshlrev_b64_e64 v[24:25], v25, 1
	s_delay_alu instid0(VALU_DEP_2) | instskip(NEXT) | instid1(VALU_DEP_3)
	v_bfi_b32 v85, v5, 0, 0
	v_bfi_b32 v84, v4, 0, v2
	v_lshrrev_b64 v[4:5], v66, v[2:3]
	s_delay_alu instid0(VALU_DEP_2) | instskip(NEXT) | instid1(VALU_DEP_2)
	v_cmp_eq_u64_e64 s13, v[84:85], v[24:25]
	v_mov_b64_e32 v[24:25], v[4:5]
	s_and_saveexec_b32 s74, s13
; %bb.461:                              ;   in Loop: Header=BB4_357 Depth=4
	v_bfe_u32 v2, v4, 21, 1
	s_delay_alu instid0(VALU_DEP_1) | instskip(NEXT) | instid1(VALU_DEP_1)
	v_add_nc_u64_e32 v[24:25], v[4:5], v[2:3]
	v_add_nc_u64_e32 v[24:25], -1, v[24:25]
; %bb.462:                              ;   in Loop: Header=BB4_357 Depth=4
	s_or_b32 exec_lo, exec_lo, s74
	v_add_nc_u32_e32 v2, 0xffffff81, v30
	v_lshrrev_b32_e32 v5, 23, v4
	s_mov_b32 s13, exec_lo
	s_delay_alu instid0(VALU_DEP_2) | instskip(NEXT) | instid1(VALU_DEP_1)
	v_cndmask_b32_e64 v2, v2, 0xffffff82, vcc_lo
	v_add3_u32 v25, v66, v2, v5
	v_and_b32_e32 v2, 0x1fffff, v24
                                        ; implicit-def: $vgpr24
	s_delay_alu instid0(VALU_DEP_1) | instskip(NEXT) | instid1(VALU_DEP_1)
	v_dual_add_nc_u32 v30, 14, v25 :: v_dual_add_nc_u32 v2, v2, v4
                                        ; implicit-def: $vgpr4_vgpr5
	v_cmpx_ne_u32_e32 0, v30
	s_xor_b32 s13, exec_lo, s13
; %bb.463:                              ;   in Loop: Header=BB4_357 Depth=4
	s_delay_alu instid0(VALU_DEP_2) | instskip(SKIP_1) | instid1(VALU_DEP_1)
	v_cmp_lt_u64_e32 vcc_lo, 0xffffff, v[2:3]
	v_add_nc_u32_e32 v4, 15, v25
	v_cndmask_b32_e32 v24, v30, v4, vcc_lo
	v_cndmask_b32_e64 v4, 0, 1, vcc_lo
	s_delay_alu instid0(VALU_DEP_1)
	v_lshrrev_b64 v[4:5], v4, v[2:3]
; %bb.464:                              ;   in Loop: Header=BB4_357 Depth=4
	s_and_not1_saveexec_b32 s13, s13
; %bb.465:                              ;   in Loop: Header=BB4_357 Depth=4
	v_mov_b64_e32 v[4:5], v[2:3]
	v_bfe_u32 v24, v2, 23, 1
; %bb.466:                              ;   in Loop: Header=BB4_357 Depth=4
	s_or_b32 exec_lo, exec_lo, s13
	s_delay_alu instid0(VALU_DEP_2) | instskip(NEXT) | instid1(VALU_DEP_2)
	v_lshrrev_b64 v[4:5], 21, v[4:5]
	v_cmp_gt_i32_e32 vcc_lo, 32, v24
	v_min_i32_e32 v2, 31, v24
	v_cmp_eq_u32_e64 s13, 0, v24
	s_delay_alu instid0(VALU_DEP_2) | instskip(SKIP_1) | instid1(VALU_DEP_2)
	v_dual_cndmask_b32 v5, 0, v5 :: v_dual_lshlrev_b32 v2, 2, v2
	v_cndmask_b32_e32 v4, 3, v4, vcc_lo
	v_and_b32_e32 v2, 0xfc, v2
	s_delay_alu instid0(VALU_DEP_2) | instskip(NEXT) | instid1(VALU_DEP_2)
	v_cmp_eq_u64_e32 vcc_lo, 0, v[4:5]
	v_and_or_b32 v2, v4, 3, v2
	s_and_b32 s13, s13, vcc_lo
	s_delay_alu instid0(VALU_DEP_1) | instid1(SALU_CYCLE_1)
	v_cndmask_b32_e64 v2, v2, 0, s13
	s_delay_alu instid0(VALU_DEP_1)
	v_or_b32_e32 v30, v2, v31
.LBB4_467:                              ;   in Loop: Header=BB4_357 Depth=4
	s_or_b32 exec_lo, exec_lo, s73
                                        ; implicit-def: $vgpr31
.LBB4_468:                              ;   in Loop: Header=BB4_357 Depth=4
	s_and_not1_saveexec_b32 s13, s72
; %bb.469:                              ;   in Loop: Header=BB4_357 Depth=4
	v_or_b32_e32 v30, 0x7b, v31
; %bb.470:                              ;   in Loop: Header=BB4_357 Depth=4
	s_or_b32 exec_lo, exec_lo, s13
                                        ; implicit-def: $vgpr4
                                        ; implicit-def: $vgpr5
.LBB4_471:                              ;   in Loop: Header=BB4_357 Depth=4
	s_and_not1_saveexec_b32 s13, s63
	s_cbranch_execz .LBB4_477
; %bb.472:                              ;   in Loop: Header=BB4_357 Depth=4
	s_mov_b32 s63, exec_lo
                                        ; implicit-def: $vgpr30
	v_cmpx_ne_u64_e32 0, v[2:3]
	s_xor_b32 s63, exec_lo, s63
; %bb.473:                              ;   in Loop: Header=BB4_357 Depth=4
	v_or_b32_e32 v30, 0x7f, v5
                                        ; implicit-def: $vgpr4
; %bb.474:                              ;   in Loop: Header=BB4_357 Depth=4
	s_and_not1_saveexec_b32 s63, s63
; %bb.475:                              ;   in Loop: Header=BB4_357 Depth=4
	v_cmp_lt_i32_e32 vcc_lo, -1, v4
	v_cndmask_b32_e32 v30, 0xfc, v113, vcc_lo
; %bb.476:                              ;   in Loop: Header=BB4_357 Depth=4
	s_or_b32 exec_lo, exec_lo, s63
.LBB4_477:                              ;   in Loop: Header=BB4_357 Depth=4
	s_delay_alu instid0(SALU_CYCLE_1)
	s_or_b32 exec_lo, exec_lo, s13
	v_dual_mov_b32 v4, 0 :: v_dual_mov_b32 v5, 0
	s_mov_b32 s13, exec_lo
	v_cmpx_lt_u32_e32 0xffffff, v20
	s_cbranch_execz .LBB4_487
; %bb.478:                              ;   in Loop: Header=BB4_357 Depth=4
	v_lshrrev_b32_e32 v2, 24, v20
	v_bfrev_b32_e32 v5, 1
	s_mov_b32 s63, exec_lo
	s_delay_alu instid0(VALU_DEP_2)
	v_cmpx_ne_u32_e32 0x80, v2
	s_cbranch_execz .LBB4_486
; %bb.479:                              ;   in Loop: Header=BB4_357 Depth=4
	v_and_b32_e32 v5, 0x7c000000, v20
	v_bfe_u32 v24, v20, 24, 2
	s_delay_alu instid0(VALU_DEP_2) | instskip(SKIP_1) | instid1(SALU_CYCLE_1)
	v_cmp_ne_u32_e32 vcc_lo, 0x7c000000, v5
                                        ; implicit-def: $vgpr5
	s_and_saveexec_b32 s72, vcc_lo
	s_xor_b32 s72, exec_lo, s72
	s_cbranch_execz .LBB4_483
; %bb.480:                              ;   in Loop: Header=BB4_357 Depth=4
	v_bfe_u32 v5, v20, 26, 5
	s_mov_b32 s73, exec_lo
	s_delay_alu instid0(VALU_DEP_1)
	v_cmpx_eq_u32_e32 0, v5
; %bb.481:                              ;   in Loop: Header=BB4_357 Depth=4
	v_clz_i32_u32_e32 v5, v24
	s_delay_alu instid0(VALU_DEP_1) | instskip(NEXT) | instid1(VALU_DEP_1)
	v_min_u32_e32 v5, 32, v5
	v_subrev_nc_u32_e32 v24, 29, v5
	s_delay_alu instid0(VALU_DEP_1) | instskip(NEXT) | instid1(VALU_DEP_1)
	v_lshlrev_b64_e32 v[24:25], v24, v[2:3]
	v_dual_sub_nc_u32 v5, 30, v5 :: v_dual_bitop2_b32 v24, 3, v24 bitop3:0x40
; %bb.482:                              ;   in Loop: Header=BB4_357 Depth=4
	s_or_b32 exec_lo, exec_lo, s73
	v_and_b32_e32 v2, 0x80000000, v20
	s_delay_alu instid0(VALU_DEP_1) | instskip(NEXT) | instid1(VALU_DEP_1)
	v_lshl_add_u32 v2, v5, 23, v2
	v_lshl_or_b32 v2, v24, 21, v2
                                        ; implicit-def: $vgpr24
	s_delay_alu instid0(VALU_DEP_1)
	v_add_nc_u32_e32 v5, 0x38000000, v2
.LBB4_483:                              ;   in Loop: Header=BB4_357 Depth=4
	s_and_not1_saveexec_b32 s72, s72
; %bb.484:                              ;   in Loop: Header=BB4_357 Depth=4
	v_cmp_lt_i32_e32 vcc_lo, -1, v20
	v_cndmask_b32_e32 v2, 0xff800000, v112, vcc_lo
	v_cmp_eq_u32_e32 vcc_lo, 0, v24
	s_delay_alu instid0(VALU_DEP_2)
	v_cndmask_b32_e32 v5, 0x7f800001, v2, vcc_lo
; %bb.485:                              ;   in Loop: Header=BB4_357 Depth=4
	s_or_b32 exec_lo, exec_lo, s72
.LBB4_486:                              ;   in Loop: Header=BB4_357 Depth=4
	s_delay_alu instid0(SALU_CYCLE_1)
	s_or_b32 exec_lo, exec_lo, s63
.LBB4_487:                              ;   in Loop: Header=BB4_357 Depth=4
	s_delay_alu instid0(SALU_CYCLE_1) | instskip(NEXT) | instid1(SALU_CYCLE_1)
	s_or_b32 exec_lo, exec_lo, s13
	s_mov_b32 s13, exec_lo
	v_cmpx_lt_u32_e32 0xffffff, v16
	s_cbranch_execz .LBB4_497
; %bb.488:                              ;   in Loop: Header=BB4_357 Depth=4
	v_lshrrev_b32_e32 v2, 24, v16
	v_bfrev_b32_e32 v4, 1
	s_mov_b32 s63, exec_lo
	s_delay_alu instid0(VALU_DEP_2)
	v_cmpx_ne_u32_e32 0x80, v2
	s_cbranch_execz .LBB4_496
; %bb.489:                              ;   in Loop: Header=BB4_357 Depth=4
	v_and_b32_e32 v4, 0x7c000000, v16
	v_bfe_u32 v24, v16, 24, 2
	s_delay_alu instid0(VALU_DEP_2) | instskip(SKIP_1) | instid1(SALU_CYCLE_1)
	v_cmp_ne_u32_e32 vcc_lo, 0x7c000000, v4
                                        ; implicit-def: $vgpr4
	s_and_saveexec_b32 s72, vcc_lo
	s_xor_b32 s72, exec_lo, s72
	s_cbranch_execz .LBB4_493
; %bb.490:                              ;   in Loop: Header=BB4_357 Depth=4
	v_bfe_u32 v4, v16, 26, 5
	s_mov_b32 s73, exec_lo
	s_delay_alu instid0(VALU_DEP_1)
	v_cmpx_eq_u32_e32 0, v4
; %bb.491:                              ;   in Loop: Header=BB4_357 Depth=4
	v_clz_i32_u32_e32 v4, v24
	s_delay_alu instid0(VALU_DEP_1) | instskip(NEXT) | instid1(VALU_DEP_1)
	v_min_u32_e32 v4, 32, v4
	v_subrev_nc_u32_e32 v24, 29, v4
	v_sub_nc_u32_e32 v4, 30, v4
	s_delay_alu instid0(VALU_DEP_2) | instskip(NEXT) | instid1(VALU_DEP_1)
	v_lshlrev_b64_e32 v[24:25], v24, v[2:3]
	v_and_b32_e32 v24, 3, v24
; %bb.492:                              ;   in Loop: Header=BB4_357 Depth=4
	s_or_b32 exec_lo, exec_lo, s73
	v_and_b32_e32 v2, 0x80000000, v16
	s_delay_alu instid0(VALU_DEP_1) | instskip(NEXT) | instid1(VALU_DEP_1)
	v_lshl_add_u32 v2, v4, 23, v2
	v_lshl_or_b32 v2, v24, 21, v2
                                        ; implicit-def: $vgpr24
	s_delay_alu instid0(VALU_DEP_1)
	v_add_nc_u32_e32 v4, 0x38000000, v2
.LBB4_493:                              ;   in Loop: Header=BB4_357 Depth=4
	s_and_not1_saveexec_b32 s72, s72
; %bb.494:                              ;   in Loop: Header=BB4_357 Depth=4
	v_cmp_lt_i32_e32 vcc_lo, -1, v16
	v_cndmask_b32_e32 v2, 0xff800000, v112, vcc_lo
	v_cmp_eq_u32_e32 vcc_lo, 0, v24
	s_delay_alu instid0(VALU_DEP_2)
	v_cndmask_b32_e32 v4, 0x7f800001, v2, vcc_lo
; %bb.495:                              ;   in Loop: Header=BB4_357 Depth=4
	s_or_b32 exec_lo, exec_lo, s72
.LBB4_496:                              ;   in Loop: Header=BB4_357 Depth=4
	s_delay_alu instid0(SALU_CYCLE_1)
	s_or_b32 exec_lo, exec_lo, s63
.LBB4_497:                              ;   in Loop: Header=BB4_357 Depth=4
	s_delay_alu instid0(SALU_CYCLE_1) | instskip(NEXT) | instid1(VALU_DEP_1)
	s_or_b32 exec_lo, exec_lo, s13
	v_dual_mul_f32 v4, v5, v4 :: v_dual_mov_b32 v25, v3
                                        ; implicit-def: $vgpr31
	s_mov_b32 s13, exec_lo
	s_delay_alu instid0(VALU_DEP_1) | instskip(SKIP_2) | instid1(VALU_DEP_3)
	v_and_b32_e32 v24, 0x7f800000, v4
	v_and_b32_e32 v2, 0x7fffff, v4
	v_lshrrev_b32_e32 v5, 24, v4
	v_cmpx_ne_u64_e32 0x7f800000, v[24:25]
	s_xor_b32 s63, exec_lo, s13
	s_cbranch_execz .LBB4_511
; %bb.498:                              ;   in Loop: Header=BB4_357 Depth=4
	v_and_b32_e32 v24, 0x7fffffff, v4
	v_mov_b32_e32 v25, v3
	v_and_b32_e32 v66, 0x80, v5
                                        ; implicit-def: $vgpr31
	s_mov_b32 s13, exec_lo
	s_delay_alu instid0(VALU_DEP_2)
	v_cmpx_gt_u64_e32 0x47600001, v[24:25]
	s_xor_b32 s72, exec_lo, s13
	s_cbranch_execz .LBB4_508
; %bb.499:                              ;   in Loop: Header=BB4_357 Depth=4
	v_mov_b32_e32 v31, 0
	s_mov_b32 s73, exec_lo
	v_cmpx_ne_u32_e32 0, v4
	s_cbranch_execz .LBB4_507
; %bb.500:                              ;   in Loop: Header=BB4_357 Depth=4
	v_bfe_u32 v31, v4, 23, 8
	v_or_b32_e32 v24, 0x800000, v2
	s_delay_alu instid0(VALU_DEP_2) | instskip(SKIP_1) | instid1(VALU_DEP_2)
	v_sub_nc_u32_e32 v4, 0x71, v31
	v_cmp_gt_u32_e32 vcc_lo, 0x72, v31
	v_cndmask_b32_e32 v4, 0, v4, vcc_lo
	v_cmp_eq_u32_e32 vcc_lo, 0, v31
	s_delay_alu instid0(VALU_DEP_2) | instskip(NEXT) | instid1(VALU_DEP_1)
	v_cndmask_b32_e64 v67, v4, 0x70, vcc_lo
	v_dual_cndmask_b32 v2, v24, v2, vcc_lo :: v_dual_add_nc_u32 v4, 21, v67
	v_add_nc_u32_e32 v25, 20, v67
	s_delay_alu instid0(VALU_DEP_2) | instskip(NEXT) | instid1(VALU_DEP_2)
	v_lshlrev_b64_e64 v[4:5], v4, -1
	v_lshlrev_b64_e64 v[24:25], v25, 1
	s_delay_alu instid0(VALU_DEP_2) | instskip(NEXT) | instid1(VALU_DEP_3)
	v_bfi_b32 v85, v5, 0, 0
	v_bfi_b32 v84, v4, 0, v2
	v_lshrrev_b64 v[4:5], v67, v[2:3]
	s_delay_alu instid0(VALU_DEP_2) | instskip(NEXT) | instid1(VALU_DEP_2)
	v_cmp_eq_u64_e64 s13, v[84:85], v[24:25]
	v_mov_b64_e32 v[24:25], v[4:5]
	s_and_saveexec_b32 s74, s13
; %bb.501:                              ;   in Loop: Header=BB4_357 Depth=4
	v_bfe_u32 v2, v4, 21, 1
	s_delay_alu instid0(VALU_DEP_1) | instskip(NEXT) | instid1(VALU_DEP_1)
	v_add_nc_u64_e32 v[24:25], v[4:5], v[2:3]
	v_add_nc_u64_e32 v[24:25], -1, v[24:25]
; %bb.502:                              ;   in Loop: Header=BB4_357 Depth=4
	s_or_b32 exec_lo, exec_lo, s74
	v_add_nc_u32_e32 v2, 0xffffff81, v31
	v_lshrrev_b32_e32 v5, 23, v4
	s_mov_b32 s13, exec_lo
	s_delay_alu instid0(VALU_DEP_2) | instskip(NEXT) | instid1(VALU_DEP_1)
	v_cndmask_b32_e64 v2, v2, 0xffffff82, vcc_lo
	v_add3_u32 v25, v67, v2, v5
	v_and_b32_e32 v2, 0x1fffff, v24
                                        ; implicit-def: $vgpr24
	s_delay_alu instid0(VALU_DEP_1) | instskip(NEXT) | instid1(VALU_DEP_1)
	v_dual_add_nc_u32 v31, 14, v25 :: v_dual_add_nc_u32 v2, v2, v4
                                        ; implicit-def: $vgpr4_vgpr5
	v_cmpx_ne_u32_e32 0, v31
	s_xor_b32 s13, exec_lo, s13
; %bb.503:                              ;   in Loop: Header=BB4_357 Depth=4
	s_delay_alu instid0(VALU_DEP_2) | instskip(SKIP_1) | instid1(VALU_DEP_1)
	v_cmp_lt_u64_e32 vcc_lo, 0xffffff, v[2:3]
	v_add_nc_u32_e32 v4, 15, v25
	v_cndmask_b32_e32 v24, v31, v4, vcc_lo
	v_cndmask_b32_e64 v4, 0, 1, vcc_lo
	s_delay_alu instid0(VALU_DEP_1)
	v_lshrrev_b64 v[4:5], v4, v[2:3]
; %bb.504:                              ;   in Loop: Header=BB4_357 Depth=4
	s_and_not1_saveexec_b32 s13, s13
; %bb.505:                              ;   in Loop: Header=BB4_357 Depth=4
	v_mov_b64_e32 v[4:5], v[2:3]
	v_bfe_u32 v24, v2, 23, 1
; %bb.506:                              ;   in Loop: Header=BB4_357 Depth=4
	s_or_b32 exec_lo, exec_lo, s13
	s_delay_alu instid0(VALU_DEP_2) | instskip(NEXT) | instid1(VALU_DEP_2)
	v_lshrrev_b64 v[4:5], 21, v[4:5]
	v_cmp_gt_i32_e32 vcc_lo, 32, v24
	v_min_i32_e32 v2, 31, v24
	v_cmp_eq_u32_e64 s13, 0, v24
	s_delay_alu instid0(VALU_DEP_2) | instskip(SKIP_1) | instid1(VALU_DEP_2)
	v_dual_cndmask_b32 v5, 0, v5 :: v_dual_lshlrev_b32 v2, 2, v2
	v_cndmask_b32_e32 v4, 3, v4, vcc_lo
	v_and_b32_e32 v2, 0xfc, v2
	s_delay_alu instid0(VALU_DEP_2) | instskip(NEXT) | instid1(VALU_DEP_2)
	v_cmp_eq_u64_e32 vcc_lo, 0, v[4:5]
	v_and_or_b32 v2, v4, 3, v2
	s_and_b32 s13, s13, vcc_lo
	s_delay_alu instid0(VALU_DEP_1) | instid1(SALU_CYCLE_1)
	v_cndmask_b32_e64 v2, v2, 0, s13
	s_delay_alu instid0(VALU_DEP_1)
	v_or_b32_e32 v31, v2, v66
.LBB4_507:                              ;   in Loop: Header=BB4_357 Depth=4
	s_or_b32 exec_lo, exec_lo, s73
                                        ; implicit-def: $vgpr66
.LBB4_508:                              ;   in Loop: Header=BB4_357 Depth=4
	s_and_not1_saveexec_b32 s13, s72
; %bb.509:                              ;   in Loop: Header=BB4_357 Depth=4
	v_or_b32_e32 v31, 0x7b, v66
; %bb.510:                              ;   in Loop: Header=BB4_357 Depth=4
	s_or_b32 exec_lo, exec_lo, s13
                                        ; implicit-def: $vgpr4
                                        ; implicit-def: $vgpr5
.LBB4_511:                              ;   in Loop: Header=BB4_357 Depth=4
	s_and_not1_saveexec_b32 s13, s63
	s_cbranch_execz .LBB4_517
; %bb.512:                              ;   in Loop: Header=BB4_357 Depth=4
	s_mov_b32 s63, exec_lo
                                        ; implicit-def: $vgpr31
	v_cmpx_ne_u64_e32 0, v[2:3]
	s_xor_b32 s63, exec_lo, s63
; %bb.513:                              ;   in Loop: Header=BB4_357 Depth=4
	v_or_b32_e32 v31, 0x7f, v5
                                        ; implicit-def: $vgpr4
; %bb.514:                              ;   in Loop: Header=BB4_357 Depth=4
	s_and_not1_saveexec_b32 s63, s63
; %bb.515:                              ;   in Loop: Header=BB4_357 Depth=4
	v_cmp_lt_i32_e32 vcc_lo, -1, v4
	v_cndmask_b32_e32 v31, 0xfc, v113, vcc_lo
; %bb.516:                              ;   in Loop: Header=BB4_357 Depth=4
	s_or_b32 exec_lo, exec_lo, s63
.LBB4_517:                              ;   in Loop: Header=BB4_357 Depth=4
	s_delay_alu instid0(SALU_CYCLE_1) | instskip(SKIP_4) | instid1(VALU_DEP_3)
	s_or_b32 exec_lo, exec_lo, s13
	v_and_b32_e32 v24, 0xff, v21
	v_dual_mov_b32 v2, v21 :: v_dual_mov_b32 v5, 0
	v_mov_b32_e32 v4, 0
	s_mov_b32 s13, exec_lo
	v_cmpx_ne_u16_e32 0, v24
	s_cbranch_execz .LBB4_527
; %bb.518:                              ;   in Loop: Header=BB4_357 Depth=4
	v_bfrev_b32_e32 v4, 1
	s_mov_b32 s63, exec_lo
	v_cmpx_ne_u16_e32 0x80, v24
	s_cbranch_execz .LBB4_526
; %bb.519:                              ;   in Loop: Header=BB4_357 Depth=4
	v_and_b32_e32 v4, 0x7c, v21
	v_and_b32_e32 v24, 3, v21
	s_delay_alu instid0(VALU_DEP_2) | instskip(SKIP_1) | instid1(SALU_CYCLE_1)
	v_cmp_ne_u32_e32 vcc_lo, 0x7c, v4
                                        ; implicit-def: $vgpr4
	s_and_saveexec_b32 s72, vcc_lo
	s_xor_b32 s72, exec_lo, s72
	s_cbranch_execz .LBB4_523
; %bb.520:                              ;   in Loop: Header=BB4_357 Depth=4
	v_bfe_u32 v4, v21, 2, 5
	s_mov_b32 s73, exec_lo
	s_delay_alu instid0(VALU_DEP_1)
	v_cmpx_eq_u32_e32 0, v4
; %bb.521:                              ;   in Loop: Header=BB4_357 Depth=4
	v_clz_i32_u32_e32 v4, v24
	s_delay_alu instid0(VALU_DEP_1) | instskip(NEXT) | instid1(VALU_DEP_1)
	v_min_u32_e32 v4, 32, v4
	v_subrev_nc_u32_e32 v24, 29, v4
	v_sub_nc_u32_e32 v4, 30, v4
	s_delay_alu instid0(VALU_DEP_2) | instskip(NEXT) | instid1(VALU_DEP_1)
	v_lshlrev_b64_e32 v[24:25], v24, v[2:3]
	v_and_b32_e32 v24, 3, v24
; %bb.522:                              ;   in Loop: Header=BB4_357 Depth=4
	s_or_b32 exec_lo, exec_lo, s73
	v_lshlrev_b32_e32 v25, 24, v21
	s_delay_alu instid0(VALU_DEP_1) | instskip(NEXT) | instid1(VALU_DEP_1)
	v_and_b32_e32 v25, 0x80000000, v25
	v_lshl_add_u32 v4, v4, 23, v25
	s_delay_alu instid0(VALU_DEP_1) | instskip(NEXT) | instid1(VALU_DEP_1)
	v_lshl_or_b32 v4, v24, 21, v4
                                        ; implicit-def: $vgpr24
	v_add_nc_u32_e32 v4, 0x38000000, v4
.LBB4_523:                              ;   in Loop: Header=BB4_357 Depth=4
	s_and_not1_saveexec_b32 s72, s72
; %bb.524:                              ;   in Loop: Header=BB4_357 Depth=4
	v_bfe_i32 v4, v21, 0, 8
	s_delay_alu instid0(VALU_DEP_1) | instskip(SKIP_2) | instid1(VALU_DEP_2)
	v_cmp_lt_i16_e32 vcc_lo, -1, v4
	v_cndmask_b32_e32 v4, 0xff800000, v112, vcc_lo
	v_cmp_eq_u32_e32 vcc_lo, 0, v24
	v_cndmask_b32_e32 v4, 0x7f800001, v4, vcc_lo
; %bb.525:                              ;   in Loop: Header=BB4_357 Depth=4
	s_or_b32 exec_lo, exec_lo, s72
.LBB4_526:                              ;   in Loop: Header=BB4_357 Depth=4
	s_delay_alu instid0(SALU_CYCLE_1)
	s_or_b32 exec_lo, exec_lo, s63
.LBB4_527:                              ;   in Loop: Header=BB4_357 Depth=4
	s_delay_alu instid0(SALU_CYCLE_1) | instskip(SKIP_2) | instid1(VALU_DEP_1)
	s_or_b32 exec_lo, exec_lo, s13
	v_and_b32_e32 v24, 0xff, v17
	s_mov_b32 s13, exec_lo
	v_cmpx_ne_u16_e32 0, v24
	s_cbranch_execz .LBB4_537
; %bb.528:                              ;   in Loop: Header=BB4_357 Depth=4
	v_bfrev_b32_e32 v5, 1
	s_mov_b32 s63, exec_lo
	v_cmpx_ne_u16_e32 0x80, v24
	s_cbranch_execz .LBB4_536
; %bb.529:                              ;   in Loop: Header=BB4_357 Depth=4
	v_and_b32_e32 v5, 0x7c, v17
	v_and_b32_e32 v24, 3, v17
	s_delay_alu instid0(VALU_DEP_2) | instskip(SKIP_1) | instid1(SALU_CYCLE_1)
	v_cmp_ne_u32_e32 vcc_lo, 0x7c, v5
                                        ; implicit-def: $vgpr5
	s_and_saveexec_b32 s72, vcc_lo
	s_xor_b32 s72, exec_lo, s72
	s_cbranch_execz .LBB4_533
; %bb.530:                              ;   in Loop: Header=BB4_357 Depth=4
	v_bfe_u32 v5, v17, 2, 5
	s_mov_b32 s73, exec_lo
	s_delay_alu instid0(VALU_DEP_1)
	v_cmpx_eq_u32_e32 0, v5
; %bb.531:                              ;   in Loop: Header=BB4_357 Depth=4
	v_clz_i32_u32_e32 v5, v24
	v_dual_mov_b32 v24, v17 :: v_dual_mov_b32 v25, v3
	s_delay_alu instid0(VALU_DEP_2) | instskip(NEXT) | instid1(VALU_DEP_1)
	v_min_u32_e32 v5, 32, v5
	v_subrev_nc_u32_e32 v66, 29, v5
	s_delay_alu instid0(VALU_DEP_1) | instskip(NEXT) | instid1(VALU_DEP_1)
	v_lshlrev_b64_e32 v[24:25], v66, v[24:25]
	v_dual_sub_nc_u32 v5, 30, v5 :: v_dual_bitop2_b32 v24, 3, v24 bitop3:0x40
; %bb.532:                              ;   in Loop: Header=BB4_357 Depth=4
	s_or_b32 exec_lo, exec_lo, s73
	v_lshlrev_b32_e32 v25, 24, v17
	s_delay_alu instid0(VALU_DEP_1) | instskip(NEXT) | instid1(VALU_DEP_1)
	v_and_b32_e32 v25, 0x80000000, v25
	v_lshl_add_u32 v5, v5, 23, v25
	s_delay_alu instid0(VALU_DEP_1) | instskip(NEXT) | instid1(VALU_DEP_1)
	v_lshl_or_b32 v5, v24, 21, v5
                                        ; implicit-def: $vgpr24
	v_add_nc_u32_e32 v5, 0x38000000, v5
.LBB4_533:                              ;   in Loop: Header=BB4_357 Depth=4
	s_and_not1_saveexec_b32 s72, s72
; %bb.534:                              ;   in Loop: Header=BB4_357 Depth=4
	v_bfe_i32 v5, v17, 0, 8
	s_delay_alu instid0(VALU_DEP_1) | instskip(SKIP_2) | instid1(VALU_DEP_2)
	v_cmp_lt_i16_e32 vcc_lo, -1, v5
	v_cndmask_b32_e32 v5, 0xff800000, v112, vcc_lo
	v_cmp_eq_u32_e32 vcc_lo, 0, v24
	v_cndmask_b32_e32 v5, 0x7f800001, v5, vcc_lo
; %bb.535:                              ;   in Loop: Header=BB4_357 Depth=4
	s_or_b32 exec_lo, exec_lo, s72
.LBB4_536:                              ;   in Loop: Header=BB4_357 Depth=4
	s_delay_alu instid0(SALU_CYCLE_1)
	s_or_b32 exec_lo, exec_lo, s63
.LBB4_537:                              ;   in Loop: Header=BB4_357 Depth=4
	s_delay_alu instid0(SALU_CYCLE_1) | instskip(NEXT) | instid1(VALU_DEP_1)
	s_or_b32 exec_lo, exec_lo, s13
	v_dual_mul_f32 v24, v4, v5 :: v_dual_mov_b32 v67, v3
	s_delay_alu instid0(VALU_DEP_1) | instskip(SKIP_2) | instid1(VALU_DEP_2)
	v_dual_mov_b32 v5, v3 :: v_dual_lshrrev_b32 v25, 24, v24
	v_and_b32_e32 v66, 0x7f800000, v24
	v_and_b32_e32 v4, 0x7fffff, v24
	v_cmp_ne_u64_e32 vcc_lo, 0x7f800000, v[66:67]
                                        ; implicit-def: $vgpr66
	s_and_saveexec_b32 s13, vcc_lo
	s_delay_alu instid0(SALU_CYCLE_1)
	s_xor_b32 s63, exec_lo, s13
	s_cbranch_execz .LBB4_551
; %bb.538:                              ;   in Loop: Header=BB4_357 Depth=4
	v_and_b32_e32 v66, 0x7fffffff, v24
	v_mov_b32_e32 v67, v3
	s_delay_alu instid0(VALU_DEP_1) | instskip(SKIP_2) | instid1(SALU_CYCLE_1)
	v_cmp_gt_u64_e32 vcc_lo, 0x47600001, v[66:67]
	v_and_b32_e32 v67, 0x80, v25
                                        ; implicit-def: $vgpr66
	s_and_saveexec_b32 s13, vcc_lo
	s_xor_b32 s72, exec_lo, s13
	s_cbranch_execz .LBB4_548
; %bb.539:                              ;   in Loop: Header=BB4_357 Depth=4
	v_mov_b32_e32 v66, 0
	s_mov_b32 s73, exec_lo
	v_cmpx_ne_u32_e32 0, v24
	s_cbranch_execz .LBB4_547
; %bb.540:                              ;   in Loop: Header=BB4_357 Depth=4
	v_bfe_u32 v66, v24, 23, 8
	v_or_b32_e32 v85, 0x800000, v4
	s_delay_alu instid0(VALU_DEP_2) | instskip(SKIP_1) | instid1(VALU_DEP_2)
	v_sub_nc_u32_e32 v24, 0x71, v66
	v_cmp_gt_u32_e32 vcc_lo, 0x72, v66
	v_cndmask_b32_e32 v24, 0, v24, vcc_lo
	v_cmp_eq_u32_e32 vcc_lo, 0, v66
	s_delay_alu instid0(VALU_DEP_2) | instskip(SKIP_1) | instid1(VALU_DEP_2)
	v_cndmask_b32_e64 v84, v24, 0x70, vcc_lo
	v_cndmask_b32_e32 v4, v85, v4, vcc_lo
	v_dual_add_nc_u32 v24, 21, v84 :: v_dual_add_nc_u32 v100, 20, v84
	s_delay_alu instid0(VALU_DEP_1) | instskip(NEXT) | instid1(VALU_DEP_2)
	v_lshlrev_b64_e64 v[24:25], v24, -1
	v_lshlrev_b64_e64 v[100:101], v100, 1
	s_delay_alu instid0(VALU_DEP_2) | instskip(SKIP_1) | instid1(VALU_DEP_4)
	v_bfi_b32 v24, v24, 0, v4
	v_lshrrev_b64 v[4:5], v84, v[4:5]
	v_bfi_b32 v25, v25, 0, 0
	s_delay_alu instid0(VALU_DEP_1) | instskip(NEXT) | instid1(VALU_DEP_3)
	v_cmp_eq_u64_e64 s13, v[24:25], v[100:101]
	v_mov_b64_e32 v[24:25], v[4:5]
	s_and_saveexec_b32 s74, s13
; %bb.541:                              ;   in Loop: Header=BB4_357 Depth=4
	v_bfe_u32 v24, v4, 21, 1
	v_mov_b32_e32 v25, v3
	s_delay_alu instid0(VALU_DEP_1) | instskip(NEXT) | instid1(VALU_DEP_1)
	v_add_nc_u64_e32 v[24:25], v[4:5], v[24:25]
	v_add_nc_u64_e32 v[24:25], -1, v[24:25]
; %bb.542:                              ;   in Loop: Header=BB4_357 Depth=4
	s_or_b32 exec_lo, exec_lo, s74
	v_add_nc_u32_e32 v5, 0xffffff81, v66
	v_lshrrev_b32_e32 v25, 23, v4
	s_mov_b32 s13, exec_lo
	s_delay_alu instid0(VALU_DEP_2) | instskip(NEXT) | instid1(VALU_DEP_1)
	v_cndmask_b32_e64 v5, v5, 0xffffff82, vcc_lo
	v_add3_u32 v25, v84, v5, v25
	v_and_b32_e32 v5, 0x1fffff, v24
                                        ; implicit-def: $vgpr24
	s_delay_alu instid0(VALU_DEP_1) | instskip(SKIP_1) | instid1(VALU_DEP_2)
	v_dual_add_nc_u32 v66, 14, v25 :: v_dual_add_nc_u32 v4, v5, v4
	v_mov_b32_e32 v5, v3
	v_cmpx_ne_u32_e32 0, v66
	s_xor_b32 s13, exec_lo, s13
; %bb.543:                              ;   in Loop: Header=BB4_357 Depth=4
	s_delay_alu instid0(VALU_DEP_2) | instskip(SKIP_2) | instid1(VALU_DEP_2)
	v_cmp_lt_u64_e32 vcc_lo, 0xffffff, v[4:5]
	v_add_nc_u32_e32 v24, 15, v25
	v_cndmask_b32_e64 v25, 0, 1, vcc_lo
	v_cndmask_b32_e32 v24, v66, v24, vcc_lo
	s_delay_alu instid0(VALU_DEP_2)
	v_lshrrev_b64 v[4:5], v25, v[4:5]
; %bb.544:                              ;   in Loop: Header=BB4_357 Depth=4
	s_and_not1_saveexec_b32 s13, s13
; %bb.545:                              ;   in Loop: Header=BB4_357 Depth=4
	s_delay_alu instid0(VALU_DEP_1)
	v_bfe_u32 v24, v4, 23, 1
; %bb.546:                              ;   in Loop: Header=BB4_357 Depth=4
	s_or_b32 exec_lo, exec_lo, s13
	s_delay_alu instid0(VALU_DEP_2) | instskip(NEXT) | instid1(VALU_DEP_2)
	v_lshrrev_b64 v[4:5], 21, v[4:5]
	v_cmp_gt_i32_e32 vcc_lo, 32, v24
	v_min_i32_e32 v25, 31, v24
	v_cmp_eq_u32_e64 s13, 0, v24
	s_delay_alu instid0(VALU_DEP_4) | instskip(NEXT) | instid1(VALU_DEP_3)
	v_cndmask_b32_e32 v5, 0, v5, vcc_lo
	v_dual_cndmask_b32 v4, 3, v4 :: v_dual_lshlrev_b32 v25, 2, v25
	s_delay_alu instid0(VALU_DEP_1) | instskip(NEXT) | instid1(VALU_DEP_2)
	v_and_b32_e32 v25, 0xfc, v25
	v_cmp_eq_u64_e32 vcc_lo, 0, v[4:5]
	s_delay_alu instid0(VALU_DEP_2)
	v_and_or_b32 v4, v4, 3, v25
	s_and_b32 s13, s13, vcc_lo
	s_delay_alu instid0(VALU_DEP_1) | instid1(SALU_CYCLE_1)
	v_cndmask_b32_e64 v4, v4, 0, s13
	s_delay_alu instid0(VALU_DEP_1)
	v_or_b32_e32 v66, v4, v67
.LBB4_547:                              ;   in Loop: Header=BB4_357 Depth=4
	s_or_b32 exec_lo, exec_lo, s73
                                        ; implicit-def: $vgpr67
.LBB4_548:                              ;   in Loop: Header=BB4_357 Depth=4
	s_and_not1_saveexec_b32 s13, s72
; %bb.549:                              ;   in Loop: Header=BB4_357 Depth=4
	v_or_b32_e32 v66, 0x7b, v67
; %bb.550:                              ;   in Loop: Header=BB4_357 Depth=4
	s_or_b32 exec_lo, exec_lo, s13
                                        ; implicit-def: $vgpr24
                                        ; implicit-def: $vgpr4_vgpr5
                                        ; implicit-def: $vgpr25
.LBB4_551:                              ;   in Loop: Header=BB4_357 Depth=4
	s_and_not1_saveexec_b32 s13, s63
	s_cbranch_execz .LBB4_557
; %bb.552:                              ;   in Loop: Header=BB4_357 Depth=4
	s_mov_b32 s63, exec_lo
                                        ; implicit-def: $vgpr66
	v_cmpx_ne_u64_e32 0, v[4:5]
	s_xor_b32 s63, exec_lo, s63
; %bb.553:                              ;   in Loop: Header=BB4_357 Depth=4
	v_or_b32_e32 v66, 0x7f, v25
                                        ; implicit-def: $vgpr24
; %bb.554:                              ;   in Loop: Header=BB4_357 Depth=4
	s_and_not1_saveexec_b32 s63, s63
; %bb.555:                              ;   in Loop: Header=BB4_357 Depth=4
	v_cmp_lt_i32_e32 vcc_lo, -1, v24
	v_cndmask_b32_e32 v66, 0xfc, v113, vcc_lo
; %bb.556:                              ;   in Loop: Header=BB4_357 Depth=4
	s_or_b32 exec_lo, exec_lo, s63
.LBB4_557:                              ;   in Loop: Header=BB4_357 Depth=4
	s_delay_alu instid0(SALU_CYCLE_1) | instskip(SKIP_3) | instid1(VALU_DEP_2)
	s_or_b32 exec_lo, exec_lo, s13
	v_lshrrev_b16 v4, 8, v2
	v_dual_mov_b32 v24, 0 :: v_dual_mov_b32 v5, 0
	s_mov_b32 s13, exec_lo
	v_cmpx_ne_u16_e32 0, v4
	s_cbranch_execz .LBB4_567
; %bb.558:                              ;   in Loop: Header=BB4_357 Depth=4
	v_bfrev_b32_e32 v5, 1
	s_mov_b32 s63, exec_lo
	v_cmpx_ne_u16_e32 0x80, v4
	s_cbranch_execz .LBB4_566
; %bb.559:                              ;   in Loop: Header=BB4_357 Depth=4
	v_and_b32_e32 v67, 0xffff, v4
	s_delay_alu instid0(VALU_DEP_1) | instskip(SKIP_1) | instid1(VALU_DEP_2)
	v_and_b32_e32 v5, 0x7c, v67
	v_and_b32_e32 v25, 3, v67
	v_cmp_ne_u32_e32 vcc_lo, 0x7c, v5
                                        ; implicit-def: $vgpr5
	s_and_saveexec_b32 s72, vcc_lo
	s_delay_alu instid0(SALU_CYCLE_1)
	s_xor_b32 s72, exec_lo, s72
	s_cbranch_execz .LBB4_563
; %bb.560:                              ;   in Loop: Header=BB4_357 Depth=4
	v_bfe_u32 v5, v67, 2, 5
	s_mov_b32 s73, exec_lo
	s_delay_alu instid0(VALU_DEP_1)
	v_cmpx_eq_u32_e32 0, v5
; %bb.561:                              ;   in Loop: Header=BB4_357 Depth=4
	v_clz_i32_u32_e32 v5, v25
	s_delay_alu instid0(VALU_DEP_1) | instskip(SKIP_1) | instid1(VALU_DEP_2)
	v_min_u32_e32 v25, 32, v5
	v_mov_b32_e32 v5, v3
	v_subrev_nc_u32_e32 v67, 29, v25
	s_delay_alu instid0(VALU_DEP_1) | instskip(NEXT) | instid1(VALU_DEP_1)
	v_lshlrev_b64_e32 v[4:5], v67, v[4:5]
	v_dual_sub_nc_u32 v5, 30, v25 :: v_dual_bitop2_b32 v25, 3, v4 bitop3:0x40
; %bb.562:                              ;   in Loop: Header=BB4_357 Depth=4
	s_or_b32 exec_lo, exec_lo, s73
	v_lshlrev_b32_e32 v2, 16, v2
	s_delay_alu instid0(VALU_DEP_1) | instskip(NEXT) | instid1(VALU_DEP_1)
	v_and_b32_e32 v2, 0x80000000, v2
	v_lshl_add_u32 v2, v5, 23, v2
	s_delay_alu instid0(VALU_DEP_1) | instskip(NEXT) | instid1(VALU_DEP_1)
	v_lshl_or_b32 v2, v25, 21, v2
                                        ; implicit-def: $vgpr25
	v_add_nc_u32_e32 v5, 0x38000000, v2
.LBB4_563:                              ;   in Loop: Header=BB4_357 Depth=4
	s_and_not1_saveexec_b32 s72, s72
; %bb.564:                              ;   in Loop: Header=BB4_357 Depth=4
	v_cmp_lt_i16_e32 vcc_lo, -1, v2
	v_cndmask_b32_e32 v2, 0xff800000, v112, vcc_lo
	v_cmp_eq_u32_e32 vcc_lo, 0, v25
	s_delay_alu instid0(VALU_DEP_2)
	v_cndmask_b32_e32 v5, 0x7f800001, v2, vcc_lo
; %bb.565:                              ;   in Loop: Header=BB4_357 Depth=4
	s_or_b32 exec_lo, exec_lo, s72
.LBB4_566:                              ;   in Loop: Header=BB4_357 Depth=4
	s_delay_alu instid0(SALU_CYCLE_1)
	s_or_b32 exec_lo, exec_lo, s63
.LBB4_567:                              ;   in Loop: Header=BB4_357 Depth=4
	s_delay_alu instid0(SALU_CYCLE_1) | instskip(SKIP_2) | instid1(VALU_DEP_1)
	s_or_b32 exec_lo, exec_lo, s13
	v_lshrrev_b16 v2, 8, v17
	s_mov_b32 s13, exec_lo
	v_cmpx_ne_u16_e32 0, v2
	s_cbranch_execz .LBB4_577
; %bb.568:                              ;   in Loop: Header=BB4_357 Depth=4
	v_bfrev_b32_e32 v24, 1
	s_mov_b32 s63, exec_lo
	v_cmpx_ne_u16_e32 0x80, v2
	s_cbranch_execz .LBB4_576
; %bb.569:                              ;   in Loop: Header=BB4_357 Depth=4
	v_and_b32_e32 v25, 0xffff, v2
	s_delay_alu instid0(VALU_DEP_1) | instskip(SKIP_1) | instid1(VALU_DEP_2)
	v_and_b32_e32 v24, 0x7c, v25
	v_and_b32_e32 v4, 3, v25
	v_cmp_ne_u32_e32 vcc_lo, 0x7c, v24
                                        ; implicit-def: $vgpr24
	s_and_saveexec_b32 s72, vcc_lo
	s_delay_alu instid0(SALU_CYCLE_1)
	s_xor_b32 s72, exec_lo, s72
	s_cbranch_execz .LBB4_573
; %bb.570:                              ;   in Loop: Header=BB4_357 Depth=4
	v_bfe_u32 v24, v25, 2, 5
	s_mov_b32 s73, exec_lo
	s_delay_alu instid0(VALU_DEP_1)
	v_cmpx_eq_u32_e32 0, v24
; %bb.571:                              ;   in Loop: Header=BB4_357 Depth=4
	v_clz_i32_u32_e32 v4, v4
	s_delay_alu instid0(VALU_DEP_1) | instskip(NEXT) | instid1(VALU_DEP_1)
	v_min_u32_e32 v4, 32, v4
	v_subrev_nc_u32_e32 v24, 29, v4
	s_delay_alu instid0(VALU_DEP_1) | instskip(SKIP_1) | instid1(VALU_DEP_2)
	v_lshlrev_b64_e32 v[84:85], v24, v[2:3]
	v_sub_nc_u32_e32 v24, 30, v4
	v_and_b32_e32 v4, 3, v84
; %bb.572:                              ;   in Loop: Header=BB4_357 Depth=4
	s_or_b32 exec_lo, exec_lo, s73
	v_lshlrev_b32_e32 v2, 16, v17
	s_delay_alu instid0(VALU_DEP_1) | instskip(NEXT) | instid1(VALU_DEP_1)
	v_and_b32_e32 v2, 0x80000000, v2
	v_lshl_add_u32 v2, v24, 23, v2
	s_delay_alu instid0(VALU_DEP_1) | instskip(NEXT) | instid1(VALU_DEP_1)
	v_lshl_or_b32 v2, v4, 21, v2
                                        ; implicit-def: $vgpr4
	v_add_nc_u32_e32 v24, 0x38000000, v2
.LBB4_573:                              ;   in Loop: Header=BB4_357 Depth=4
	s_and_not1_saveexec_b32 s72, s72
; %bb.574:                              ;   in Loop: Header=BB4_357 Depth=4
	v_cmp_lt_i16_e32 vcc_lo, -1, v17
	v_cndmask_b32_e32 v2, 0xff800000, v112, vcc_lo
	v_cmp_eq_u32_e32 vcc_lo, 0, v4
	s_delay_alu instid0(VALU_DEP_2)
	v_cndmask_b32_e32 v24, 0x7f800001, v2, vcc_lo
; %bb.575:                              ;   in Loop: Header=BB4_357 Depth=4
	s_or_b32 exec_lo, exec_lo, s72
.LBB4_576:                              ;   in Loop: Header=BB4_357 Depth=4
	s_delay_alu instid0(SALU_CYCLE_1)
	s_or_b32 exec_lo, exec_lo, s63
.LBB4_577:                              ;   in Loop: Header=BB4_357 Depth=4
	s_delay_alu instid0(SALU_CYCLE_1) | instskip(NEXT) | instid1(VALU_DEP_1)
	s_or_b32 exec_lo, exec_lo, s13
	v_dual_mul_f32 v4, v5, v24 :: v_dual_mov_b32 v25, v3
                                        ; implicit-def: $vgpr67
	s_mov_b32 s13, exec_lo
	s_delay_alu instid0(VALU_DEP_1) | instskip(SKIP_2) | instid1(VALU_DEP_3)
	v_and_b32_e32 v24, 0x7f800000, v4
	v_and_b32_e32 v2, 0x7fffff, v4
	v_lshrrev_b32_e32 v5, 24, v4
	v_cmpx_ne_u64_e32 0x7f800000, v[24:25]
	s_xor_b32 s63, exec_lo, s13
	s_cbranch_execz .LBB4_591
; %bb.578:                              ;   in Loop: Header=BB4_357 Depth=4
	v_and_b32_e32 v24, 0x7fffffff, v4
	v_mov_b32_e32 v25, v3
	v_and_b32_e32 v84, 0x80, v5
                                        ; implicit-def: $vgpr67
	s_mov_b32 s13, exec_lo
	s_delay_alu instid0(VALU_DEP_2)
	v_cmpx_gt_u64_e32 0x47600001, v[24:25]
	s_xor_b32 s72, exec_lo, s13
	s_cbranch_execz .LBB4_588
; %bb.579:                              ;   in Loop: Header=BB4_357 Depth=4
	v_mov_b32_e32 v67, 0
	s_mov_b32 s73, exec_lo
	v_cmpx_ne_u32_e32 0, v4
	s_cbranch_execz .LBB4_587
; %bb.580:                              ;   in Loop: Header=BB4_357 Depth=4
	v_bfe_u32 v67, v4, 23, 8
	v_or_b32_e32 v24, 0x800000, v2
	s_delay_alu instid0(VALU_DEP_2) | instskip(SKIP_1) | instid1(VALU_DEP_2)
	v_sub_nc_u32_e32 v4, 0x71, v67
	v_cmp_gt_u32_e32 vcc_lo, 0x72, v67
	v_cndmask_b32_e32 v4, 0, v4, vcc_lo
	v_cmp_eq_u32_e32 vcc_lo, 0, v67
	s_delay_alu instid0(VALU_DEP_2) | instskip(NEXT) | instid1(VALU_DEP_1)
	v_cndmask_b32_e64 v85, v4, 0x70, vcc_lo
	v_dual_cndmask_b32 v2, v24, v2, vcc_lo :: v_dual_add_nc_u32 v4, 21, v85
	v_add_nc_u32_e32 v25, 20, v85
	s_delay_alu instid0(VALU_DEP_2) | instskip(NEXT) | instid1(VALU_DEP_2)
	v_lshlrev_b64_e64 v[4:5], v4, -1
	v_lshlrev_b64_e64 v[24:25], v25, 1
	s_delay_alu instid0(VALU_DEP_2) | instskip(NEXT) | instid1(VALU_DEP_3)
	v_bfi_b32 v101, v5, 0, 0
	v_bfi_b32 v100, v4, 0, v2
	v_lshrrev_b64 v[4:5], v85, v[2:3]
	s_delay_alu instid0(VALU_DEP_2) | instskip(NEXT) | instid1(VALU_DEP_2)
	v_cmp_eq_u64_e64 s13, v[100:101], v[24:25]
	v_mov_b64_e32 v[24:25], v[4:5]
	s_and_saveexec_b32 s74, s13
; %bb.581:                              ;   in Loop: Header=BB4_357 Depth=4
	v_bfe_u32 v2, v4, 21, 1
	s_delay_alu instid0(VALU_DEP_1) | instskip(NEXT) | instid1(VALU_DEP_1)
	v_add_nc_u64_e32 v[24:25], v[4:5], v[2:3]
	v_add_nc_u64_e32 v[24:25], -1, v[24:25]
; %bb.582:                              ;   in Loop: Header=BB4_357 Depth=4
	s_or_b32 exec_lo, exec_lo, s74
	v_add_nc_u32_e32 v2, 0xffffff81, v67
	v_lshrrev_b32_e32 v5, 23, v4
	s_mov_b32 s13, exec_lo
	s_delay_alu instid0(VALU_DEP_2) | instskip(NEXT) | instid1(VALU_DEP_1)
	v_cndmask_b32_e64 v2, v2, 0xffffff82, vcc_lo
	v_add3_u32 v25, v85, v2, v5
	v_and_b32_e32 v2, 0x1fffff, v24
                                        ; implicit-def: $vgpr24
	s_delay_alu instid0(VALU_DEP_1) | instskip(NEXT) | instid1(VALU_DEP_1)
	v_dual_add_nc_u32 v67, 14, v25 :: v_dual_add_nc_u32 v2, v2, v4
                                        ; implicit-def: $vgpr4_vgpr5
	v_cmpx_ne_u32_e32 0, v67
	s_xor_b32 s13, exec_lo, s13
; %bb.583:                              ;   in Loop: Header=BB4_357 Depth=4
	s_delay_alu instid0(VALU_DEP_2) | instskip(SKIP_1) | instid1(VALU_DEP_1)
	v_cmp_lt_u64_e32 vcc_lo, 0xffffff, v[2:3]
	v_add_nc_u32_e32 v4, 15, v25
	v_cndmask_b32_e32 v24, v67, v4, vcc_lo
	v_cndmask_b32_e64 v4, 0, 1, vcc_lo
	s_delay_alu instid0(VALU_DEP_1)
	v_lshrrev_b64 v[4:5], v4, v[2:3]
; %bb.584:                              ;   in Loop: Header=BB4_357 Depth=4
	s_and_not1_saveexec_b32 s13, s13
; %bb.585:                              ;   in Loop: Header=BB4_357 Depth=4
	v_mov_b64_e32 v[4:5], v[2:3]
	v_bfe_u32 v24, v2, 23, 1
; %bb.586:                              ;   in Loop: Header=BB4_357 Depth=4
	s_or_b32 exec_lo, exec_lo, s13
	s_delay_alu instid0(VALU_DEP_2) | instskip(NEXT) | instid1(VALU_DEP_2)
	v_lshrrev_b64 v[4:5], 21, v[4:5]
	v_cmp_gt_i32_e32 vcc_lo, 32, v24
	v_min_i32_e32 v2, 31, v24
	v_cmp_eq_u32_e64 s13, 0, v24
	s_delay_alu instid0(VALU_DEP_2) | instskip(SKIP_1) | instid1(VALU_DEP_2)
	v_dual_cndmask_b32 v5, 0, v5 :: v_dual_lshlrev_b32 v2, 2, v2
	v_cndmask_b32_e32 v4, 3, v4, vcc_lo
	v_and_b32_e32 v2, 0xfc, v2
	s_delay_alu instid0(VALU_DEP_2) | instskip(NEXT) | instid1(VALU_DEP_2)
	v_cmp_eq_u64_e32 vcc_lo, 0, v[4:5]
	v_and_or_b32 v2, v4, 3, v2
	s_and_b32 s13, s13, vcc_lo
	s_delay_alu instid0(VALU_DEP_1) | instid1(SALU_CYCLE_1)
	v_cndmask_b32_e64 v2, v2, 0, s13
	s_delay_alu instid0(VALU_DEP_1)
	v_or_b32_e32 v67, v2, v84
.LBB4_587:                              ;   in Loop: Header=BB4_357 Depth=4
	s_or_b32 exec_lo, exec_lo, s73
                                        ; implicit-def: $vgpr84
.LBB4_588:                              ;   in Loop: Header=BB4_357 Depth=4
	s_and_not1_saveexec_b32 s13, s72
; %bb.589:                              ;   in Loop: Header=BB4_357 Depth=4
	v_or_b32_e32 v67, 0x7b, v84
; %bb.590:                              ;   in Loop: Header=BB4_357 Depth=4
	s_or_b32 exec_lo, exec_lo, s13
                                        ; implicit-def: $vgpr4
                                        ; implicit-def: $vgpr5
.LBB4_591:                              ;   in Loop: Header=BB4_357 Depth=4
	s_and_not1_saveexec_b32 s13, s63
	s_cbranch_execz .LBB4_597
; %bb.592:                              ;   in Loop: Header=BB4_357 Depth=4
	s_mov_b32 s63, exec_lo
                                        ; implicit-def: $vgpr67
	v_cmpx_ne_u64_e32 0, v[2:3]
	s_xor_b32 s63, exec_lo, s63
; %bb.593:                              ;   in Loop: Header=BB4_357 Depth=4
	v_or_b32_e32 v67, 0x7f, v5
                                        ; implicit-def: $vgpr4
; %bb.594:                              ;   in Loop: Header=BB4_357 Depth=4
	s_and_not1_saveexec_b32 s63, s63
; %bb.595:                              ;   in Loop: Header=BB4_357 Depth=4
	v_cmp_lt_i32_e32 vcc_lo, -1, v4
	v_cndmask_b32_e32 v67, 0xfc, v113, vcc_lo
; %bb.596:                              ;   in Loop: Header=BB4_357 Depth=4
	s_or_b32 exec_lo, exec_lo, s63
.LBB4_597:                              ;   in Loop: Header=BB4_357 Depth=4
	s_delay_alu instid0(SALU_CYCLE_1) | instskip(SKIP_3) | instid1(VALU_DEP_2)
	s_or_b32 exec_lo, exec_lo, s13
	v_dual_lshrrev_b32 v2, 16, v21 :: v_dual_mov_b32 v4, 0
	v_mov_b32_e32 v5, 0
	s_mov_b32 s13, exec_lo
	v_and_b32_e32 v24, 0xff, v2
	s_delay_alu instid0(VALU_DEP_1)
	v_cmpx_ne_u16_e32 0, v24
	s_cbranch_execz .LBB4_607
; %bb.598:                              ;   in Loop: Header=BB4_357 Depth=4
	v_bfrev_b32_e32 v5, 1
	s_mov_b32 s63, exec_lo
	v_cmpx_ne_u16_e32 0x80, v24
	s_cbranch_execz .LBB4_606
; %bb.599:                              ;   in Loop: Header=BB4_357 Depth=4
	v_and_b32_e32 v5, 0x7c0000, v21
	v_bfe_u32 v24, v21, 16, 2
	s_delay_alu instid0(VALU_DEP_2) | instskip(SKIP_1) | instid1(SALU_CYCLE_1)
	v_cmp_ne_u32_e32 vcc_lo, 0x7c0000, v5
                                        ; implicit-def: $vgpr5
	s_and_saveexec_b32 s72, vcc_lo
	s_xor_b32 s72, exec_lo, s72
	s_cbranch_execz .LBB4_603
; %bb.600:                              ;   in Loop: Header=BB4_357 Depth=4
	v_bfe_u32 v5, v21, 18, 5
	s_mov_b32 s73, exec_lo
	s_delay_alu instid0(VALU_DEP_1)
	v_cmpx_eq_u32_e32 0, v5
; %bb.601:                              ;   in Loop: Header=BB4_357 Depth=4
	v_clz_i32_u32_e32 v5, v24
	s_delay_alu instid0(VALU_DEP_1) | instskip(NEXT) | instid1(VALU_DEP_1)
	v_min_u32_e32 v5, 32, v5
	v_subrev_nc_u32_e32 v24, 29, v5
	s_delay_alu instid0(VALU_DEP_1) | instskip(NEXT) | instid1(VALU_DEP_1)
	v_lshlrev_b64_e32 v[24:25], v24, v[2:3]
	v_dual_sub_nc_u32 v5, 30, v5 :: v_dual_bitop2_b32 v24, 3, v24 bitop3:0x40
; %bb.602:                              ;   in Loop: Header=BB4_357 Depth=4
	s_or_b32 exec_lo, exec_lo, s73
	v_lshlrev_b32_e32 v2, 24, v2
	s_delay_alu instid0(VALU_DEP_1) | instskip(NEXT) | instid1(VALU_DEP_1)
	v_and_b32_e32 v2, 0x80000000, v2
	v_lshl_add_u32 v2, v5, 23, v2
	s_delay_alu instid0(VALU_DEP_1) | instskip(NEXT) | instid1(VALU_DEP_1)
	v_lshl_or_b32 v2, v24, 21, v2
                                        ; implicit-def: $vgpr24
	v_add_nc_u32_e32 v5, 0x38000000, v2
                                        ; implicit-def: $vgpr2
.LBB4_603:                              ;   in Loop: Header=BB4_357 Depth=4
	s_and_not1_saveexec_b32 s72, s72
; %bb.604:                              ;   in Loop: Header=BB4_357 Depth=4
	v_bfe_i32 v2, v2, 0, 8
	s_delay_alu instid0(VALU_DEP_1) | instskip(SKIP_2) | instid1(VALU_DEP_2)
	v_cmp_lt_i16_e32 vcc_lo, -1, v2
	v_cndmask_b32_e32 v2, 0xff800000, v112, vcc_lo
	v_cmp_eq_u32_e32 vcc_lo, 0, v24
	v_cndmask_b32_e32 v5, 0x7f800001, v2, vcc_lo
; %bb.605:                              ;   in Loop: Header=BB4_357 Depth=4
	s_or_b32 exec_lo, exec_lo, s72
.LBB4_606:                              ;   in Loop: Header=BB4_357 Depth=4
	s_delay_alu instid0(SALU_CYCLE_1)
	s_or_b32 exec_lo, exec_lo, s63
.LBB4_607:                              ;   in Loop: Header=BB4_357 Depth=4
	s_delay_alu instid0(SALU_CYCLE_1) | instskip(SKIP_2) | instid1(VALU_DEP_1)
	s_or_b32 exec_lo, exec_lo, s13
	v_lshrrev_b32_e32 v2, 16, v17
	s_mov_b32 s13, exec_lo
	v_and_b32_e32 v24, 0xff, v2
	s_delay_alu instid0(VALU_DEP_1)
	v_cmpx_ne_u16_e32 0, v24
	s_cbranch_execz .LBB4_617
; %bb.608:                              ;   in Loop: Header=BB4_357 Depth=4
	v_bfrev_b32_e32 v4, 1
	s_mov_b32 s63, exec_lo
	v_cmpx_ne_u16_e32 0x80, v24
	s_cbranch_execz .LBB4_616
; %bb.609:                              ;   in Loop: Header=BB4_357 Depth=4
	v_and_b32_e32 v4, 0x7c0000, v17
	v_bfe_u32 v24, v17, 16, 2
	s_delay_alu instid0(VALU_DEP_2) | instskip(SKIP_1) | instid1(SALU_CYCLE_1)
	v_cmp_ne_u32_e32 vcc_lo, 0x7c0000, v4
                                        ; implicit-def: $vgpr4
	s_and_saveexec_b32 s72, vcc_lo
	s_xor_b32 s72, exec_lo, s72
	s_cbranch_execz .LBB4_613
; %bb.610:                              ;   in Loop: Header=BB4_357 Depth=4
	v_bfe_u32 v4, v17, 18, 5
	s_mov_b32 s73, exec_lo
	s_delay_alu instid0(VALU_DEP_1)
	v_cmpx_eq_u32_e32 0, v4
; %bb.611:                              ;   in Loop: Header=BB4_357 Depth=4
	v_clz_i32_u32_e32 v4, v24
	s_delay_alu instid0(VALU_DEP_1) | instskip(NEXT) | instid1(VALU_DEP_1)
	v_min_u32_e32 v4, 32, v4
	v_subrev_nc_u32_e32 v24, 29, v4
	v_sub_nc_u32_e32 v4, 30, v4
	s_delay_alu instid0(VALU_DEP_2) | instskip(NEXT) | instid1(VALU_DEP_1)
	v_lshlrev_b64_e32 v[24:25], v24, v[2:3]
	v_and_b32_e32 v24, 3, v24
; %bb.612:                              ;   in Loop: Header=BB4_357 Depth=4
	s_or_b32 exec_lo, exec_lo, s73
	v_lshlrev_b32_e32 v2, 24, v2
	s_delay_alu instid0(VALU_DEP_1) | instskip(NEXT) | instid1(VALU_DEP_1)
	v_and_b32_e32 v2, 0x80000000, v2
	v_lshl_add_u32 v2, v4, 23, v2
	s_delay_alu instid0(VALU_DEP_1) | instskip(NEXT) | instid1(VALU_DEP_1)
	v_lshl_or_b32 v2, v24, 21, v2
                                        ; implicit-def: $vgpr24
	v_add_nc_u32_e32 v4, 0x38000000, v2
                                        ; implicit-def: $vgpr2
.LBB4_613:                              ;   in Loop: Header=BB4_357 Depth=4
	s_and_not1_saveexec_b32 s72, s72
; %bb.614:                              ;   in Loop: Header=BB4_357 Depth=4
	v_bfe_i32 v2, v2, 0, 8
	s_delay_alu instid0(VALU_DEP_1) | instskip(SKIP_2) | instid1(VALU_DEP_2)
	v_cmp_lt_i16_e32 vcc_lo, -1, v2
	v_cndmask_b32_e32 v2, 0xff800000, v112, vcc_lo
	v_cmp_eq_u32_e32 vcc_lo, 0, v24
	v_cndmask_b32_e32 v4, 0x7f800001, v2, vcc_lo
; %bb.615:                              ;   in Loop: Header=BB4_357 Depth=4
	s_or_b32 exec_lo, exec_lo, s72
.LBB4_616:                              ;   in Loop: Header=BB4_357 Depth=4
	s_delay_alu instid0(SALU_CYCLE_1)
	s_or_b32 exec_lo, exec_lo, s63
.LBB4_617:                              ;   in Loop: Header=BB4_357 Depth=4
	s_delay_alu instid0(SALU_CYCLE_1) | instskip(NEXT) | instid1(VALU_DEP_1)
	s_or_b32 exec_lo, exec_lo, s13
	v_dual_mul_f32 v4, v5, v4 :: v_dual_mov_b32 v25, v3
	s_delay_alu instid0(VALU_DEP_1) | instskip(SKIP_2) | instid1(VALU_DEP_3)
	v_and_b32_e32 v24, 0x7f800000, v4
	v_and_b32_e32 v2, 0x7fffff, v4
	v_lshrrev_b32_e32 v5, 24, v4
	v_cmp_ne_u64_e32 vcc_lo, 0x7f800000, v[24:25]
                                        ; implicit-def: $vgpr24
	s_and_saveexec_b32 s13, vcc_lo
	s_delay_alu instid0(SALU_CYCLE_1)
	s_xor_b32 s63, exec_lo, s13
	s_cbranch_execz .LBB4_631
; %bb.618:                              ;   in Loop: Header=BB4_357 Depth=4
	v_and_b32_e32 v24, 0x7fffffff, v4
	v_mov_b32_e32 v25, v3
	v_and_b32_e32 v84, 0x80, v5
	s_delay_alu instid0(VALU_DEP_2) | instskip(SKIP_1) | instid1(SALU_CYCLE_1)
	v_cmp_gt_u64_e32 vcc_lo, 0x47600001, v[24:25]
                                        ; implicit-def: $vgpr24
	s_and_saveexec_b32 s13, vcc_lo
	s_xor_b32 s72, exec_lo, s13
	s_cbranch_execz .LBB4_628
; %bb.619:                              ;   in Loop: Header=BB4_357 Depth=4
	v_mov_b32_e32 v24, 0
	s_mov_b32 s73, exec_lo
	v_cmpx_ne_u32_e32 0, v4
	s_cbranch_execz .LBB4_627
; %bb.620:                              ;   in Loop: Header=BB4_357 Depth=4
	v_bfe_u32 v85, v4, 23, 8
	v_or_b32_e32 v24, 0x800000, v2
	s_delay_alu instid0(VALU_DEP_2) | instskip(SKIP_1) | instid1(VALU_DEP_2)
	v_sub_nc_u32_e32 v4, 0x71, v85
	v_cmp_gt_u32_e32 vcc_lo, 0x72, v85
	v_cndmask_b32_e32 v4, 0, v4, vcc_lo
	v_cmp_eq_u32_e32 vcc_lo, 0, v85
	v_cndmask_b32_e32 v2, v24, v2, vcc_lo
	s_delay_alu instid0(VALU_DEP_3) | instskip(NEXT) | instid1(VALU_DEP_1)
	v_cndmask_b32_e64 v100, v4, 0x70, vcc_lo
	v_dual_add_nc_u32 v4, 21, v100 :: v_dual_add_nc_u32 v25, 20, v100
	s_delay_alu instid0(VALU_DEP_1) | instskip(NEXT) | instid1(VALU_DEP_2)
	v_lshlrev_b64_e64 v[4:5], v4, -1
	v_lshlrev_b64_e64 v[24:25], v25, 1
	s_delay_alu instid0(VALU_DEP_2) | instskip(NEXT) | instid1(VALU_DEP_3)
	v_bfi_b32 v103, v5, 0, 0
	v_bfi_b32 v102, v4, 0, v2
	v_lshrrev_b64 v[4:5], v100, v[2:3]
	s_delay_alu instid0(VALU_DEP_2) | instskip(NEXT) | instid1(VALU_DEP_2)
	v_cmp_eq_u64_e64 s13, v[102:103], v[24:25]
	v_mov_b64_e32 v[24:25], v[4:5]
	s_and_saveexec_b32 s74, s13
; %bb.621:                              ;   in Loop: Header=BB4_357 Depth=4
	v_bfe_u32 v2, v4, 21, 1
	s_delay_alu instid0(VALU_DEP_1) | instskip(NEXT) | instid1(VALU_DEP_1)
	v_add_nc_u64_e32 v[24:25], v[4:5], v[2:3]
	v_add_nc_u64_e32 v[24:25], -1, v[24:25]
; %bb.622:                              ;   in Loop: Header=BB4_357 Depth=4
	s_or_b32 exec_lo, exec_lo, s74
	v_add_nc_u32_e32 v2, 0xffffff81, v85
	v_lshrrev_b32_e32 v5, 23, v4
	s_mov_b32 s13, exec_lo
	s_delay_alu instid0(VALU_DEP_2) | instskip(NEXT) | instid1(VALU_DEP_1)
	v_cndmask_b32_e64 v2, v2, 0xffffff82, vcc_lo
	v_add3_u32 v25, v100, v2, v5
	v_and_b32_e32 v2, 0x1fffff, v24
                                        ; implicit-def: $vgpr24
	s_delay_alu instid0(VALU_DEP_1) | instskip(NEXT) | instid1(VALU_DEP_1)
	v_dual_add_nc_u32 v85, 14, v25 :: v_dual_add_nc_u32 v2, v2, v4
                                        ; implicit-def: $vgpr4_vgpr5
	v_cmpx_ne_u32_e32 0, v85
	s_xor_b32 s13, exec_lo, s13
; %bb.623:                              ;   in Loop: Header=BB4_357 Depth=4
	s_delay_alu instid0(VALU_DEP_2) | instskip(SKIP_1) | instid1(VALU_DEP_1)
	v_cmp_lt_u64_e32 vcc_lo, 0xffffff, v[2:3]
	v_add_nc_u32_e32 v4, 15, v25
	v_cndmask_b32_e32 v24, v85, v4, vcc_lo
	v_cndmask_b32_e64 v4, 0, 1, vcc_lo
	s_delay_alu instid0(VALU_DEP_1)
	v_lshrrev_b64 v[4:5], v4, v[2:3]
; %bb.624:                              ;   in Loop: Header=BB4_357 Depth=4
	s_and_not1_saveexec_b32 s13, s13
; %bb.625:                              ;   in Loop: Header=BB4_357 Depth=4
	v_mov_b64_e32 v[4:5], v[2:3]
	v_bfe_u32 v24, v2, 23, 1
; %bb.626:                              ;   in Loop: Header=BB4_357 Depth=4
	s_or_b32 exec_lo, exec_lo, s13
	s_delay_alu instid0(VALU_DEP_2) | instskip(NEXT) | instid1(VALU_DEP_2)
	v_lshrrev_b64 v[4:5], 21, v[4:5]
	v_cmp_gt_i32_e32 vcc_lo, 32, v24
	v_min_i32_e32 v2, 31, v24
	v_cmp_eq_u32_e64 s13, 0, v24
	s_delay_alu instid0(VALU_DEP_2) | instskip(SKIP_1) | instid1(VALU_DEP_2)
	v_dual_cndmask_b32 v5, 0, v5 :: v_dual_lshlrev_b32 v2, 2, v2
	v_cndmask_b32_e32 v4, 3, v4, vcc_lo
	v_and_b32_e32 v2, 0xfc, v2
	s_delay_alu instid0(VALU_DEP_2) | instskip(NEXT) | instid1(VALU_DEP_2)
	v_cmp_eq_u64_e32 vcc_lo, 0, v[4:5]
	v_and_or_b32 v2, v4, 3, v2
	s_and_b32 s13, s13, vcc_lo
	s_delay_alu instid0(VALU_DEP_1) | instid1(SALU_CYCLE_1)
	v_cndmask_b32_e64 v2, v2, 0, s13
	s_delay_alu instid0(VALU_DEP_1)
	v_or_b32_e32 v24, v2, v84
.LBB4_627:                              ;   in Loop: Header=BB4_357 Depth=4
	s_or_b32 exec_lo, exec_lo, s73
                                        ; implicit-def: $vgpr84
.LBB4_628:                              ;   in Loop: Header=BB4_357 Depth=4
	s_and_not1_saveexec_b32 s13, s72
; %bb.629:                              ;   in Loop: Header=BB4_357 Depth=4
	v_or_b32_e32 v24, 0x7b, v84
; %bb.630:                              ;   in Loop: Header=BB4_357 Depth=4
	s_or_b32 exec_lo, exec_lo, s13
                                        ; implicit-def: $vgpr4
                                        ; implicit-def: $vgpr5
.LBB4_631:                              ;   in Loop: Header=BB4_357 Depth=4
	s_and_not1_saveexec_b32 s13, s63
	s_cbranch_execz .LBB4_637
; %bb.632:                              ;   in Loop: Header=BB4_357 Depth=4
	s_mov_b32 s63, exec_lo
                                        ; implicit-def: $vgpr24
	v_cmpx_ne_u64_e32 0, v[2:3]
	s_xor_b32 s63, exec_lo, s63
; %bb.633:                              ;   in Loop: Header=BB4_357 Depth=4
	v_or_b32_e32 v24, 0x7f, v5
                                        ; implicit-def: $vgpr4
; %bb.634:                              ;   in Loop: Header=BB4_357 Depth=4
	s_and_not1_saveexec_b32 s63, s63
; %bb.635:                              ;   in Loop: Header=BB4_357 Depth=4
	v_cmp_lt_i32_e32 vcc_lo, -1, v4
	v_cndmask_b32_e32 v24, 0xfc, v113, vcc_lo
; %bb.636:                              ;   in Loop: Header=BB4_357 Depth=4
	s_or_b32 exec_lo, exec_lo, s63
.LBB4_637:                              ;   in Loop: Header=BB4_357 Depth=4
	s_delay_alu instid0(SALU_CYCLE_1)
	s_or_b32 exec_lo, exec_lo, s13
	v_dual_mov_b32 v4, 0 :: v_dual_mov_b32 v5, 0
	s_mov_b32 s13, exec_lo
	v_cmpx_lt_u64_e64 s[22:23], v[20:21]
	s_cbranch_execz .LBB4_647
; %bb.638:                              ;   in Loop: Header=BB4_357 Depth=4
	v_lshrrev_b32_e32 v2, 24, v21
	v_bfrev_b32_e32 v5, 1
	s_mov_b32 s63, exec_lo
	s_delay_alu instid0(VALU_DEP_2)
	v_cmpx_ne_u32_e32 0x80, v2
	s_cbranch_execz .LBB4_646
; %bb.639:                              ;   in Loop: Header=BB4_357 Depth=4
	v_and_b32_e32 v5, 0x7c000000, v21
	v_bfe_u32 v25, v21, 24, 2
	s_delay_alu instid0(VALU_DEP_2) | instskip(SKIP_1) | instid1(SALU_CYCLE_1)
	v_cmp_ne_u32_e32 vcc_lo, 0x7c000000, v5
                                        ; implicit-def: $vgpr5
	s_and_saveexec_b32 s72, vcc_lo
	s_xor_b32 s72, exec_lo, s72
	s_cbranch_execz .LBB4_643
; %bb.640:                              ;   in Loop: Header=BB4_357 Depth=4
	v_bfe_u32 v5, v21, 26, 5
	s_mov_b32 s73, exec_lo
	s_delay_alu instid0(VALU_DEP_1)
	v_cmpx_eq_u32_e32 0, v5
; %bb.641:                              ;   in Loop: Header=BB4_357 Depth=4
	v_clz_i32_u32_e32 v5, v25
	s_delay_alu instid0(VALU_DEP_1) | instskip(NEXT) | instid1(VALU_DEP_1)
	v_min_u32_e32 v5, 32, v5
	v_subrev_nc_u32_e32 v25, 29, v5
	s_delay_alu instid0(VALU_DEP_1) | instskip(NEXT) | instid1(VALU_DEP_1)
	v_lshlrev_b64_e32 v[84:85], v25, v[2:3]
	v_dual_sub_nc_u32 v5, 30, v5 :: v_dual_bitop2_b32 v25, 3, v84 bitop3:0x40
; %bb.642:                              ;   in Loop: Header=BB4_357 Depth=4
	s_or_b32 exec_lo, exec_lo, s73
	v_and_b32_e32 v2, 0x80000000, v21
	s_delay_alu instid0(VALU_DEP_1) | instskip(NEXT) | instid1(VALU_DEP_1)
	v_lshl_add_u32 v2, v5, 23, v2
	v_lshl_or_b32 v2, v25, 21, v2
                                        ; implicit-def: $vgpr25
	s_delay_alu instid0(VALU_DEP_1)
	v_add_nc_u32_e32 v5, 0x38000000, v2
.LBB4_643:                              ;   in Loop: Header=BB4_357 Depth=4
	s_and_not1_saveexec_b32 s72, s72
; %bb.644:                              ;   in Loop: Header=BB4_357 Depth=4
	v_cmp_lt_i64_e32 vcc_lo, -1, v[20:21]
	v_cndmask_b32_e32 v2, 0xff800000, v112, vcc_lo
	v_cmp_eq_u32_e32 vcc_lo, 0, v25
	s_delay_alu instid0(VALU_DEP_2)
	v_cndmask_b32_e32 v5, 0x7f800001, v2, vcc_lo
; %bb.645:                              ;   in Loop: Header=BB4_357 Depth=4
	s_or_b32 exec_lo, exec_lo, s72
.LBB4_646:                              ;   in Loop: Header=BB4_357 Depth=4
	s_delay_alu instid0(SALU_CYCLE_1)
	s_or_b32 exec_lo, exec_lo, s63
.LBB4_647:                              ;   in Loop: Header=BB4_357 Depth=4
	s_delay_alu instid0(SALU_CYCLE_1) | instskip(NEXT) | instid1(SALU_CYCLE_1)
	s_or_b32 exec_lo, exec_lo, s13
	s_mov_b32 s13, exec_lo
	v_cmpx_lt_u64_e64 s[22:23], v[16:17]
	s_cbranch_execz .LBB4_657
; %bb.648:                              ;   in Loop: Header=BB4_357 Depth=4
	v_lshrrev_b32_e32 v2, 24, v17
	v_bfrev_b32_e32 v4, 1
	s_mov_b32 s63, exec_lo
	s_delay_alu instid0(VALU_DEP_2)
	v_cmpx_ne_u32_e32 0x80, v2
	s_cbranch_execz .LBB4_656
; %bb.649:                              ;   in Loop: Header=BB4_357 Depth=4
	v_and_b32_e32 v4, 0x7c000000, v17
	v_bfe_u32 v20, v17, 24, 2
	s_delay_alu instid0(VALU_DEP_2) | instskip(SKIP_1) | instid1(SALU_CYCLE_1)
	v_cmp_ne_u32_e32 vcc_lo, 0x7c000000, v4
                                        ; implicit-def: $vgpr4
	s_and_saveexec_b32 s72, vcc_lo
	s_xor_b32 s72, exec_lo, s72
	s_cbranch_execz .LBB4_653
; %bb.650:                              ;   in Loop: Header=BB4_357 Depth=4
	v_bfe_u32 v4, v17, 26, 5
	s_mov_b32 s73, exec_lo
	s_delay_alu instid0(VALU_DEP_1)
	v_cmpx_eq_u32_e32 0, v4
; %bb.651:                              ;   in Loop: Header=BB4_357 Depth=4
	v_clz_i32_u32_e32 v4, v20
	s_delay_alu instid0(VALU_DEP_1) | instskip(NEXT) | instid1(VALU_DEP_1)
	v_min_u32_e32 v4, 32, v4
	v_subrev_nc_u32_e32 v20, 29, v4
	v_sub_nc_u32_e32 v4, 30, v4
	s_delay_alu instid0(VALU_DEP_2) | instskip(NEXT) | instid1(VALU_DEP_1)
	v_lshlrev_b64_e32 v[20:21], v20, v[2:3]
	v_and_b32_e32 v20, 3, v20
; %bb.652:                              ;   in Loop: Header=BB4_357 Depth=4
	s_or_b32 exec_lo, exec_lo, s73
	v_and_b32_e32 v2, 0x80000000, v17
	s_delay_alu instid0(VALU_DEP_1) | instskip(NEXT) | instid1(VALU_DEP_1)
	v_lshl_add_u32 v2, v4, 23, v2
	v_lshl_or_b32 v2, v20, 21, v2
                                        ; implicit-def: $vgpr20
	s_delay_alu instid0(VALU_DEP_1)
	v_add_nc_u32_e32 v4, 0x38000000, v2
.LBB4_653:                              ;   in Loop: Header=BB4_357 Depth=4
	s_and_not1_saveexec_b32 s72, s72
; %bb.654:                              ;   in Loop: Header=BB4_357 Depth=4
	v_cmp_lt_i64_e32 vcc_lo, -1, v[16:17]
	v_cndmask_b32_e32 v2, 0xff800000, v112, vcc_lo
	v_cmp_eq_u32_e32 vcc_lo, 0, v20
	s_delay_alu instid0(VALU_DEP_2)
	v_cndmask_b32_e32 v4, 0x7f800001, v2, vcc_lo
; %bb.655:                              ;   in Loop: Header=BB4_357 Depth=4
	s_or_b32 exec_lo, exec_lo, s72
.LBB4_656:                              ;   in Loop: Header=BB4_357 Depth=4
	s_delay_alu instid0(SALU_CYCLE_1)
	s_or_b32 exec_lo, exec_lo, s63
.LBB4_657:                              ;   in Loop: Header=BB4_357 Depth=4
	s_delay_alu instid0(SALU_CYCLE_1) | instskip(NEXT) | instid1(VALU_DEP_1)
	s_or_b32 exec_lo, exec_lo, s13
	v_dual_mul_f32 v4, v5, v4 :: v_dual_mov_b32 v17, v3
                                        ; implicit-def: $vgpr20
	s_mov_b32 s13, exec_lo
	s_delay_alu instid0(VALU_DEP_1) | instskip(SKIP_2) | instid1(VALU_DEP_3)
	v_and_b32_e32 v16, 0x7f800000, v4
	v_and_b32_e32 v2, 0x7fffff, v4
	v_lshrrev_b32_e32 v5, 24, v4
	v_cmpx_ne_u64_e32 0x7f800000, v[16:17]
	s_xor_b32 s63, exec_lo, s13
	s_cbranch_execz .LBB4_671
; %bb.658:                              ;   in Loop: Header=BB4_357 Depth=4
	v_and_b32_e32 v16, 0x7fffffff, v4
	v_mov_b32_e32 v17, v3
	v_and_b32_e32 v21, 0x80, v5
                                        ; implicit-def: $vgpr20
	s_mov_b32 s13, exec_lo
	s_delay_alu instid0(VALU_DEP_2)
	v_cmpx_gt_u64_e32 0x47600001, v[16:17]
	s_xor_b32 s72, exec_lo, s13
	s_cbranch_execz .LBB4_668
; %bb.659:                              ;   in Loop: Header=BB4_357 Depth=4
	v_mov_b32_e32 v20, 0
	s_mov_b32 s73, exec_lo
	v_cmpx_ne_u32_e32 0, v4
	s_cbranch_execz .LBB4_667
; %bb.660:                              ;   in Loop: Header=BB4_357 Depth=4
	v_bfe_u32 v20, v4, 23, 8
	v_or_b32_e32 v16, 0x800000, v2
	s_delay_alu instid0(VALU_DEP_2) | instskip(SKIP_1) | instid1(VALU_DEP_2)
	v_sub_nc_u32_e32 v4, 0x71, v20
	v_cmp_gt_u32_e32 vcc_lo, 0x72, v20
	v_cndmask_b32_e32 v4, 0, v4, vcc_lo
	v_cmp_eq_u32_e32 vcc_lo, 0, v20
	s_delay_alu instid0(VALU_DEP_2) | instskip(NEXT) | instid1(VALU_DEP_1)
	v_cndmask_b32_e64 v25, v4, 0x70, vcc_lo
	v_dual_cndmask_b32 v2, v16, v2, vcc_lo :: v_dual_add_nc_u32 v4, 21, v25
	v_add_nc_u32_e32 v17, 20, v25
	s_delay_alu instid0(VALU_DEP_2) | instskip(NEXT) | instid1(VALU_DEP_2)
	v_lshlrev_b64_e64 v[4:5], v4, -1
	v_lshlrev_b64_e64 v[16:17], v17, 1
	s_delay_alu instid0(VALU_DEP_2) | instskip(NEXT) | instid1(VALU_DEP_3)
	v_bfi_b32 v85, v5, 0, 0
	v_bfi_b32 v84, v4, 0, v2
	v_lshrrev_b64 v[4:5], v25, v[2:3]
	s_delay_alu instid0(VALU_DEP_2) | instskip(NEXT) | instid1(VALU_DEP_2)
	v_cmp_eq_u64_e64 s13, v[84:85], v[16:17]
	v_mov_b64_e32 v[16:17], v[4:5]
	s_and_saveexec_b32 s74, s13
; %bb.661:                              ;   in Loop: Header=BB4_357 Depth=4
	v_bfe_u32 v2, v4, 21, 1
	s_delay_alu instid0(VALU_DEP_1) | instskip(NEXT) | instid1(VALU_DEP_1)
	v_add_nc_u64_e32 v[16:17], v[4:5], v[2:3]
	v_add_nc_u64_e32 v[16:17], -1, v[16:17]
; %bb.662:                              ;   in Loop: Header=BB4_357 Depth=4
	s_or_b32 exec_lo, exec_lo, s74
	v_add_nc_u32_e32 v2, 0xffffff81, v20
	v_lshrrev_b32_e32 v5, 23, v4
	s_mov_b32 s13, exec_lo
	s_delay_alu instid0(VALU_DEP_2) | instskip(NEXT) | instid1(VALU_DEP_1)
	v_cndmask_b32_e64 v2, v2, 0xffffff82, vcc_lo
	v_add3_u32 v17, v25, v2, v5
	v_and_b32_e32 v2, 0x1fffff, v16
                                        ; implicit-def: $vgpr16
	s_delay_alu instid0(VALU_DEP_1) | instskip(NEXT) | instid1(VALU_DEP_1)
	v_dual_add_nc_u32 v20, 14, v17 :: v_dual_add_nc_u32 v2, v2, v4
                                        ; implicit-def: $vgpr4_vgpr5
	v_cmpx_ne_u32_e32 0, v20
	s_xor_b32 s13, exec_lo, s13
; %bb.663:                              ;   in Loop: Header=BB4_357 Depth=4
	s_delay_alu instid0(VALU_DEP_2) | instskip(SKIP_1) | instid1(VALU_DEP_1)
	v_cmp_lt_u64_e32 vcc_lo, 0xffffff, v[2:3]
	v_add_nc_u32_e32 v4, 15, v17
	v_cndmask_b32_e32 v16, v20, v4, vcc_lo
	v_cndmask_b32_e64 v4, 0, 1, vcc_lo
	s_delay_alu instid0(VALU_DEP_1)
	v_lshrrev_b64 v[4:5], v4, v[2:3]
; %bb.664:                              ;   in Loop: Header=BB4_357 Depth=4
	s_and_not1_saveexec_b32 s13, s13
; %bb.665:                              ;   in Loop: Header=BB4_357 Depth=4
	v_mov_b64_e32 v[4:5], v[2:3]
	v_bfe_u32 v16, v2, 23, 1
; %bb.666:                              ;   in Loop: Header=BB4_357 Depth=4
	s_or_b32 exec_lo, exec_lo, s13
	s_delay_alu instid0(VALU_DEP_2) | instskip(NEXT) | instid1(VALU_DEP_2)
	v_lshrrev_b64 v[4:5], 21, v[4:5]
	v_cmp_gt_i32_e32 vcc_lo, 32, v16
	v_min_i32_e32 v2, 31, v16
	v_cmp_eq_u32_e64 s13, 0, v16
	s_delay_alu instid0(VALU_DEP_2) | instskip(SKIP_1) | instid1(VALU_DEP_2)
	v_dual_cndmask_b32 v5, 0, v5 :: v_dual_lshlrev_b32 v2, 2, v2
	v_cndmask_b32_e32 v4, 3, v4, vcc_lo
	v_and_b32_e32 v2, 0xfc, v2
	s_delay_alu instid0(VALU_DEP_2) | instskip(NEXT) | instid1(VALU_DEP_2)
	v_cmp_eq_u64_e32 vcc_lo, 0, v[4:5]
	v_and_or_b32 v2, v4, 3, v2
	s_and_b32 s13, s13, vcc_lo
	s_delay_alu instid0(VALU_DEP_1) | instid1(SALU_CYCLE_1)
	v_cndmask_b32_e64 v2, v2, 0, s13
	s_delay_alu instid0(VALU_DEP_1)
	v_or_b32_e32 v20, v2, v21
.LBB4_667:                              ;   in Loop: Header=BB4_357 Depth=4
	s_or_b32 exec_lo, exec_lo, s73
                                        ; implicit-def: $vgpr21
.LBB4_668:                              ;   in Loop: Header=BB4_357 Depth=4
	s_and_not1_saveexec_b32 s13, s72
; %bb.669:                              ;   in Loop: Header=BB4_357 Depth=4
	v_or_b32_e32 v20, 0x7b, v21
; %bb.670:                              ;   in Loop: Header=BB4_357 Depth=4
	s_or_b32 exec_lo, exec_lo, s13
                                        ; implicit-def: $vgpr4
                                        ; implicit-def: $vgpr5
.LBB4_671:                              ;   in Loop: Header=BB4_357 Depth=4
	s_and_not1_saveexec_b32 s13, s63
	s_cbranch_execz .LBB4_677
; %bb.672:                              ;   in Loop: Header=BB4_357 Depth=4
	s_mov_b32 s63, exec_lo
                                        ; implicit-def: $vgpr20
	v_cmpx_ne_u64_e32 0, v[2:3]
	s_xor_b32 s63, exec_lo, s63
; %bb.673:                              ;   in Loop: Header=BB4_357 Depth=4
	v_or_b32_e32 v20, 0x7f, v5
                                        ; implicit-def: $vgpr4
; %bb.674:                              ;   in Loop: Header=BB4_357 Depth=4
	s_and_not1_saveexec_b32 s63, s63
; %bb.675:                              ;   in Loop: Header=BB4_357 Depth=4
	v_cmp_lt_i32_e32 vcc_lo, -1, v4
	v_cndmask_b32_e32 v20, 0xfc, v113, vcc_lo
; %bb.676:                              ;   in Loop: Header=BB4_357 Depth=4
	s_or_b32 exec_lo, exec_lo, s63
.LBB4_677:                              ;   in Loop: Header=BB4_357 Depth=4
	s_delay_alu instid0(SALU_CYCLE_1) | instskip(SKIP_2) | instid1(VALU_DEP_2)
	s_or_b32 exec_lo, exec_lo, s13
	v_and_b32_e32 v4, 0xff, v22
	v_mov_b32_e32 v2, 0
	v_cmp_ne_u16_e32 vcc_lo, 0, v4
	v_mov_b32_e32 v4, 0
	s_and_saveexec_b32 s13, vcc_lo
	s_cbranch_execz .LBB4_687
; %bb.678:                              ;   in Loop: Header=BB4_357 Depth=4
	v_bfe_i32 v16, v22, 0, 8
	v_bfrev_b32_e32 v4, 1
	s_mov_b32 s63, exec_lo
	s_delay_alu instid0(VALU_DEP_2)
	v_cmpx_ne_u16_e32 0xff80, v16
	s_cbranch_execz .LBB4_686
; %bb.679:                              ;   in Loop: Header=BB4_357 Depth=4
	v_and_b32_e32 v4, 0x7c, v22
	v_and_b32_e32 v5, 3, v22
	s_delay_alu instid0(VALU_DEP_2) | instskip(SKIP_1) | instid1(SALU_CYCLE_1)
	v_cmp_ne_u32_e32 vcc_lo, 0x7c, v4
                                        ; implicit-def: $vgpr4
	s_and_saveexec_b32 s72, vcc_lo
	s_xor_b32 s72, exec_lo, s72
	s_cbranch_execz .LBB4_683
; %bb.680:                              ;   in Loop: Header=BB4_357 Depth=4
	v_bfe_u32 v4, v22, 2, 5
	s_mov_b32 s73, exec_lo
	s_delay_alu instid0(VALU_DEP_1)
	v_cmpx_eq_u32_e32 0, v4
; %bb.681:                              ;   in Loop: Header=BB4_357 Depth=4
	v_clz_i32_u32_e32 v4, v5
	s_delay_alu instid0(VALU_DEP_1) | instskip(NEXT) | instid1(VALU_DEP_1)
	v_min_u32_e32 v4, 32, v4
	v_subrev_nc_u32_e32 v5, 29, v4
	v_sub_nc_u32_e32 v4, 30, v4
	s_delay_alu instid0(VALU_DEP_2) | instskip(NEXT) | instid1(VALU_DEP_1)
	v_lshlrev_b64_e32 v[16:17], v5, v[22:23]
	v_and_b32_e32 v5, 3, v16
; %bb.682:                              ;   in Loop: Header=BB4_357 Depth=4
	s_or_b32 exec_lo, exec_lo, s73
	v_lshlrev_b32_e32 v16, 24, v22
	s_delay_alu instid0(VALU_DEP_1) | instskip(NEXT) | instid1(VALU_DEP_1)
	v_and_b32_e32 v16, 0x80000000, v16
	v_lshl_add_u32 v4, v4, 23, v16
                                        ; implicit-def: $vgpr16
	s_delay_alu instid0(VALU_DEP_1) | instskip(NEXT) | instid1(VALU_DEP_1)
	v_lshl_or_b32 v4, v5, 21, v4
                                        ; implicit-def: $vgpr5
	v_add_nc_u32_e32 v4, 0x38000000, v4
.LBB4_683:                              ;   in Loop: Header=BB4_357 Depth=4
	s_and_not1_saveexec_b32 s72, s72
; %bb.684:                              ;   in Loop: Header=BB4_357 Depth=4
	v_cmp_lt_i16_e32 vcc_lo, -1, v16
	v_cndmask_b32_e32 v4, 0xff800000, v112, vcc_lo
	v_cmp_eq_u32_e32 vcc_lo, 0, v5
	s_delay_alu instid0(VALU_DEP_2)
	v_cndmask_b32_e32 v4, 0x7f800001, v4, vcc_lo
; %bb.685:                              ;   in Loop: Header=BB4_357 Depth=4
	s_or_b32 exec_lo, exec_lo, s72
.LBB4_686:                              ;   in Loop: Header=BB4_357 Depth=4
	s_delay_alu instid0(SALU_CYCLE_1)
	s_or_b32 exec_lo, exec_lo, s63
.LBB4_687:                              ;   in Loop: Header=BB4_357 Depth=4
	s_delay_alu instid0(SALU_CYCLE_1) | instskip(SKIP_2) | instid1(VALU_DEP_1)
	s_or_b32 exec_lo, exec_lo, s13
	v_and_b32_e32 v5, 0xff, v18
	s_mov_b32 s13, exec_lo
	v_cmpx_ne_u16_e32 0, v5
	s_cbranch_execz .LBB4_697
; %bb.688:                              ;   in Loop: Header=BB4_357 Depth=4
	v_bfe_i32 v16, v18, 0, 8
	v_bfrev_b32_e32 v2, 1
	s_mov_b32 s63, exec_lo
	s_delay_alu instid0(VALU_DEP_2)
	v_cmpx_ne_u16_e32 0xff80, v16
	s_cbranch_execz .LBB4_696
; %bb.689:                              ;   in Loop: Header=BB4_357 Depth=4
	v_and_b32_e32 v2, 0x7c, v18
	v_and_b32_e32 v5, 3, v18
	s_delay_alu instid0(VALU_DEP_2) | instskip(SKIP_1) | instid1(SALU_CYCLE_1)
	v_cmp_ne_u32_e32 vcc_lo, 0x7c, v2
                                        ; implicit-def: $vgpr2
	s_and_saveexec_b32 s72, vcc_lo
	s_xor_b32 s72, exec_lo, s72
	s_cbranch_execz .LBB4_693
; %bb.690:                              ;   in Loop: Header=BB4_357 Depth=4
	v_bfe_u32 v2, v18, 2, 5
	s_mov_b32 s73, exec_lo
	s_delay_alu instid0(VALU_DEP_1)
	v_cmpx_eq_u32_e32 0, v2
; %bb.691:                              ;   in Loop: Header=BB4_357 Depth=4
	v_clz_i32_u32_e32 v2, v5
	s_delay_alu instid0(VALU_DEP_1) | instskip(NEXT) | instid1(VALU_DEP_1)
	v_min_u32_e32 v2, 32, v2
	v_subrev_nc_u32_e32 v5, 29, v2
	s_delay_alu instid0(VALU_DEP_1) | instskip(NEXT) | instid1(VALU_DEP_1)
	v_lshlrev_b64_e32 v[16:17], v5, v[18:19]
	v_dual_sub_nc_u32 v2, 30, v2 :: v_dual_bitop2_b32 v5, 3, v16 bitop3:0x40
; %bb.692:                              ;   in Loop: Header=BB4_357 Depth=4
	s_or_b32 exec_lo, exec_lo, s73
	v_lshlrev_b32_e32 v16, 24, v18
	s_delay_alu instid0(VALU_DEP_1) | instskip(NEXT) | instid1(VALU_DEP_1)
	v_and_b32_e32 v16, 0x80000000, v16
	v_lshl_add_u32 v2, v2, 23, v16
                                        ; implicit-def: $vgpr16
	s_delay_alu instid0(VALU_DEP_1) | instskip(NEXT) | instid1(VALU_DEP_1)
	v_lshl_or_b32 v2, v5, 21, v2
                                        ; implicit-def: $vgpr5
	v_add_nc_u32_e32 v2, 0x38000000, v2
.LBB4_693:                              ;   in Loop: Header=BB4_357 Depth=4
	s_and_not1_saveexec_b32 s72, s72
; %bb.694:                              ;   in Loop: Header=BB4_357 Depth=4
	v_cmp_lt_i16_e32 vcc_lo, -1, v16
	v_cndmask_b32_e32 v2, 0xff800000, v112, vcc_lo
	v_cmp_eq_u32_e32 vcc_lo, 0, v5
	s_delay_alu instid0(VALU_DEP_2)
	v_cndmask_b32_e32 v2, 0x7f800001, v2, vcc_lo
; %bb.695:                              ;   in Loop: Header=BB4_357 Depth=4
	s_or_b32 exec_lo, exec_lo, s72
.LBB4_696:                              ;   in Loop: Header=BB4_357 Depth=4
	s_delay_alu instid0(SALU_CYCLE_1)
	s_or_b32 exec_lo, exec_lo, s63
.LBB4_697:                              ;   in Loop: Header=BB4_357 Depth=4
	s_delay_alu instid0(SALU_CYCLE_1) | instskip(NEXT) | instid1(VALU_DEP_1)
	s_or_b32 exec_lo, exec_lo, s13
	v_dual_mul_f32 v4, v4, v2 :: v_dual_mov_b32 v17, v3
                                        ; implicit-def: $vgpr21
	s_mov_b32 s13, exec_lo
	s_delay_alu instid0(VALU_DEP_1) | instskip(SKIP_2) | instid1(VALU_DEP_3)
	v_and_b32_e32 v16, 0x7f800000, v4
	v_and_b32_e32 v2, 0x7fffff, v4
	v_lshrrev_b32_e32 v5, 24, v4
	v_cmpx_ne_u64_e32 0x7f800000, v[16:17]
	s_xor_b32 s63, exec_lo, s13
	s_cbranch_execz .LBB4_711
; %bb.698:                              ;   in Loop: Header=BB4_357 Depth=4
	v_and_b32_e32 v16, 0x7fffffff, v4
	v_mov_b32_e32 v17, v3
	v_and_b32_e32 v25, 0x80, v5
                                        ; implicit-def: $vgpr21
	s_mov_b32 s13, exec_lo
	s_delay_alu instid0(VALU_DEP_2)
	v_cmpx_gt_u64_e32 0x47600001, v[16:17]
	s_xor_b32 s72, exec_lo, s13
	s_cbranch_execz .LBB4_708
; %bb.699:                              ;   in Loop: Header=BB4_357 Depth=4
	v_mov_b32_e32 v21, 0
	s_mov_b32 s73, exec_lo
	v_cmpx_ne_u32_e32 0, v4
	s_cbranch_execz .LBB4_707
; %bb.700:                              ;   in Loop: Header=BB4_357 Depth=4
	v_bfe_u32 v21, v4, 23, 8
	v_or_b32_e32 v16, 0x800000, v2
	s_delay_alu instid0(VALU_DEP_2) | instskip(SKIP_1) | instid1(VALU_DEP_2)
	v_sub_nc_u32_e32 v4, 0x71, v21
	v_cmp_gt_u32_e32 vcc_lo, 0x72, v21
	v_cndmask_b32_e32 v4, 0, v4, vcc_lo
	v_cmp_eq_u32_e32 vcc_lo, 0, v21
	v_cndmask_b32_e32 v2, v16, v2, vcc_lo
	s_delay_alu instid0(VALU_DEP_3) | instskip(NEXT) | instid1(VALU_DEP_1)
	v_cndmask_b32_e64 v84, v4, 0x70, vcc_lo
	v_dual_add_nc_u32 v4, 21, v84 :: v_dual_add_nc_u32 v17, 20, v84
	s_delay_alu instid0(VALU_DEP_1) | instskip(NEXT) | instid1(VALU_DEP_2)
	v_lshlrev_b64_e64 v[4:5], v4, -1
	v_lshlrev_b64_e64 v[16:17], v17, 1
	s_delay_alu instid0(VALU_DEP_2) | instskip(NEXT) | instid1(VALU_DEP_3)
	v_bfi_b32 v101, v5, 0, 0
	v_bfi_b32 v100, v4, 0, v2
	v_lshrrev_b64 v[4:5], v84, v[2:3]
	s_delay_alu instid0(VALU_DEP_2) | instskip(NEXT) | instid1(VALU_DEP_2)
	v_cmp_eq_u64_e64 s13, v[100:101], v[16:17]
	v_mov_b64_e32 v[16:17], v[4:5]
	s_and_saveexec_b32 s74, s13
; %bb.701:                              ;   in Loop: Header=BB4_357 Depth=4
	v_bfe_u32 v2, v4, 21, 1
	s_delay_alu instid0(VALU_DEP_1) | instskip(NEXT) | instid1(VALU_DEP_1)
	v_add_nc_u64_e32 v[16:17], v[4:5], v[2:3]
	v_add_nc_u64_e32 v[16:17], -1, v[16:17]
; %bb.702:                              ;   in Loop: Header=BB4_357 Depth=4
	s_or_b32 exec_lo, exec_lo, s74
	v_add_nc_u32_e32 v2, 0xffffff81, v21
	v_lshrrev_b32_e32 v5, 23, v4
	s_mov_b32 s13, exec_lo
	s_delay_alu instid0(VALU_DEP_2) | instskip(NEXT) | instid1(VALU_DEP_1)
	v_cndmask_b32_e64 v2, v2, 0xffffff82, vcc_lo
	v_add3_u32 v17, v84, v2, v5
	v_and_b32_e32 v2, 0x1fffff, v16
                                        ; implicit-def: $vgpr16
	s_delay_alu instid0(VALU_DEP_1) | instskip(NEXT) | instid1(VALU_DEP_1)
	v_dual_add_nc_u32 v21, 14, v17 :: v_dual_add_nc_u32 v2, v2, v4
                                        ; implicit-def: $vgpr4_vgpr5
	v_cmpx_ne_u32_e32 0, v21
	s_xor_b32 s13, exec_lo, s13
; %bb.703:                              ;   in Loop: Header=BB4_357 Depth=4
	s_delay_alu instid0(VALU_DEP_2) | instskip(SKIP_1) | instid1(VALU_DEP_1)
	v_cmp_lt_u64_e32 vcc_lo, 0xffffff, v[2:3]
	v_add_nc_u32_e32 v4, 15, v17
	v_cndmask_b32_e32 v16, v21, v4, vcc_lo
	v_cndmask_b32_e64 v4, 0, 1, vcc_lo
	s_delay_alu instid0(VALU_DEP_1)
	v_lshrrev_b64 v[4:5], v4, v[2:3]
; %bb.704:                              ;   in Loop: Header=BB4_357 Depth=4
	s_and_not1_saveexec_b32 s13, s13
; %bb.705:                              ;   in Loop: Header=BB4_357 Depth=4
	v_mov_b64_e32 v[4:5], v[2:3]
	v_bfe_u32 v16, v2, 23, 1
; %bb.706:                              ;   in Loop: Header=BB4_357 Depth=4
	s_or_b32 exec_lo, exec_lo, s13
	s_delay_alu instid0(VALU_DEP_2) | instskip(NEXT) | instid1(VALU_DEP_2)
	v_lshrrev_b64 v[4:5], 21, v[4:5]
	v_cmp_gt_i32_e32 vcc_lo, 32, v16
	v_min_i32_e32 v2, 31, v16
	v_cmp_eq_u32_e64 s13, 0, v16
	s_delay_alu instid0(VALU_DEP_2) | instskip(SKIP_1) | instid1(VALU_DEP_2)
	v_dual_cndmask_b32 v5, 0, v5 :: v_dual_lshlrev_b32 v2, 2, v2
	v_cndmask_b32_e32 v4, 3, v4, vcc_lo
	v_and_b32_e32 v2, 0xfc, v2
	s_delay_alu instid0(VALU_DEP_2) | instskip(NEXT) | instid1(VALU_DEP_2)
	v_cmp_eq_u64_e32 vcc_lo, 0, v[4:5]
	v_and_or_b32 v2, v4, 3, v2
	s_and_b32 s13, s13, vcc_lo
	s_delay_alu instid0(VALU_DEP_1) | instid1(SALU_CYCLE_1)
	v_cndmask_b32_e64 v2, v2, 0, s13
	s_delay_alu instid0(VALU_DEP_1)
	v_or_b32_e32 v21, v2, v25
.LBB4_707:                              ;   in Loop: Header=BB4_357 Depth=4
	s_or_b32 exec_lo, exec_lo, s73
                                        ; implicit-def: $vgpr25
.LBB4_708:                              ;   in Loop: Header=BB4_357 Depth=4
	s_and_not1_saveexec_b32 s13, s72
; %bb.709:                              ;   in Loop: Header=BB4_357 Depth=4
	v_or_b32_e32 v21, 0x7b, v25
; %bb.710:                              ;   in Loop: Header=BB4_357 Depth=4
	s_or_b32 exec_lo, exec_lo, s13
                                        ; implicit-def: $vgpr4
                                        ; implicit-def: $vgpr5
.LBB4_711:                              ;   in Loop: Header=BB4_357 Depth=4
	s_and_not1_saveexec_b32 s13, s63
	s_cbranch_execz .LBB4_717
; %bb.712:                              ;   in Loop: Header=BB4_357 Depth=4
	s_mov_b32 s63, exec_lo
                                        ; implicit-def: $vgpr21
	v_cmpx_ne_u64_e32 0, v[2:3]
	s_xor_b32 s63, exec_lo, s63
; %bb.713:                              ;   in Loop: Header=BB4_357 Depth=4
	v_or_b32_e32 v21, 0x7f, v5
                                        ; implicit-def: $vgpr4
; %bb.714:                              ;   in Loop: Header=BB4_357 Depth=4
	s_and_not1_saveexec_b32 s63, s63
; %bb.715:                              ;   in Loop: Header=BB4_357 Depth=4
	v_cmp_lt_i32_e32 vcc_lo, -1, v4
	v_cndmask_b32_e32 v21, 0xfc, v113, vcc_lo
; %bb.716:                              ;   in Loop: Header=BB4_357 Depth=4
	s_or_b32 exec_lo, exec_lo, s63
.LBB4_717:                              ;   in Loop: Header=BB4_357 Depth=4
	s_delay_alu instid0(SALU_CYCLE_1) | instskip(SKIP_3) | instid1(VALU_DEP_2)
	s_or_b32 exec_lo, exec_lo, s13
	v_lshrrev_b16 v2, 8, v22
	v_dual_mov_b32 v4, 0 :: v_dual_mov_b32 v5, 0
	s_mov_b32 s13, exec_lo
	v_cmpx_ne_u16_e32 0, v2
	s_cbranch_execz .LBB4_727
; %bb.718:                              ;   in Loop: Header=BB4_357 Depth=4
	v_bfrev_b32_e32 v5, 1
	s_mov_b32 s63, exec_lo
	v_cmpx_ne_u16_e32 0x80, v2
	s_cbranch_execz .LBB4_726
; %bb.719:                              ;   in Loop: Header=BB4_357 Depth=4
	v_and_b32_e32 v17, 0xffff, v2
	s_delay_alu instid0(VALU_DEP_1) | instskip(SKIP_1) | instid1(VALU_DEP_2)
	v_and_b32_e32 v5, 0x7c, v17
	v_and_b32_e32 v16, 3, v17
	v_cmp_ne_u32_e32 vcc_lo, 0x7c, v5
                                        ; implicit-def: $vgpr5
	s_and_saveexec_b32 s72, vcc_lo
	s_delay_alu instid0(SALU_CYCLE_1)
	s_xor_b32 s72, exec_lo, s72
	s_cbranch_execz .LBB4_723
; %bb.720:                              ;   in Loop: Header=BB4_357 Depth=4
	v_bfe_u32 v5, v17, 2, 5
	s_mov_b32 s73, exec_lo
	s_delay_alu instid0(VALU_DEP_1)
	v_cmpx_eq_u32_e32 0, v5
; %bb.721:                              ;   in Loop: Header=BB4_357 Depth=4
	v_clz_i32_u32_e32 v5, v16
	s_delay_alu instid0(VALU_DEP_1) | instskip(NEXT) | instid1(VALU_DEP_1)
	v_min_u32_e32 v5, 32, v5
	v_subrev_nc_u32_e32 v16, 29, v5
	s_delay_alu instid0(VALU_DEP_1) | instskip(NEXT) | instid1(VALU_DEP_1)
	v_lshlrev_b64_e32 v[16:17], v16, v[2:3]
	v_dual_sub_nc_u32 v5, 30, v5 :: v_dual_bitop2_b32 v16, 3, v16 bitop3:0x40
; %bb.722:                              ;   in Loop: Header=BB4_357 Depth=4
	s_or_b32 exec_lo, exec_lo, s73
	v_lshlrev_b32_e32 v2, 16, v22
	s_delay_alu instid0(VALU_DEP_1) | instskip(NEXT) | instid1(VALU_DEP_1)
	v_and_b32_e32 v2, 0x80000000, v2
	v_lshl_add_u32 v2, v5, 23, v2
	s_delay_alu instid0(VALU_DEP_1) | instskip(NEXT) | instid1(VALU_DEP_1)
	v_lshl_or_b32 v2, v16, 21, v2
                                        ; implicit-def: $vgpr16
	v_add_nc_u32_e32 v5, 0x38000000, v2
.LBB4_723:                              ;   in Loop: Header=BB4_357 Depth=4
	s_and_not1_saveexec_b32 s72, s72
; %bb.724:                              ;   in Loop: Header=BB4_357 Depth=4
	v_cmp_lt_i16_e32 vcc_lo, -1, v22
	v_cndmask_b32_e32 v2, 0xff800000, v112, vcc_lo
	v_cmp_eq_u32_e32 vcc_lo, 0, v16
	s_delay_alu instid0(VALU_DEP_2)
	v_cndmask_b32_e32 v5, 0x7f800001, v2, vcc_lo
; %bb.725:                              ;   in Loop: Header=BB4_357 Depth=4
	s_or_b32 exec_lo, exec_lo, s72
.LBB4_726:                              ;   in Loop: Header=BB4_357 Depth=4
	s_delay_alu instid0(SALU_CYCLE_1)
	s_or_b32 exec_lo, exec_lo, s63
.LBB4_727:                              ;   in Loop: Header=BB4_357 Depth=4
	s_delay_alu instid0(SALU_CYCLE_1) | instskip(SKIP_2) | instid1(VALU_DEP_1)
	s_or_b32 exec_lo, exec_lo, s13
	v_lshrrev_b16 v2, 8, v18
	s_mov_b32 s13, exec_lo
	v_cmpx_ne_u16_e32 0, v2
	s_cbranch_execz .LBB4_737
; %bb.728:                              ;   in Loop: Header=BB4_357 Depth=4
	v_bfrev_b32_e32 v4, 1
	s_mov_b32 s63, exec_lo
	v_cmpx_ne_u16_e32 0x80, v2
	s_cbranch_execz .LBB4_736
; %bb.729:                              ;   in Loop: Header=BB4_357 Depth=4
	v_and_b32_e32 v17, 0xffff, v2
	s_delay_alu instid0(VALU_DEP_1) | instskip(SKIP_1) | instid1(VALU_DEP_2)
	v_and_b32_e32 v4, 0x7c, v17
	v_and_b32_e32 v16, 3, v17
	v_cmp_ne_u32_e32 vcc_lo, 0x7c, v4
                                        ; implicit-def: $vgpr4
	s_and_saveexec_b32 s72, vcc_lo
	s_delay_alu instid0(SALU_CYCLE_1)
	s_xor_b32 s72, exec_lo, s72
	s_cbranch_execz .LBB4_733
; %bb.730:                              ;   in Loop: Header=BB4_357 Depth=4
	v_bfe_u32 v4, v17, 2, 5
	s_mov_b32 s73, exec_lo
	s_delay_alu instid0(VALU_DEP_1)
	v_cmpx_eq_u32_e32 0, v4
; %bb.731:                              ;   in Loop: Header=BB4_357 Depth=4
	v_clz_i32_u32_e32 v4, v16
	s_delay_alu instid0(VALU_DEP_1) | instskip(NEXT) | instid1(VALU_DEP_1)
	v_min_u32_e32 v4, 32, v4
	v_subrev_nc_u32_e32 v16, 29, v4
	v_sub_nc_u32_e32 v4, 30, v4
	s_delay_alu instid0(VALU_DEP_2) | instskip(NEXT) | instid1(VALU_DEP_1)
	v_lshlrev_b64_e32 v[16:17], v16, v[2:3]
	v_and_b32_e32 v16, 3, v16
; %bb.732:                              ;   in Loop: Header=BB4_357 Depth=4
	s_or_b32 exec_lo, exec_lo, s73
	v_lshlrev_b32_e32 v2, 16, v18
	s_delay_alu instid0(VALU_DEP_1) | instskip(NEXT) | instid1(VALU_DEP_1)
	v_and_b32_e32 v2, 0x80000000, v2
	v_lshl_add_u32 v2, v4, 23, v2
	s_delay_alu instid0(VALU_DEP_1) | instskip(NEXT) | instid1(VALU_DEP_1)
	v_lshl_or_b32 v2, v16, 21, v2
                                        ; implicit-def: $vgpr16
	v_add_nc_u32_e32 v4, 0x38000000, v2
.LBB4_733:                              ;   in Loop: Header=BB4_357 Depth=4
	s_and_not1_saveexec_b32 s72, s72
; %bb.734:                              ;   in Loop: Header=BB4_357 Depth=4
	v_cmp_lt_i16_e32 vcc_lo, -1, v18
	v_cndmask_b32_e32 v2, 0xff800000, v112, vcc_lo
	v_cmp_eq_u32_e32 vcc_lo, 0, v16
	s_delay_alu instid0(VALU_DEP_2)
	v_cndmask_b32_e32 v4, 0x7f800001, v2, vcc_lo
; %bb.735:                              ;   in Loop: Header=BB4_357 Depth=4
	s_or_b32 exec_lo, exec_lo, s72
.LBB4_736:                              ;   in Loop: Header=BB4_357 Depth=4
	s_delay_alu instid0(SALU_CYCLE_1)
	s_or_b32 exec_lo, exec_lo, s63
.LBB4_737:                              ;   in Loop: Header=BB4_357 Depth=4
	s_delay_alu instid0(SALU_CYCLE_1) | instskip(NEXT) | instid1(VALU_DEP_1)
	s_or_b32 exec_lo, exec_lo, s13
	v_dual_mul_f32 v4, v5, v4 :: v_dual_mov_b32 v17, v3
                                        ; implicit-def: $vgpr25
	s_mov_b32 s13, exec_lo
	s_delay_alu instid0(VALU_DEP_1) | instskip(SKIP_2) | instid1(VALU_DEP_3)
	v_and_b32_e32 v16, 0x7f800000, v4
	v_and_b32_e32 v2, 0x7fffff, v4
	v_lshrrev_b32_e32 v5, 24, v4
	v_cmpx_ne_u64_e32 0x7f800000, v[16:17]
	s_xor_b32 s63, exec_lo, s13
	s_cbranch_execz .LBB4_751
; %bb.738:                              ;   in Loop: Header=BB4_357 Depth=4
	v_and_b32_e32 v16, 0x7fffffff, v4
	v_mov_b32_e32 v17, v3
	v_and_b32_e32 v84, 0x80, v5
                                        ; implicit-def: $vgpr25
	s_mov_b32 s13, exec_lo
	s_delay_alu instid0(VALU_DEP_2)
	v_cmpx_gt_u64_e32 0x47600001, v[16:17]
	s_xor_b32 s72, exec_lo, s13
	s_cbranch_execz .LBB4_748
; %bb.739:                              ;   in Loop: Header=BB4_357 Depth=4
	v_mov_b32_e32 v25, 0
	s_mov_b32 s73, exec_lo
	v_cmpx_ne_u32_e32 0, v4
	s_cbranch_execz .LBB4_747
; %bb.740:                              ;   in Loop: Header=BB4_357 Depth=4
	v_bfe_u32 v25, v4, 23, 8
	v_or_b32_e32 v16, 0x800000, v2
	s_delay_alu instid0(VALU_DEP_2) | instskip(SKIP_1) | instid1(VALU_DEP_2)
	v_sub_nc_u32_e32 v4, 0x71, v25
	v_cmp_gt_u32_e32 vcc_lo, 0x72, v25
	v_cndmask_b32_e32 v4, 0, v4, vcc_lo
	v_cmp_eq_u32_e32 vcc_lo, 0, v25
	s_delay_alu instid0(VALU_DEP_2) | instskip(NEXT) | instid1(VALU_DEP_1)
	v_cndmask_b32_e64 v85, v4, 0x70, vcc_lo
	v_dual_cndmask_b32 v2, v16, v2, vcc_lo :: v_dual_add_nc_u32 v4, 21, v85
	v_add_nc_u32_e32 v17, 20, v85
	s_delay_alu instid0(VALU_DEP_2) | instskip(NEXT) | instid1(VALU_DEP_2)
	v_lshlrev_b64_e64 v[4:5], v4, -1
	v_lshlrev_b64_e64 v[16:17], v17, 1
	s_delay_alu instid0(VALU_DEP_2) | instskip(NEXT) | instid1(VALU_DEP_3)
	v_bfi_b32 v101, v5, 0, 0
	v_bfi_b32 v100, v4, 0, v2
	v_lshrrev_b64 v[4:5], v85, v[2:3]
	s_delay_alu instid0(VALU_DEP_2) | instskip(NEXT) | instid1(VALU_DEP_2)
	v_cmp_eq_u64_e64 s13, v[100:101], v[16:17]
	v_mov_b64_e32 v[16:17], v[4:5]
	s_and_saveexec_b32 s74, s13
; %bb.741:                              ;   in Loop: Header=BB4_357 Depth=4
	v_bfe_u32 v2, v4, 21, 1
	s_delay_alu instid0(VALU_DEP_1) | instskip(NEXT) | instid1(VALU_DEP_1)
	v_add_nc_u64_e32 v[16:17], v[4:5], v[2:3]
	v_add_nc_u64_e32 v[16:17], -1, v[16:17]
; %bb.742:                              ;   in Loop: Header=BB4_357 Depth=4
	s_or_b32 exec_lo, exec_lo, s74
	v_add_nc_u32_e32 v2, 0xffffff81, v25
	v_lshrrev_b32_e32 v5, 23, v4
	s_mov_b32 s13, exec_lo
	s_delay_alu instid0(VALU_DEP_2) | instskip(NEXT) | instid1(VALU_DEP_1)
	v_cndmask_b32_e64 v2, v2, 0xffffff82, vcc_lo
	v_add3_u32 v17, v85, v2, v5
	v_and_b32_e32 v2, 0x1fffff, v16
                                        ; implicit-def: $vgpr16
	s_delay_alu instid0(VALU_DEP_1) | instskip(NEXT) | instid1(VALU_DEP_1)
	v_dual_add_nc_u32 v25, 14, v17 :: v_dual_add_nc_u32 v2, v2, v4
                                        ; implicit-def: $vgpr4_vgpr5
	v_cmpx_ne_u32_e32 0, v25
	s_xor_b32 s13, exec_lo, s13
; %bb.743:                              ;   in Loop: Header=BB4_357 Depth=4
	s_delay_alu instid0(VALU_DEP_2) | instskip(SKIP_1) | instid1(VALU_DEP_1)
	v_cmp_lt_u64_e32 vcc_lo, 0xffffff, v[2:3]
	v_add_nc_u32_e32 v4, 15, v17
	v_cndmask_b32_e32 v16, v25, v4, vcc_lo
	v_cndmask_b32_e64 v4, 0, 1, vcc_lo
	s_delay_alu instid0(VALU_DEP_1)
	v_lshrrev_b64 v[4:5], v4, v[2:3]
; %bb.744:                              ;   in Loop: Header=BB4_357 Depth=4
	s_and_not1_saveexec_b32 s13, s13
; %bb.745:                              ;   in Loop: Header=BB4_357 Depth=4
	v_mov_b64_e32 v[4:5], v[2:3]
	v_bfe_u32 v16, v2, 23, 1
; %bb.746:                              ;   in Loop: Header=BB4_357 Depth=4
	s_or_b32 exec_lo, exec_lo, s13
	s_delay_alu instid0(VALU_DEP_2) | instskip(NEXT) | instid1(VALU_DEP_2)
	v_lshrrev_b64 v[4:5], 21, v[4:5]
	v_cmp_gt_i32_e32 vcc_lo, 32, v16
	v_min_i32_e32 v2, 31, v16
	v_cmp_eq_u32_e64 s13, 0, v16
	s_delay_alu instid0(VALU_DEP_2) | instskip(SKIP_1) | instid1(VALU_DEP_2)
	v_dual_cndmask_b32 v5, 0, v5 :: v_dual_lshlrev_b32 v2, 2, v2
	v_cndmask_b32_e32 v4, 3, v4, vcc_lo
	v_and_b32_e32 v2, 0xfc, v2
	s_delay_alu instid0(VALU_DEP_2) | instskip(NEXT) | instid1(VALU_DEP_2)
	v_cmp_eq_u64_e32 vcc_lo, 0, v[4:5]
	v_and_or_b32 v2, v4, 3, v2
	s_and_b32 s13, s13, vcc_lo
	s_delay_alu instid0(VALU_DEP_1) | instid1(SALU_CYCLE_1)
	v_cndmask_b32_e64 v2, v2, 0, s13
	s_delay_alu instid0(VALU_DEP_1)
	v_or_b32_e32 v25, v2, v84
.LBB4_747:                              ;   in Loop: Header=BB4_357 Depth=4
	s_or_b32 exec_lo, exec_lo, s73
                                        ; implicit-def: $vgpr84
.LBB4_748:                              ;   in Loop: Header=BB4_357 Depth=4
	s_and_not1_saveexec_b32 s13, s72
; %bb.749:                              ;   in Loop: Header=BB4_357 Depth=4
	v_or_b32_e32 v25, 0x7b, v84
; %bb.750:                              ;   in Loop: Header=BB4_357 Depth=4
	s_or_b32 exec_lo, exec_lo, s13
                                        ; implicit-def: $vgpr4
                                        ; implicit-def: $vgpr5
.LBB4_751:                              ;   in Loop: Header=BB4_357 Depth=4
	s_and_not1_saveexec_b32 s13, s63
	s_cbranch_execz .LBB4_757
; %bb.752:                              ;   in Loop: Header=BB4_357 Depth=4
	s_mov_b32 s63, exec_lo
                                        ; implicit-def: $vgpr25
	v_cmpx_ne_u64_e32 0, v[2:3]
	s_xor_b32 s63, exec_lo, s63
; %bb.753:                              ;   in Loop: Header=BB4_357 Depth=4
	v_or_b32_e32 v25, 0x7f, v5
                                        ; implicit-def: $vgpr4
; %bb.754:                              ;   in Loop: Header=BB4_357 Depth=4
	s_and_not1_saveexec_b32 s63, s63
; %bb.755:                              ;   in Loop: Header=BB4_357 Depth=4
	v_cmp_lt_i32_e32 vcc_lo, -1, v4
	v_cndmask_b32_e32 v25, 0xfc, v113, vcc_lo
; %bb.756:                              ;   in Loop: Header=BB4_357 Depth=4
	s_or_b32 exec_lo, exec_lo, s63
.LBB4_757:                              ;   in Loop: Header=BB4_357 Depth=4
	s_delay_alu instid0(SALU_CYCLE_1) | instskip(SKIP_3) | instid1(VALU_DEP_2)
	s_or_b32 exec_lo, exec_lo, s13
	v_dual_lshrrev_b32 v2, 16, v22 :: v_dual_mov_b32 v4, 0
	v_mov_b32_e32 v5, 0
	s_mov_b32 s13, exec_lo
	v_and_b32_e32 v16, 0xff, v2
	s_delay_alu instid0(VALU_DEP_1)
	v_cmpx_ne_u16_e32 0, v16
	s_cbranch_execz .LBB4_767
; %bb.758:                              ;   in Loop: Header=BB4_357 Depth=4
	v_bfrev_b32_e32 v5, 1
	s_mov_b32 s63, exec_lo
	v_cmpx_ne_u16_e32 0x80, v16
	s_cbranch_execz .LBB4_766
; %bb.759:                              ;   in Loop: Header=BB4_357 Depth=4
	v_and_b32_e32 v5, 0x7c0000, v22
	v_bfe_u32 v16, v22, 16, 2
	s_delay_alu instid0(VALU_DEP_2) | instskip(SKIP_1) | instid1(SALU_CYCLE_1)
	v_cmp_ne_u32_e32 vcc_lo, 0x7c0000, v5
                                        ; implicit-def: $vgpr5
	s_and_saveexec_b32 s72, vcc_lo
	s_xor_b32 s72, exec_lo, s72
	s_cbranch_execz .LBB4_763
; %bb.760:                              ;   in Loop: Header=BB4_357 Depth=4
	v_bfe_u32 v5, v22, 18, 5
	s_mov_b32 s73, exec_lo
	s_delay_alu instid0(VALU_DEP_1)
	v_cmpx_eq_u32_e32 0, v5
; %bb.761:                              ;   in Loop: Header=BB4_357 Depth=4
	v_clz_i32_u32_e32 v5, v16
	s_delay_alu instid0(VALU_DEP_1) | instskip(NEXT) | instid1(VALU_DEP_1)
	v_min_u32_e32 v5, 32, v5
	v_subrev_nc_u32_e32 v16, 29, v5
	s_delay_alu instid0(VALU_DEP_1) | instskip(NEXT) | instid1(VALU_DEP_1)
	v_lshlrev_b64_e32 v[16:17], v16, v[2:3]
	v_dual_sub_nc_u32 v5, 30, v5 :: v_dual_bitop2_b32 v16, 3, v16 bitop3:0x40
; %bb.762:                              ;   in Loop: Header=BB4_357 Depth=4
	s_or_b32 exec_lo, exec_lo, s73
	v_lshlrev_b32_e32 v2, 24, v2
	s_delay_alu instid0(VALU_DEP_1) | instskip(NEXT) | instid1(VALU_DEP_1)
	v_and_b32_e32 v2, 0x80000000, v2
	v_lshl_add_u32 v2, v5, 23, v2
	s_delay_alu instid0(VALU_DEP_1) | instskip(NEXT) | instid1(VALU_DEP_1)
	v_lshl_or_b32 v2, v16, 21, v2
                                        ; implicit-def: $vgpr16
	v_add_nc_u32_e32 v5, 0x38000000, v2
                                        ; implicit-def: $vgpr2
.LBB4_763:                              ;   in Loop: Header=BB4_357 Depth=4
	s_and_not1_saveexec_b32 s72, s72
; %bb.764:                              ;   in Loop: Header=BB4_357 Depth=4
	v_bfe_i32 v2, v2, 0, 8
	s_delay_alu instid0(VALU_DEP_1) | instskip(SKIP_2) | instid1(VALU_DEP_2)
	v_cmp_lt_i16_e32 vcc_lo, -1, v2
	v_cndmask_b32_e32 v2, 0xff800000, v112, vcc_lo
	v_cmp_eq_u32_e32 vcc_lo, 0, v16
	v_cndmask_b32_e32 v5, 0x7f800001, v2, vcc_lo
; %bb.765:                              ;   in Loop: Header=BB4_357 Depth=4
	s_or_b32 exec_lo, exec_lo, s72
.LBB4_766:                              ;   in Loop: Header=BB4_357 Depth=4
	s_delay_alu instid0(SALU_CYCLE_1)
	s_or_b32 exec_lo, exec_lo, s63
.LBB4_767:                              ;   in Loop: Header=BB4_357 Depth=4
	s_delay_alu instid0(SALU_CYCLE_1) | instskip(SKIP_2) | instid1(VALU_DEP_1)
	s_or_b32 exec_lo, exec_lo, s13
	v_lshrrev_b32_e32 v2, 16, v18
	s_mov_b32 s13, exec_lo
	v_and_b32_e32 v16, 0xff, v2
	s_delay_alu instid0(VALU_DEP_1)
	v_cmpx_ne_u16_e32 0, v16
	s_cbranch_execz .LBB4_777
; %bb.768:                              ;   in Loop: Header=BB4_357 Depth=4
	v_bfrev_b32_e32 v4, 1
	s_mov_b32 s63, exec_lo
	v_cmpx_ne_u16_e32 0x80, v16
	s_cbranch_execz .LBB4_776
; %bb.769:                              ;   in Loop: Header=BB4_357 Depth=4
	v_and_b32_e32 v4, 0x7c0000, v18
	v_bfe_u32 v16, v18, 16, 2
	s_delay_alu instid0(VALU_DEP_2) | instskip(SKIP_1) | instid1(SALU_CYCLE_1)
	v_cmp_ne_u32_e32 vcc_lo, 0x7c0000, v4
                                        ; implicit-def: $vgpr4
	s_and_saveexec_b32 s72, vcc_lo
	s_xor_b32 s72, exec_lo, s72
	s_cbranch_execz .LBB4_773
; %bb.770:                              ;   in Loop: Header=BB4_357 Depth=4
	v_bfe_u32 v4, v18, 18, 5
	s_mov_b32 s73, exec_lo
	s_delay_alu instid0(VALU_DEP_1)
	v_cmpx_eq_u32_e32 0, v4
; %bb.771:                              ;   in Loop: Header=BB4_357 Depth=4
	v_clz_i32_u32_e32 v4, v16
	s_delay_alu instid0(VALU_DEP_1) | instskip(NEXT) | instid1(VALU_DEP_1)
	v_min_u32_e32 v4, 32, v4
	v_subrev_nc_u32_e32 v16, 29, v4
	v_sub_nc_u32_e32 v4, 30, v4
	s_delay_alu instid0(VALU_DEP_2) | instskip(NEXT) | instid1(VALU_DEP_1)
	v_lshlrev_b64_e32 v[16:17], v16, v[2:3]
	v_and_b32_e32 v16, 3, v16
; %bb.772:                              ;   in Loop: Header=BB4_357 Depth=4
	s_or_b32 exec_lo, exec_lo, s73
	v_lshlrev_b32_e32 v2, 24, v2
	s_delay_alu instid0(VALU_DEP_1) | instskip(NEXT) | instid1(VALU_DEP_1)
	v_and_b32_e32 v2, 0x80000000, v2
	v_lshl_add_u32 v2, v4, 23, v2
	s_delay_alu instid0(VALU_DEP_1) | instskip(NEXT) | instid1(VALU_DEP_1)
	v_lshl_or_b32 v2, v16, 21, v2
                                        ; implicit-def: $vgpr16
	v_add_nc_u32_e32 v4, 0x38000000, v2
                                        ; implicit-def: $vgpr2
.LBB4_773:                              ;   in Loop: Header=BB4_357 Depth=4
	s_and_not1_saveexec_b32 s72, s72
; %bb.774:                              ;   in Loop: Header=BB4_357 Depth=4
	v_bfe_i32 v2, v2, 0, 8
	s_delay_alu instid0(VALU_DEP_1) | instskip(SKIP_2) | instid1(VALU_DEP_2)
	v_cmp_lt_i16_e32 vcc_lo, -1, v2
	v_cndmask_b32_e32 v2, 0xff800000, v112, vcc_lo
	v_cmp_eq_u32_e32 vcc_lo, 0, v16
	v_cndmask_b32_e32 v4, 0x7f800001, v2, vcc_lo
; %bb.775:                              ;   in Loop: Header=BB4_357 Depth=4
	s_or_b32 exec_lo, exec_lo, s72
.LBB4_776:                              ;   in Loop: Header=BB4_357 Depth=4
	s_delay_alu instid0(SALU_CYCLE_1)
	s_or_b32 exec_lo, exec_lo, s63
.LBB4_777:                              ;   in Loop: Header=BB4_357 Depth=4
	s_delay_alu instid0(SALU_CYCLE_1) | instskip(NEXT) | instid1(VALU_DEP_1)
	s_or_b32 exec_lo, exec_lo, s13
	v_dual_mul_f32 v4, v5, v4 :: v_dual_mov_b32 v17, v3
                                        ; implicit-def: $vgpr84
	s_mov_b32 s13, exec_lo
	s_delay_alu instid0(VALU_DEP_1) | instskip(SKIP_2) | instid1(VALU_DEP_3)
	v_and_b32_e32 v16, 0x7f800000, v4
	v_and_b32_e32 v2, 0x7fffff, v4
	v_lshrrev_b32_e32 v5, 24, v4
	v_cmpx_ne_u64_e32 0x7f800000, v[16:17]
	s_xor_b32 s63, exec_lo, s13
	s_cbranch_execz .LBB4_791
; %bb.778:                              ;   in Loop: Header=BB4_357 Depth=4
	v_and_b32_e32 v16, 0x7fffffff, v4
	v_mov_b32_e32 v17, v3
	v_and_b32_e32 v85, 0x80, v5
                                        ; implicit-def: $vgpr84
	s_mov_b32 s13, exec_lo
	s_delay_alu instid0(VALU_DEP_2)
	v_cmpx_gt_u64_e32 0x47600001, v[16:17]
	s_xor_b32 s72, exec_lo, s13
	s_cbranch_execz .LBB4_788
; %bb.779:                              ;   in Loop: Header=BB4_357 Depth=4
	v_mov_b32_e32 v84, 0
	s_mov_b32 s73, exec_lo
	v_cmpx_ne_u32_e32 0, v4
	s_cbranch_execz .LBB4_787
; %bb.780:                              ;   in Loop: Header=BB4_357 Depth=4
	v_bfe_u32 v84, v4, 23, 8
	v_or_b32_e32 v16, 0x800000, v2
	s_delay_alu instid0(VALU_DEP_2) | instskip(SKIP_1) | instid1(VALU_DEP_2)
	v_sub_nc_u32_e32 v4, 0x71, v84
	v_cmp_gt_u32_e32 vcc_lo, 0x72, v84
	v_cndmask_b32_e32 v4, 0, v4, vcc_lo
	v_cmp_eq_u32_e32 vcc_lo, 0, v84
	v_cndmask_b32_e32 v2, v16, v2, vcc_lo
	s_delay_alu instid0(VALU_DEP_3) | instskip(NEXT) | instid1(VALU_DEP_1)
	v_cndmask_b32_e64 v100, v4, 0x70, vcc_lo
	v_dual_add_nc_u32 v4, 21, v100 :: v_dual_add_nc_u32 v17, 20, v100
	s_delay_alu instid0(VALU_DEP_1) | instskip(NEXT) | instid1(VALU_DEP_2)
	v_lshlrev_b64_e64 v[4:5], v4, -1
	v_lshlrev_b64_e64 v[16:17], v17, 1
	s_delay_alu instid0(VALU_DEP_2) | instskip(NEXT) | instid1(VALU_DEP_3)
	v_bfi_b32 v103, v5, 0, 0
	v_bfi_b32 v102, v4, 0, v2
	v_lshrrev_b64 v[4:5], v100, v[2:3]
	s_delay_alu instid0(VALU_DEP_2) | instskip(NEXT) | instid1(VALU_DEP_2)
	v_cmp_eq_u64_e64 s13, v[102:103], v[16:17]
	v_mov_b64_e32 v[16:17], v[4:5]
	s_and_saveexec_b32 s74, s13
; %bb.781:                              ;   in Loop: Header=BB4_357 Depth=4
	v_bfe_u32 v2, v4, 21, 1
	s_delay_alu instid0(VALU_DEP_1) | instskip(NEXT) | instid1(VALU_DEP_1)
	v_add_nc_u64_e32 v[16:17], v[4:5], v[2:3]
	v_add_nc_u64_e32 v[16:17], -1, v[16:17]
; %bb.782:                              ;   in Loop: Header=BB4_357 Depth=4
	s_or_b32 exec_lo, exec_lo, s74
	v_add_nc_u32_e32 v2, 0xffffff81, v84
	v_lshrrev_b32_e32 v5, 23, v4
	s_mov_b32 s13, exec_lo
	s_delay_alu instid0(VALU_DEP_2) | instskip(NEXT) | instid1(VALU_DEP_1)
	v_cndmask_b32_e64 v2, v2, 0xffffff82, vcc_lo
	v_add3_u32 v17, v100, v2, v5
	v_and_b32_e32 v2, 0x1fffff, v16
                                        ; implicit-def: $vgpr16
	s_delay_alu instid0(VALU_DEP_1) | instskip(NEXT) | instid1(VALU_DEP_1)
	v_dual_add_nc_u32 v84, 14, v17 :: v_dual_add_nc_u32 v2, v2, v4
                                        ; implicit-def: $vgpr4_vgpr5
	v_cmpx_ne_u32_e32 0, v84
	s_xor_b32 s13, exec_lo, s13
; %bb.783:                              ;   in Loop: Header=BB4_357 Depth=4
	s_delay_alu instid0(VALU_DEP_2) | instskip(SKIP_1) | instid1(VALU_DEP_1)
	v_cmp_lt_u64_e32 vcc_lo, 0xffffff, v[2:3]
	v_add_nc_u32_e32 v4, 15, v17
	v_cndmask_b32_e32 v16, v84, v4, vcc_lo
	v_cndmask_b32_e64 v4, 0, 1, vcc_lo
	s_delay_alu instid0(VALU_DEP_1)
	v_lshrrev_b64 v[4:5], v4, v[2:3]
; %bb.784:                              ;   in Loop: Header=BB4_357 Depth=4
	s_and_not1_saveexec_b32 s13, s13
; %bb.785:                              ;   in Loop: Header=BB4_357 Depth=4
	v_mov_b64_e32 v[4:5], v[2:3]
	v_bfe_u32 v16, v2, 23, 1
; %bb.786:                              ;   in Loop: Header=BB4_357 Depth=4
	s_or_b32 exec_lo, exec_lo, s13
	s_delay_alu instid0(VALU_DEP_2) | instskip(NEXT) | instid1(VALU_DEP_2)
	v_lshrrev_b64 v[4:5], 21, v[4:5]
	v_cmp_gt_i32_e32 vcc_lo, 32, v16
	v_min_i32_e32 v2, 31, v16
	v_cmp_eq_u32_e64 s13, 0, v16
	s_delay_alu instid0(VALU_DEP_2) | instskip(SKIP_1) | instid1(VALU_DEP_2)
	v_dual_cndmask_b32 v5, 0, v5 :: v_dual_lshlrev_b32 v2, 2, v2
	v_cndmask_b32_e32 v4, 3, v4, vcc_lo
	v_and_b32_e32 v2, 0xfc, v2
	s_delay_alu instid0(VALU_DEP_2) | instskip(NEXT) | instid1(VALU_DEP_2)
	v_cmp_eq_u64_e32 vcc_lo, 0, v[4:5]
	v_and_or_b32 v2, v4, 3, v2
	s_and_b32 s13, s13, vcc_lo
	s_delay_alu instid0(VALU_DEP_1) | instid1(SALU_CYCLE_1)
	v_cndmask_b32_e64 v2, v2, 0, s13
	s_delay_alu instid0(VALU_DEP_1)
	v_or_b32_e32 v84, v2, v85
.LBB4_787:                              ;   in Loop: Header=BB4_357 Depth=4
	s_or_b32 exec_lo, exec_lo, s73
                                        ; implicit-def: $vgpr85
.LBB4_788:                              ;   in Loop: Header=BB4_357 Depth=4
	s_and_not1_saveexec_b32 s13, s72
; %bb.789:                              ;   in Loop: Header=BB4_357 Depth=4
	v_or_b32_e32 v84, 0x7b, v85
; %bb.790:                              ;   in Loop: Header=BB4_357 Depth=4
	s_or_b32 exec_lo, exec_lo, s13
                                        ; implicit-def: $vgpr4
                                        ; implicit-def: $vgpr5
.LBB4_791:                              ;   in Loop: Header=BB4_357 Depth=4
	s_and_not1_saveexec_b32 s13, s63
	s_cbranch_execz .LBB4_797
; %bb.792:                              ;   in Loop: Header=BB4_357 Depth=4
	s_mov_b32 s63, exec_lo
                                        ; implicit-def: $vgpr84
	v_cmpx_ne_u64_e32 0, v[2:3]
	s_xor_b32 s63, exec_lo, s63
; %bb.793:                              ;   in Loop: Header=BB4_357 Depth=4
	v_or_b32_e32 v84, 0x7f, v5
                                        ; implicit-def: $vgpr4
; %bb.794:                              ;   in Loop: Header=BB4_357 Depth=4
	s_and_not1_saveexec_b32 s63, s63
; %bb.795:                              ;   in Loop: Header=BB4_357 Depth=4
	v_cmp_lt_i32_e32 vcc_lo, -1, v4
	v_cndmask_b32_e32 v84, 0xfc, v113, vcc_lo
; %bb.796:                              ;   in Loop: Header=BB4_357 Depth=4
	s_or_b32 exec_lo, exec_lo, s63
.LBB4_797:                              ;   in Loop: Header=BB4_357 Depth=4
	s_delay_alu instid0(SALU_CYCLE_1)
	s_or_b32 exec_lo, exec_lo, s13
	v_dual_mov_b32 v4, 0 :: v_dual_mov_b32 v5, 0
	s_mov_b32 s13, exec_lo
	v_cmpx_lt_u32_e32 0xffffff, v22
	s_cbranch_execz .LBB4_807
; %bb.798:                              ;   in Loop: Header=BB4_357 Depth=4
	v_lshrrev_b32_e32 v2, 24, v22
	v_bfrev_b32_e32 v5, 1
	s_mov_b32 s63, exec_lo
	s_delay_alu instid0(VALU_DEP_2)
	v_cmpx_ne_u32_e32 0x80, v2
	s_cbranch_execz .LBB4_806
; %bb.799:                              ;   in Loop: Header=BB4_357 Depth=4
	v_and_b32_e32 v5, 0x7c000000, v22
	v_bfe_u32 v16, v22, 24, 2
	s_delay_alu instid0(VALU_DEP_2) | instskip(SKIP_1) | instid1(SALU_CYCLE_1)
	v_cmp_ne_u32_e32 vcc_lo, 0x7c000000, v5
                                        ; implicit-def: $vgpr5
	s_and_saveexec_b32 s72, vcc_lo
	s_xor_b32 s72, exec_lo, s72
	s_cbranch_execz .LBB4_803
; %bb.800:                              ;   in Loop: Header=BB4_357 Depth=4
	v_bfe_u32 v5, v22, 26, 5
	s_mov_b32 s73, exec_lo
	s_delay_alu instid0(VALU_DEP_1)
	v_cmpx_eq_u32_e32 0, v5
; %bb.801:                              ;   in Loop: Header=BB4_357 Depth=4
	v_clz_i32_u32_e32 v5, v16
	s_delay_alu instid0(VALU_DEP_1) | instskip(NEXT) | instid1(VALU_DEP_1)
	v_min_u32_e32 v5, 32, v5
	v_subrev_nc_u32_e32 v16, 29, v5
	s_delay_alu instid0(VALU_DEP_1) | instskip(NEXT) | instid1(VALU_DEP_1)
	v_lshlrev_b64_e32 v[16:17], v16, v[2:3]
	v_dual_sub_nc_u32 v5, 30, v5 :: v_dual_bitop2_b32 v16, 3, v16 bitop3:0x40
; %bb.802:                              ;   in Loop: Header=BB4_357 Depth=4
	s_or_b32 exec_lo, exec_lo, s73
	v_and_b32_e32 v2, 0x80000000, v22
	s_delay_alu instid0(VALU_DEP_1) | instskip(NEXT) | instid1(VALU_DEP_1)
	v_lshl_add_u32 v2, v5, 23, v2
	v_lshl_or_b32 v2, v16, 21, v2
                                        ; implicit-def: $vgpr16
	s_delay_alu instid0(VALU_DEP_1)
	v_add_nc_u32_e32 v5, 0x38000000, v2
.LBB4_803:                              ;   in Loop: Header=BB4_357 Depth=4
	s_and_not1_saveexec_b32 s72, s72
; %bb.804:                              ;   in Loop: Header=BB4_357 Depth=4
	v_cmp_lt_i32_e32 vcc_lo, -1, v22
	v_cndmask_b32_e32 v2, 0xff800000, v112, vcc_lo
	v_cmp_eq_u32_e32 vcc_lo, 0, v16
	s_delay_alu instid0(VALU_DEP_2)
	v_cndmask_b32_e32 v5, 0x7f800001, v2, vcc_lo
; %bb.805:                              ;   in Loop: Header=BB4_357 Depth=4
	s_or_b32 exec_lo, exec_lo, s72
.LBB4_806:                              ;   in Loop: Header=BB4_357 Depth=4
	s_delay_alu instid0(SALU_CYCLE_1)
	s_or_b32 exec_lo, exec_lo, s63
.LBB4_807:                              ;   in Loop: Header=BB4_357 Depth=4
	s_delay_alu instid0(SALU_CYCLE_1) | instskip(NEXT) | instid1(SALU_CYCLE_1)
	s_or_b32 exec_lo, exec_lo, s13
	s_mov_b32 s13, exec_lo
	v_cmpx_lt_u32_e32 0xffffff, v18
	s_cbranch_execz .LBB4_817
; %bb.808:                              ;   in Loop: Header=BB4_357 Depth=4
	v_lshrrev_b32_e32 v2, 24, v18
	v_bfrev_b32_e32 v4, 1
	s_mov_b32 s63, exec_lo
	s_delay_alu instid0(VALU_DEP_2)
	v_cmpx_ne_u32_e32 0x80, v2
	s_cbranch_execz .LBB4_816
; %bb.809:                              ;   in Loop: Header=BB4_357 Depth=4
	v_and_b32_e32 v4, 0x7c000000, v18
	v_bfe_u32 v16, v18, 24, 2
	s_delay_alu instid0(VALU_DEP_2) | instskip(SKIP_1) | instid1(SALU_CYCLE_1)
	v_cmp_ne_u32_e32 vcc_lo, 0x7c000000, v4
                                        ; implicit-def: $vgpr4
	s_and_saveexec_b32 s72, vcc_lo
	s_xor_b32 s72, exec_lo, s72
	s_cbranch_execz .LBB4_813
; %bb.810:                              ;   in Loop: Header=BB4_357 Depth=4
	v_bfe_u32 v4, v18, 26, 5
	s_mov_b32 s73, exec_lo
	s_delay_alu instid0(VALU_DEP_1)
	v_cmpx_eq_u32_e32 0, v4
; %bb.811:                              ;   in Loop: Header=BB4_357 Depth=4
	v_clz_i32_u32_e32 v4, v16
	s_delay_alu instid0(VALU_DEP_1) | instskip(NEXT) | instid1(VALU_DEP_1)
	v_min_u32_e32 v4, 32, v4
	v_subrev_nc_u32_e32 v16, 29, v4
	v_sub_nc_u32_e32 v4, 30, v4
	s_delay_alu instid0(VALU_DEP_2) | instskip(NEXT) | instid1(VALU_DEP_1)
	v_lshlrev_b64_e32 v[16:17], v16, v[2:3]
	v_and_b32_e32 v16, 3, v16
; %bb.812:                              ;   in Loop: Header=BB4_357 Depth=4
	s_or_b32 exec_lo, exec_lo, s73
	v_and_b32_e32 v2, 0x80000000, v18
	s_delay_alu instid0(VALU_DEP_1) | instskip(NEXT) | instid1(VALU_DEP_1)
	v_lshl_add_u32 v2, v4, 23, v2
	v_lshl_or_b32 v2, v16, 21, v2
                                        ; implicit-def: $vgpr16
	s_delay_alu instid0(VALU_DEP_1)
	v_add_nc_u32_e32 v4, 0x38000000, v2
.LBB4_813:                              ;   in Loop: Header=BB4_357 Depth=4
	s_and_not1_saveexec_b32 s72, s72
; %bb.814:                              ;   in Loop: Header=BB4_357 Depth=4
	v_cmp_lt_i32_e32 vcc_lo, -1, v18
	v_cndmask_b32_e32 v2, 0xff800000, v112, vcc_lo
	v_cmp_eq_u32_e32 vcc_lo, 0, v16
	s_delay_alu instid0(VALU_DEP_2)
	v_cndmask_b32_e32 v4, 0x7f800001, v2, vcc_lo
; %bb.815:                              ;   in Loop: Header=BB4_357 Depth=4
	s_or_b32 exec_lo, exec_lo, s72
.LBB4_816:                              ;   in Loop: Header=BB4_357 Depth=4
	s_delay_alu instid0(SALU_CYCLE_1)
	s_or_b32 exec_lo, exec_lo, s63
.LBB4_817:                              ;   in Loop: Header=BB4_357 Depth=4
	s_delay_alu instid0(SALU_CYCLE_1) | instskip(NEXT) | instid1(VALU_DEP_1)
	s_or_b32 exec_lo, exec_lo, s13
	v_dual_mul_f32 v4, v5, v4 :: v_dual_mov_b32 v17, v3
                                        ; implicit-def: $vgpr85
	s_mov_b32 s13, exec_lo
	s_delay_alu instid0(VALU_DEP_1) | instskip(SKIP_2) | instid1(VALU_DEP_3)
	v_and_b32_e32 v16, 0x7f800000, v4
	v_and_b32_e32 v2, 0x7fffff, v4
	v_lshrrev_b32_e32 v5, 24, v4
	v_cmpx_ne_u64_e32 0x7f800000, v[16:17]
	s_xor_b32 s63, exec_lo, s13
	s_cbranch_execz .LBB4_831
; %bb.818:                              ;   in Loop: Header=BB4_357 Depth=4
	v_and_b32_e32 v16, 0x7fffffff, v4
	v_mov_b32_e32 v17, v3
	v_and_b32_e32 v100, 0x80, v5
                                        ; implicit-def: $vgpr85
	s_mov_b32 s13, exec_lo
	s_delay_alu instid0(VALU_DEP_2)
	v_cmpx_gt_u64_e32 0x47600001, v[16:17]
	s_xor_b32 s72, exec_lo, s13
	s_cbranch_execz .LBB4_828
; %bb.819:                              ;   in Loop: Header=BB4_357 Depth=4
	v_mov_b32_e32 v85, 0
	s_mov_b32 s73, exec_lo
	v_cmpx_ne_u32_e32 0, v4
	s_cbranch_execz .LBB4_827
; %bb.820:                              ;   in Loop: Header=BB4_357 Depth=4
	v_bfe_u32 v85, v4, 23, 8
	v_or_b32_e32 v16, 0x800000, v2
	s_delay_alu instid0(VALU_DEP_2) | instskip(SKIP_1) | instid1(VALU_DEP_2)
	v_sub_nc_u32_e32 v4, 0x71, v85
	v_cmp_gt_u32_e32 vcc_lo, 0x72, v85
	v_cndmask_b32_e32 v4, 0, v4, vcc_lo
	v_cmp_eq_u32_e32 vcc_lo, 0, v85
	s_delay_alu instid0(VALU_DEP_2) | instskip(NEXT) | instid1(VALU_DEP_1)
	v_cndmask_b32_e64 v101, v4, 0x70, vcc_lo
	v_dual_cndmask_b32 v2, v16, v2, vcc_lo :: v_dual_add_nc_u32 v4, 21, v101
	v_add_nc_u32_e32 v17, 20, v101
	s_delay_alu instid0(VALU_DEP_2) | instskip(NEXT) | instid1(VALU_DEP_2)
	v_lshlrev_b64_e64 v[4:5], v4, -1
	v_lshlrev_b64_e64 v[16:17], v17, 1
	s_delay_alu instid0(VALU_DEP_2) | instskip(NEXT) | instid1(VALU_DEP_3)
	v_bfi_b32 v103, v5, 0, 0
	v_bfi_b32 v102, v4, 0, v2
	v_lshrrev_b64 v[4:5], v101, v[2:3]
	s_delay_alu instid0(VALU_DEP_2) | instskip(NEXT) | instid1(VALU_DEP_2)
	v_cmp_eq_u64_e64 s13, v[102:103], v[16:17]
	v_mov_b64_e32 v[16:17], v[4:5]
	s_and_saveexec_b32 s74, s13
; %bb.821:                              ;   in Loop: Header=BB4_357 Depth=4
	v_bfe_u32 v2, v4, 21, 1
	s_delay_alu instid0(VALU_DEP_1) | instskip(NEXT) | instid1(VALU_DEP_1)
	v_add_nc_u64_e32 v[16:17], v[4:5], v[2:3]
	v_add_nc_u64_e32 v[16:17], -1, v[16:17]
; %bb.822:                              ;   in Loop: Header=BB4_357 Depth=4
	s_or_b32 exec_lo, exec_lo, s74
	v_add_nc_u32_e32 v2, 0xffffff81, v85
	v_lshrrev_b32_e32 v5, 23, v4
	s_mov_b32 s13, exec_lo
	s_delay_alu instid0(VALU_DEP_2) | instskip(NEXT) | instid1(VALU_DEP_1)
	v_cndmask_b32_e64 v2, v2, 0xffffff82, vcc_lo
	v_add3_u32 v17, v101, v2, v5
	v_and_b32_e32 v2, 0x1fffff, v16
                                        ; implicit-def: $vgpr16
	s_delay_alu instid0(VALU_DEP_1) | instskip(NEXT) | instid1(VALU_DEP_1)
	v_dual_add_nc_u32 v85, 14, v17 :: v_dual_add_nc_u32 v2, v2, v4
                                        ; implicit-def: $vgpr4_vgpr5
	v_cmpx_ne_u32_e32 0, v85
	s_xor_b32 s13, exec_lo, s13
; %bb.823:                              ;   in Loop: Header=BB4_357 Depth=4
	s_delay_alu instid0(VALU_DEP_2) | instskip(SKIP_1) | instid1(VALU_DEP_1)
	v_cmp_lt_u64_e32 vcc_lo, 0xffffff, v[2:3]
	v_add_nc_u32_e32 v4, 15, v17
	v_cndmask_b32_e32 v16, v85, v4, vcc_lo
	v_cndmask_b32_e64 v4, 0, 1, vcc_lo
	s_delay_alu instid0(VALU_DEP_1)
	v_lshrrev_b64 v[4:5], v4, v[2:3]
; %bb.824:                              ;   in Loop: Header=BB4_357 Depth=4
	s_and_not1_saveexec_b32 s13, s13
; %bb.825:                              ;   in Loop: Header=BB4_357 Depth=4
	v_mov_b64_e32 v[4:5], v[2:3]
	v_bfe_u32 v16, v2, 23, 1
; %bb.826:                              ;   in Loop: Header=BB4_357 Depth=4
	s_or_b32 exec_lo, exec_lo, s13
	s_delay_alu instid0(VALU_DEP_2) | instskip(NEXT) | instid1(VALU_DEP_2)
	v_lshrrev_b64 v[4:5], 21, v[4:5]
	v_cmp_gt_i32_e32 vcc_lo, 32, v16
	v_min_i32_e32 v2, 31, v16
	v_cmp_eq_u32_e64 s13, 0, v16
	s_delay_alu instid0(VALU_DEP_2) | instskip(SKIP_1) | instid1(VALU_DEP_2)
	v_dual_cndmask_b32 v5, 0, v5 :: v_dual_lshlrev_b32 v2, 2, v2
	v_cndmask_b32_e32 v4, 3, v4, vcc_lo
	v_and_b32_e32 v2, 0xfc, v2
	s_delay_alu instid0(VALU_DEP_2) | instskip(NEXT) | instid1(VALU_DEP_2)
	v_cmp_eq_u64_e32 vcc_lo, 0, v[4:5]
	v_and_or_b32 v2, v4, 3, v2
	s_and_b32 s13, s13, vcc_lo
	s_delay_alu instid0(VALU_DEP_1) | instid1(SALU_CYCLE_1)
	v_cndmask_b32_e64 v2, v2, 0, s13
	s_delay_alu instid0(VALU_DEP_1)
	v_or_b32_e32 v85, v2, v100
.LBB4_827:                              ;   in Loop: Header=BB4_357 Depth=4
	s_or_b32 exec_lo, exec_lo, s73
                                        ; implicit-def: $vgpr100
.LBB4_828:                              ;   in Loop: Header=BB4_357 Depth=4
	s_and_not1_saveexec_b32 s13, s72
; %bb.829:                              ;   in Loop: Header=BB4_357 Depth=4
	v_or_b32_e32 v85, 0x7b, v100
; %bb.830:                              ;   in Loop: Header=BB4_357 Depth=4
	s_or_b32 exec_lo, exec_lo, s13
                                        ; implicit-def: $vgpr4
                                        ; implicit-def: $vgpr5
.LBB4_831:                              ;   in Loop: Header=BB4_357 Depth=4
	s_and_not1_saveexec_b32 s13, s63
	s_cbranch_execz .LBB4_837
; %bb.832:                              ;   in Loop: Header=BB4_357 Depth=4
	s_mov_b32 s63, exec_lo
                                        ; implicit-def: $vgpr85
	v_cmpx_ne_u64_e32 0, v[2:3]
	s_xor_b32 s63, exec_lo, s63
; %bb.833:                              ;   in Loop: Header=BB4_357 Depth=4
	v_or_b32_e32 v85, 0x7f, v5
                                        ; implicit-def: $vgpr4
; %bb.834:                              ;   in Loop: Header=BB4_357 Depth=4
	s_and_not1_saveexec_b32 s63, s63
; %bb.835:                              ;   in Loop: Header=BB4_357 Depth=4
	v_cmp_lt_i32_e32 vcc_lo, -1, v4
	v_cndmask_b32_e32 v85, 0xfc, v113, vcc_lo
; %bb.836:                              ;   in Loop: Header=BB4_357 Depth=4
	s_or_b32 exec_lo, exec_lo, s63
.LBB4_837:                              ;   in Loop: Header=BB4_357 Depth=4
	s_delay_alu instid0(SALU_CYCLE_1) | instskip(SKIP_4) | instid1(VALU_DEP_3)
	s_or_b32 exec_lo, exec_lo, s13
	v_and_b32_e32 v16, 0xff, v23
	v_dual_mov_b32 v2, v23 :: v_dual_mov_b32 v5, 0
	v_mov_b32_e32 v4, 0
	s_mov_b32 s13, exec_lo
	v_cmpx_ne_u16_e32 0, v16
	s_cbranch_execz .LBB4_847
; %bb.838:                              ;   in Loop: Header=BB4_357 Depth=4
	v_bfrev_b32_e32 v4, 1
	s_mov_b32 s63, exec_lo
	v_cmpx_ne_u16_e32 0x80, v16
	s_cbranch_execz .LBB4_846
; %bb.839:                              ;   in Loop: Header=BB4_357 Depth=4
	v_and_b32_e32 v4, 0x7c, v23
	v_and_b32_e32 v16, 3, v23
	s_delay_alu instid0(VALU_DEP_2) | instskip(SKIP_1) | instid1(SALU_CYCLE_1)
	v_cmp_ne_u32_e32 vcc_lo, 0x7c, v4
                                        ; implicit-def: $vgpr4
	s_and_saveexec_b32 s72, vcc_lo
	s_xor_b32 s72, exec_lo, s72
	s_cbranch_execz .LBB4_843
; %bb.840:                              ;   in Loop: Header=BB4_357 Depth=4
	v_bfe_u32 v4, v23, 2, 5
	s_mov_b32 s73, exec_lo
	s_delay_alu instid0(VALU_DEP_1)
	v_cmpx_eq_u32_e32 0, v4
; %bb.841:                              ;   in Loop: Header=BB4_357 Depth=4
	v_clz_i32_u32_e32 v4, v16
	s_delay_alu instid0(VALU_DEP_1) | instskip(NEXT) | instid1(VALU_DEP_1)
	v_min_u32_e32 v4, 32, v4
	v_subrev_nc_u32_e32 v16, 29, v4
	v_sub_nc_u32_e32 v4, 30, v4
	s_delay_alu instid0(VALU_DEP_2) | instskip(NEXT) | instid1(VALU_DEP_1)
	v_lshlrev_b64_e32 v[16:17], v16, v[2:3]
	v_and_b32_e32 v16, 3, v16
; %bb.842:                              ;   in Loop: Header=BB4_357 Depth=4
	s_or_b32 exec_lo, exec_lo, s73
	v_lshlrev_b32_e32 v17, 24, v23
	s_delay_alu instid0(VALU_DEP_1) | instskip(NEXT) | instid1(VALU_DEP_1)
	v_and_b32_e32 v17, 0x80000000, v17
	v_lshl_add_u32 v4, v4, 23, v17
	s_delay_alu instid0(VALU_DEP_1) | instskip(NEXT) | instid1(VALU_DEP_1)
	v_lshl_or_b32 v4, v16, 21, v4
                                        ; implicit-def: $vgpr16
	v_add_nc_u32_e32 v4, 0x38000000, v4
.LBB4_843:                              ;   in Loop: Header=BB4_357 Depth=4
	s_and_not1_saveexec_b32 s72, s72
; %bb.844:                              ;   in Loop: Header=BB4_357 Depth=4
	v_bfe_i32 v4, v23, 0, 8
	s_delay_alu instid0(VALU_DEP_1) | instskip(SKIP_2) | instid1(VALU_DEP_2)
	v_cmp_lt_i16_e32 vcc_lo, -1, v4
	v_cndmask_b32_e32 v4, 0xff800000, v112, vcc_lo
	v_cmp_eq_u32_e32 vcc_lo, 0, v16
	v_cndmask_b32_e32 v4, 0x7f800001, v4, vcc_lo
; %bb.845:                              ;   in Loop: Header=BB4_357 Depth=4
	s_or_b32 exec_lo, exec_lo, s72
.LBB4_846:                              ;   in Loop: Header=BB4_357 Depth=4
	s_delay_alu instid0(SALU_CYCLE_1)
	s_or_b32 exec_lo, exec_lo, s63
.LBB4_847:                              ;   in Loop: Header=BB4_357 Depth=4
	s_delay_alu instid0(SALU_CYCLE_1) | instskip(SKIP_2) | instid1(VALU_DEP_1)
	s_or_b32 exec_lo, exec_lo, s13
	v_and_b32_e32 v16, 0xff, v19
	s_mov_b32 s13, exec_lo
	v_cmpx_ne_u16_e32 0, v16
	s_cbranch_execz .LBB4_857
; %bb.848:                              ;   in Loop: Header=BB4_357 Depth=4
	v_bfrev_b32_e32 v5, 1
	s_mov_b32 s63, exec_lo
	v_cmpx_ne_u16_e32 0x80, v16
	s_cbranch_execz .LBB4_856
; %bb.849:                              ;   in Loop: Header=BB4_357 Depth=4
	v_and_b32_e32 v5, 0x7c, v19
	v_and_b32_e32 v16, 3, v19
	s_delay_alu instid0(VALU_DEP_2) | instskip(SKIP_1) | instid1(SALU_CYCLE_1)
	v_cmp_ne_u32_e32 vcc_lo, 0x7c, v5
                                        ; implicit-def: $vgpr5
	s_and_saveexec_b32 s72, vcc_lo
	s_xor_b32 s72, exec_lo, s72
	s_cbranch_execz .LBB4_853
; %bb.850:                              ;   in Loop: Header=BB4_357 Depth=4
	v_bfe_u32 v5, v19, 2, 5
	s_mov_b32 s73, exec_lo
	s_delay_alu instid0(VALU_DEP_1)
	v_cmpx_eq_u32_e32 0, v5
; %bb.851:                              ;   in Loop: Header=BB4_357 Depth=4
	v_clz_i32_u32_e32 v5, v16
	v_dual_mov_b32 v16, v19 :: v_dual_mov_b32 v17, v3
	s_delay_alu instid0(VALU_DEP_2) | instskip(NEXT) | instid1(VALU_DEP_1)
	v_min_u32_e32 v5, 32, v5
	v_subrev_nc_u32_e32 v100, 29, v5
	s_delay_alu instid0(VALU_DEP_1) | instskip(NEXT) | instid1(VALU_DEP_1)
	v_lshlrev_b64_e32 v[16:17], v100, v[16:17]
	v_dual_sub_nc_u32 v5, 30, v5 :: v_dual_bitop2_b32 v16, 3, v16 bitop3:0x40
; %bb.852:                              ;   in Loop: Header=BB4_357 Depth=4
	s_or_b32 exec_lo, exec_lo, s73
	v_lshlrev_b32_e32 v17, 24, v19
	s_delay_alu instid0(VALU_DEP_1) | instskip(NEXT) | instid1(VALU_DEP_1)
	v_and_b32_e32 v17, 0x80000000, v17
	v_lshl_add_u32 v5, v5, 23, v17
	s_delay_alu instid0(VALU_DEP_1) | instskip(NEXT) | instid1(VALU_DEP_1)
	v_lshl_or_b32 v5, v16, 21, v5
                                        ; implicit-def: $vgpr16
	v_add_nc_u32_e32 v5, 0x38000000, v5
.LBB4_853:                              ;   in Loop: Header=BB4_357 Depth=4
	s_and_not1_saveexec_b32 s72, s72
; %bb.854:                              ;   in Loop: Header=BB4_357 Depth=4
	v_bfe_i32 v5, v19, 0, 8
	s_delay_alu instid0(VALU_DEP_1) | instskip(SKIP_2) | instid1(VALU_DEP_2)
	v_cmp_lt_i16_e32 vcc_lo, -1, v5
	v_cndmask_b32_e32 v5, 0xff800000, v112, vcc_lo
	v_cmp_eq_u32_e32 vcc_lo, 0, v16
	v_cndmask_b32_e32 v5, 0x7f800001, v5, vcc_lo
; %bb.855:                              ;   in Loop: Header=BB4_357 Depth=4
	s_or_b32 exec_lo, exec_lo, s72
.LBB4_856:                              ;   in Loop: Header=BB4_357 Depth=4
	s_delay_alu instid0(SALU_CYCLE_1)
	s_or_b32 exec_lo, exec_lo, s63
.LBB4_857:                              ;   in Loop: Header=BB4_357 Depth=4
	s_delay_alu instid0(SALU_CYCLE_1) | instskip(NEXT) | instid1(VALU_DEP_1)
	s_or_b32 exec_lo, exec_lo, s13
	v_dual_mul_f32 v16, v4, v5 :: v_dual_mov_b32 v101, v3
	v_mov_b32_e32 v5, v3
                                        ; implicit-def: $vgpr116
	s_mov_b32 s13, exec_lo
	s_delay_alu instid0(VALU_DEP_2) | instskip(SKIP_2) | instid1(VALU_DEP_3)
	v_and_b32_e32 v100, 0x7f800000, v16
	v_and_b32_e32 v4, 0x7fffff, v16
	v_lshrrev_b32_e32 v17, 24, v16
	v_cmpx_ne_u64_e32 0x7f800000, v[100:101]
	s_xor_b32 s63, exec_lo, s13
	s_cbranch_execz .LBB4_871
; %bb.858:                              ;   in Loop: Header=BB4_357 Depth=4
	v_and_b32_e32 v100, 0x7fffffff, v16
	v_mov_b32_e32 v101, v3
                                        ; implicit-def: $vgpr116
	s_delay_alu instid0(VALU_DEP_1) | instskip(SKIP_2) | instid1(SALU_CYCLE_1)
	v_cmp_gt_u64_e32 vcc_lo, 0x47600001, v[100:101]
	v_and_b32_e32 v100, 0x80, v17
	s_and_saveexec_b32 s13, vcc_lo
	s_xor_b32 s72, exec_lo, s13
	s_cbranch_execz .LBB4_868
; %bb.859:                              ;   in Loop: Header=BB4_357 Depth=4
	v_mov_b32_e32 v116, 0
	s_mov_b32 s73, exec_lo
	v_cmpx_ne_u32_e32 0, v16
	s_cbranch_execz .LBB4_867
; %bb.860:                              ;   in Loop: Header=BB4_357 Depth=4
	v_bfe_u32 v101, v16, 23, 8
	v_or_b32_e32 v103, 0x800000, v4
	s_delay_alu instid0(VALU_DEP_2) | instskip(SKIP_1) | instid1(VALU_DEP_2)
	v_sub_nc_u32_e32 v16, 0x71, v101
	v_cmp_gt_u32_e32 vcc_lo, 0x72, v101
	v_cndmask_b32_e32 v16, 0, v16, vcc_lo
	v_cmp_eq_u32_e32 vcc_lo, 0, v101
	s_delay_alu instid0(VALU_DEP_2) | instskip(NEXT) | instid1(VALU_DEP_1)
	v_cndmask_b32_e64 v102, v16, 0x70, vcc_lo
	v_dual_cndmask_b32 v4, v103, v4, vcc_lo :: v_dual_add_nc_u32 v16, 21, v102
	v_add_nc_u32_e32 v116, 20, v102
	s_delay_alu instid0(VALU_DEP_2) | instskip(NEXT) | instid1(VALU_DEP_2)
	v_lshlrev_b64_e64 v[16:17], v16, -1
	v_lshlrev_b64_e64 v[116:117], v116, 1
	s_delay_alu instid0(VALU_DEP_2) | instskip(SKIP_1) | instid1(VALU_DEP_4)
	v_bfi_b32 v16, v16, 0, v4
	v_lshrrev_b64 v[4:5], v102, v[4:5]
	v_bfi_b32 v17, v17, 0, 0
	s_delay_alu instid0(VALU_DEP_1) | instskip(NEXT) | instid1(VALU_DEP_3)
	v_cmp_eq_u64_e64 s13, v[16:17], v[116:117]
	v_mov_b64_e32 v[16:17], v[4:5]
	s_and_saveexec_b32 s74, s13
; %bb.861:                              ;   in Loop: Header=BB4_357 Depth=4
	v_bfe_u32 v16, v4, 21, 1
	v_mov_b32_e32 v17, v3
	s_delay_alu instid0(VALU_DEP_1) | instskip(NEXT) | instid1(VALU_DEP_1)
	v_add_nc_u64_e32 v[16:17], v[4:5], v[16:17]
	v_add_nc_u64_e32 v[16:17], -1, v[16:17]
; %bb.862:                              ;   in Loop: Header=BB4_357 Depth=4
	s_or_b32 exec_lo, exec_lo, s74
	v_add_nc_u32_e32 v5, 0xffffff81, v101
	v_lshrrev_b32_e32 v17, 23, v4
	s_mov_b32 s13, exec_lo
	s_delay_alu instid0(VALU_DEP_2) | instskip(NEXT) | instid1(VALU_DEP_1)
	v_cndmask_b32_e64 v5, v5, 0xffffff82, vcc_lo
	v_add3_u32 v17, v102, v5, v17
	v_and_b32_e32 v5, 0x1fffff, v16
                                        ; implicit-def: $vgpr16
	s_delay_alu instid0(VALU_DEP_1) | instskip(SKIP_1) | instid1(VALU_DEP_2)
	v_dual_add_nc_u32 v101, 14, v17 :: v_dual_add_nc_u32 v4, v5, v4
	v_mov_b32_e32 v5, v3
	v_cmpx_ne_u32_e32 0, v101
	s_xor_b32 s13, exec_lo, s13
; %bb.863:                              ;   in Loop: Header=BB4_357 Depth=4
	s_delay_alu instid0(VALU_DEP_2) | instskip(SKIP_2) | instid1(VALU_DEP_2)
	v_cmp_lt_u64_e32 vcc_lo, 0xffffff, v[4:5]
	v_add_nc_u32_e32 v16, 15, v17
	v_cndmask_b32_e64 v17, 0, 1, vcc_lo
	v_cndmask_b32_e32 v16, v101, v16, vcc_lo
	s_delay_alu instid0(VALU_DEP_2)
	v_lshrrev_b64 v[4:5], v17, v[4:5]
; %bb.864:                              ;   in Loop: Header=BB4_357 Depth=4
	s_and_not1_saveexec_b32 s13, s13
; %bb.865:                              ;   in Loop: Header=BB4_357 Depth=4
	s_delay_alu instid0(VALU_DEP_1)
	v_bfe_u32 v16, v4, 23, 1
; %bb.866:                              ;   in Loop: Header=BB4_357 Depth=4
	s_or_b32 exec_lo, exec_lo, s13
	s_delay_alu instid0(VALU_DEP_2) | instskip(NEXT) | instid1(VALU_DEP_2)
	v_lshrrev_b64 v[4:5], 21, v[4:5]
	v_cmp_gt_i32_e32 vcc_lo, 32, v16
	v_min_i32_e32 v17, 31, v16
	v_cmp_eq_u32_e64 s13, 0, v16
	s_delay_alu instid0(VALU_DEP_4) | instskip(NEXT) | instid1(VALU_DEP_3)
	v_cndmask_b32_e32 v5, 0, v5, vcc_lo
	v_dual_cndmask_b32 v4, 3, v4 :: v_dual_lshlrev_b32 v17, 2, v17
	s_delay_alu instid0(VALU_DEP_1) | instskip(NEXT) | instid1(VALU_DEP_2)
	v_and_b32_e32 v17, 0xfc, v17
	v_cmp_eq_u64_e32 vcc_lo, 0, v[4:5]
	s_delay_alu instid0(VALU_DEP_2)
	v_and_or_b32 v4, v4, 3, v17
	s_and_b32 s13, s13, vcc_lo
	s_delay_alu instid0(VALU_DEP_1) | instid1(SALU_CYCLE_1)
	v_cndmask_b32_e64 v4, v4, 0, s13
	s_delay_alu instid0(VALU_DEP_1)
	v_or_b32_e32 v116, v4, v100
.LBB4_867:                              ;   in Loop: Header=BB4_357 Depth=4
	s_or_b32 exec_lo, exec_lo, s73
                                        ; implicit-def: $vgpr100
.LBB4_868:                              ;   in Loop: Header=BB4_357 Depth=4
	s_and_not1_saveexec_b32 s13, s72
; %bb.869:                              ;   in Loop: Header=BB4_357 Depth=4
	v_or_b32_e32 v116, 0x7b, v100
; %bb.870:                              ;   in Loop: Header=BB4_357 Depth=4
	s_or_b32 exec_lo, exec_lo, s13
                                        ; implicit-def: $vgpr16
                                        ; implicit-def: $vgpr4_vgpr5
                                        ; implicit-def: $vgpr17
.LBB4_871:                              ;   in Loop: Header=BB4_357 Depth=4
	s_and_not1_saveexec_b32 s13, s63
	s_cbranch_execz .LBB4_877
; %bb.872:                              ;   in Loop: Header=BB4_357 Depth=4
	s_mov_b32 s63, exec_lo
                                        ; implicit-def: $vgpr116
	v_cmpx_ne_u64_e32 0, v[4:5]
	s_xor_b32 s63, exec_lo, s63
; %bb.873:                              ;   in Loop: Header=BB4_357 Depth=4
	v_or_b32_e32 v116, 0x7f, v17
                                        ; implicit-def: $vgpr16
; %bb.874:                              ;   in Loop: Header=BB4_357 Depth=4
	s_and_not1_saveexec_b32 s63, s63
; %bb.875:                              ;   in Loop: Header=BB4_357 Depth=4
	v_cmp_lt_i32_e32 vcc_lo, -1, v16
	v_cndmask_b32_e32 v116, 0xfc, v113, vcc_lo
; %bb.876:                              ;   in Loop: Header=BB4_357 Depth=4
	s_or_b32 exec_lo, exec_lo, s63
.LBB4_877:                              ;   in Loop: Header=BB4_357 Depth=4
	s_delay_alu instid0(SALU_CYCLE_1) | instskip(SKIP_3) | instid1(VALU_DEP_2)
	s_or_b32 exec_lo, exec_lo, s13
	v_lshrrev_b16 v4, 8, v2
	v_dual_mov_b32 v16, 0 :: v_dual_mov_b32 v5, 0
	s_mov_b32 s13, exec_lo
	v_cmpx_ne_u16_e32 0, v4
	s_cbranch_execz .LBB4_887
; %bb.878:                              ;   in Loop: Header=BB4_357 Depth=4
	v_bfrev_b32_e32 v5, 1
	s_mov_b32 s63, exec_lo
	v_cmpx_ne_u16_e32 0x80, v4
	s_cbranch_execz .LBB4_886
; %bb.879:                              ;   in Loop: Header=BB4_357 Depth=4
	v_and_b32_e32 v100, 0xffff, v4
	s_delay_alu instid0(VALU_DEP_1) | instskip(SKIP_1) | instid1(VALU_DEP_2)
	v_and_b32_e32 v5, 0x7c, v100
	v_and_b32_e32 v17, 3, v100
	v_cmp_ne_u32_e32 vcc_lo, 0x7c, v5
                                        ; implicit-def: $vgpr5
	s_and_saveexec_b32 s72, vcc_lo
	s_delay_alu instid0(SALU_CYCLE_1)
	s_xor_b32 s72, exec_lo, s72
	s_cbranch_execz .LBB4_883
; %bb.880:                              ;   in Loop: Header=BB4_357 Depth=4
	v_bfe_u32 v5, v100, 2, 5
	s_mov_b32 s73, exec_lo
	s_delay_alu instid0(VALU_DEP_1)
	v_cmpx_eq_u32_e32 0, v5
; %bb.881:                              ;   in Loop: Header=BB4_357 Depth=4
	v_clz_i32_u32_e32 v5, v17
	s_delay_alu instid0(VALU_DEP_1) | instskip(SKIP_1) | instid1(VALU_DEP_2)
	v_min_u32_e32 v17, 32, v5
	v_mov_b32_e32 v5, v3
	v_subrev_nc_u32_e32 v100, 29, v17
	s_delay_alu instid0(VALU_DEP_1) | instskip(NEXT) | instid1(VALU_DEP_1)
	v_lshlrev_b64_e32 v[4:5], v100, v[4:5]
	v_dual_sub_nc_u32 v5, 30, v17 :: v_dual_bitop2_b32 v17, 3, v4 bitop3:0x40
; %bb.882:                              ;   in Loop: Header=BB4_357 Depth=4
	s_or_b32 exec_lo, exec_lo, s73
	v_lshlrev_b32_e32 v2, 16, v2
	s_delay_alu instid0(VALU_DEP_1) | instskip(NEXT) | instid1(VALU_DEP_1)
	v_and_b32_e32 v2, 0x80000000, v2
	v_lshl_add_u32 v2, v5, 23, v2
	s_delay_alu instid0(VALU_DEP_1) | instskip(NEXT) | instid1(VALU_DEP_1)
	v_lshl_or_b32 v2, v17, 21, v2
                                        ; implicit-def: $vgpr17
	v_add_nc_u32_e32 v5, 0x38000000, v2
.LBB4_883:                              ;   in Loop: Header=BB4_357 Depth=4
	s_and_not1_saveexec_b32 s72, s72
; %bb.884:                              ;   in Loop: Header=BB4_357 Depth=4
	v_cmp_lt_i16_e32 vcc_lo, -1, v2
	v_cndmask_b32_e32 v2, 0xff800000, v112, vcc_lo
	v_cmp_eq_u32_e32 vcc_lo, 0, v17
	s_delay_alu instid0(VALU_DEP_2)
	v_cndmask_b32_e32 v5, 0x7f800001, v2, vcc_lo
; %bb.885:                              ;   in Loop: Header=BB4_357 Depth=4
	s_or_b32 exec_lo, exec_lo, s72
.LBB4_886:                              ;   in Loop: Header=BB4_357 Depth=4
	s_delay_alu instid0(SALU_CYCLE_1)
	s_or_b32 exec_lo, exec_lo, s63
.LBB4_887:                              ;   in Loop: Header=BB4_357 Depth=4
	s_delay_alu instid0(SALU_CYCLE_1) | instskip(SKIP_2) | instid1(VALU_DEP_1)
	s_or_b32 exec_lo, exec_lo, s13
	v_lshrrev_b16 v2, 8, v19
	s_mov_b32 s13, exec_lo
	v_cmpx_ne_u16_e32 0, v2
	s_cbranch_execz .LBB4_897
; %bb.888:                              ;   in Loop: Header=BB4_357 Depth=4
	v_bfrev_b32_e32 v16, 1
	s_mov_b32 s63, exec_lo
	v_cmpx_ne_u16_e32 0x80, v2
	s_cbranch_execz .LBB4_896
; %bb.889:                              ;   in Loop: Header=BB4_357 Depth=4
	v_and_b32_e32 v17, 0xffff, v2
	s_delay_alu instid0(VALU_DEP_1) | instskip(SKIP_1) | instid1(VALU_DEP_2)
	v_and_b32_e32 v16, 0x7c, v17
	v_and_b32_e32 v4, 3, v17
	v_cmp_ne_u32_e32 vcc_lo, 0x7c, v16
                                        ; implicit-def: $vgpr16
	s_and_saveexec_b32 s72, vcc_lo
	s_delay_alu instid0(SALU_CYCLE_1)
	s_xor_b32 s72, exec_lo, s72
	s_cbranch_execz .LBB4_893
; %bb.890:                              ;   in Loop: Header=BB4_357 Depth=4
	v_bfe_u32 v16, v17, 2, 5
	s_mov_b32 s73, exec_lo
	s_delay_alu instid0(VALU_DEP_1)
	v_cmpx_eq_u32_e32 0, v16
; %bb.891:                              ;   in Loop: Header=BB4_357 Depth=4
	v_clz_i32_u32_e32 v4, v4
	s_delay_alu instid0(VALU_DEP_1) | instskip(NEXT) | instid1(VALU_DEP_1)
	v_min_u32_e32 v4, 32, v4
	v_subrev_nc_u32_e32 v16, 29, v4
	s_delay_alu instid0(VALU_DEP_1) | instskip(SKIP_1) | instid1(VALU_DEP_2)
	v_lshlrev_b64_e32 v[100:101], v16, v[2:3]
	v_sub_nc_u32_e32 v16, 30, v4
	v_and_b32_e32 v4, 3, v100
; %bb.892:                              ;   in Loop: Header=BB4_357 Depth=4
	s_or_b32 exec_lo, exec_lo, s73
	v_lshlrev_b32_e32 v2, 16, v19
	s_delay_alu instid0(VALU_DEP_1) | instskip(NEXT) | instid1(VALU_DEP_1)
	v_and_b32_e32 v2, 0x80000000, v2
	v_lshl_add_u32 v2, v16, 23, v2
	s_delay_alu instid0(VALU_DEP_1) | instskip(NEXT) | instid1(VALU_DEP_1)
	v_lshl_or_b32 v2, v4, 21, v2
                                        ; implicit-def: $vgpr4
	v_add_nc_u32_e32 v16, 0x38000000, v2
.LBB4_893:                              ;   in Loop: Header=BB4_357 Depth=4
	s_and_not1_saveexec_b32 s72, s72
; %bb.894:                              ;   in Loop: Header=BB4_357 Depth=4
	v_cmp_lt_i16_e32 vcc_lo, -1, v19
	v_cndmask_b32_e32 v2, 0xff800000, v112, vcc_lo
	v_cmp_eq_u32_e32 vcc_lo, 0, v4
	s_delay_alu instid0(VALU_DEP_2)
	v_cndmask_b32_e32 v16, 0x7f800001, v2, vcc_lo
; %bb.895:                              ;   in Loop: Header=BB4_357 Depth=4
	s_or_b32 exec_lo, exec_lo, s72
.LBB4_896:                              ;   in Loop: Header=BB4_357 Depth=4
	s_delay_alu instid0(SALU_CYCLE_1)
	s_or_b32 exec_lo, exec_lo, s63
.LBB4_897:                              ;   in Loop: Header=BB4_357 Depth=4
	s_delay_alu instid0(SALU_CYCLE_1) | instskip(NEXT) | instid1(VALU_DEP_1)
	s_or_b32 exec_lo, exec_lo, s13
	v_dual_mul_f32 v4, v5, v16 :: v_dual_mov_b32 v17, v3
                                        ; implicit-def: $vgpr117
	s_mov_b32 s13, exec_lo
	s_delay_alu instid0(VALU_DEP_1) | instskip(SKIP_2) | instid1(VALU_DEP_3)
	v_and_b32_e32 v16, 0x7f800000, v4
	v_and_b32_e32 v2, 0x7fffff, v4
	v_lshrrev_b32_e32 v5, 24, v4
	v_cmpx_ne_u64_e32 0x7f800000, v[16:17]
	s_xor_b32 s63, exec_lo, s13
	s_cbranch_execz .LBB4_911
; %bb.898:                              ;   in Loop: Header=BB4_357 Depth=4
	v_and_b32_e32 v16, 0x7fffffff, v4
	v_mov_b32_e32 v17, v3
	v_and_b32_e32 v100, 0x80, v5
                                        ; implicit-def: $vgpr117
	s_mov_b32 s13, exec_lo
	s_delay_alu instid0(VALU_DEP_2)
	v_cmpx_gt_u64_e32 0x47600001, v[16:17]
	s_xor_b32 s72, exec_lo, s13
	s_cbranch_execz .LBB4_908
; %bb.899:                              ;   in Loop: Header=BB4_357 Depth=4
	v_mov_b32_e32 v117, 0
	s_mov_b32 s73, exec_lo
	v_cmpx_ne_u32_e32 0, v4
	s_cbranch_execz .LBB4_907
; %bb.900:                              ;   in Loop: Header=BB4_357 Depth=4
	v_bfe_u32 v101, v4, 23, 8
	v_or_b32_e32 v16, 0x800000, v2
	s_delay_alu instid0(VALU_DEP_2) | instskip(SKIP_1) | instid1(VALU_DEP_2)
	v_sub_nc_u32_e32 v4, 0x71, v101
	v_cmp_gt_u32_e32 vcc_lo, 0x72, v101
	v_cndmask_b32_e32 v4, 0, v4, vcc_lo
	v_cmp_eq_u32_e32 vcc_lo, 0, v101
	s_delay_alu instid0(VALU_DEP_2) | instskip(SKIP_1) | instid1(VALU_DEP_2)
	v_cndmask_b32_e64 v102, v4, 0x70, vcc_lo
	v_cndmask_b32_e32 v2, v16, v2, vcc_lo
	v_dual_add_nc_u32 v4, 21, v102 :: v_dual_add_nc_u32 v17, 20, v102
	s_delay_alu instid0(VALU_DEP_1) | instskip(NEXT) | instid1(VALU_DEP_2)
	v_lshlrev_b64_e64 v[4:5], v4, -1
	v_lshlrev_b64_e64 v[16:17], v17, 1
	s_delay_alu instid0(VALU_DEP_2) | instskip(NEXT) | instid1(VALU_DEP_3)
	v_bfi_b32 v73, v5, 0, 0
	v_bfi_b32 v72, v4, 0, v2
	v_lshrrev_b64 v[4:5], v102, v[2:3]
	s_delay_alu instid0(VALU_DEP_2) | instskip(NEXT) | instid1(VALU_DEP_2)
	v_cmp_eq_u64_e64 s13, v[72:73], v[16:17]
	v_mov_b64_e32 v[16:17], v[4:5]
	s_and_saveexec_b32 s74, s13
; %bb.901:                              ;   in Loop: Header=BB4_357 Depth=4
	v_bfe_u32 v2, v4, 21, 1
	s_delay_alu instid0(VALU_DEP_1) | instskip(NEXT) | instid1(VALU_DEP_1)
	v_add_nc_u64_e32 v[16:17], v[4:5], v[2:3]
	v_add_nc_u64_e32 v[16:17], -1, v[16:17]
; %bb.902:                              ;   in Loop: Header=BB4_357 Depth=4
	s_or_b32 exec_lo, exec_lo, s74
	v_add_nc_u32_e32 v2, 0xffffff81, v101
	v_lshrrev_b32_e32 v5, 23, v4
	s_mov_b32 s13, exec_lo
	s_delay_alu instid0(VALU_DEP_2) | instskip(NEXT) | instid1(VALU_DEP_1)
	v_cndmask_b32_e64 v2, v2, 0xffffff82, vcc_lo
	v_add3_u32 v17, v102, v2, v5
	v_and_b32_e32 v2, 0x1fffff, v16
                                        ; implicit-def: $vgpr16
	s_delay_alu instid0(VALU_DEP_1) | instskip(NEXT) | instid1(VALU_DEP_1)
	v_dual_add_nc_u32 v101, 14, v17 :: v_dual_add_nc_u32 v2, v2, v4
                                        ; implicit-def: $vgpr4_vgpr5
	v_cmpx_ne_u32_e32 0, v101
	s_xor_b32 s13, exec_lo, s13
; %bb.903:                              ;   in Loop: Header=BB4_357 Depth=4
	s_delay_alu instid0(VALU_DEP_2) | instskip(SKIP_1) | instid1(VALU_DEP_1)
	v_cmp_lt_u64_e32 vcc_lo, 0xffffff, v[2:3]
	v_add_nc_u32_e32 v4, 15, v17
	v_cndmask_b32_e32 v16, v101, v4, vcc_lo
	v_cndmask_b32_e64 v4, 0, 1, vcc_lo
	s_delay_alu instid0(VALU_DEP_1)
	v_lshrrev_b64 v[4:5], v4, v[2:3]
; %bb.904:                              ;   in Loop: Header=BB4_357 Depth=4
	s_and_not1_saveexec_b32 s13, s13
; %bb.905:                              ;   in Loop: Header=BB4_357 Depth=4
	v_mov_b64_e32 v[4:5], v[2:3]
	v_bfe_u32 v16, v2, 23, 1
; %bb.906:                              ;   in Loop: Header=BB4_357 Depth=4
	s_or_b32 exec_lo, exec_lo, s13
	s_delay_alu instid0(VALU_DEP_2) | instskip(NEXT) | instid1(VALU_DEP_2)
	v_lshrrev_b64 v[4:5], 21, v[4:5]
	v_cmp_gt_i32_e32 vcc_lo, 32, v16
	v_min_i32_e32 v2, 31, v16
	v_cmp_eq_u32_e64 s13, 0, v16
	s_delay_alu instid0(VALU_DEP_2) | instskip(SKIP_1) | instid1(VALU_DEP_2)
	v_dual_cndmask_b32 v5, 0, v5 :: v_dual_lshlrev_b32 v2, 2, v2
	v_cndmask_b32_e32 v4, 3, v4, vcc_lo
	v_and_b32_e32 v2, 0xfc, v2
	s_delay_alu instid0(VALU_DEP_2) | instskip(NEXT) | instid1(VALU_DEP_2)
	v_cmp_eq_u64_e32 vcc_lo, 0, v[4:5]
	v_and_or_b32 v2, v4, 3, v2
	s_and_b32 s13, s13, vcc_lo
	s_delay_alu instid0(VALU_DEP_1) | instid1(SALU_CYCLE_1)
	v_cndmask_b32_e64 v2, v2, 0, s13
	s_delay_alu instid0(VALU_DEP_1)
	v_or_b32_e32 v117, v2, v100
.LBB4_907:                              ;   in Loop: Header=BB4_357 Depth=4
	s_or_b32 exec_lo, exec_lo, s73
                                        ; implicit-def: $vgpr100
.LBB4_908:                              ;   in Loop: Header=BB4_357 Depth=4
	s_and_not1_saveexec_b32 s13, s72
; %bb.909:                              ;   in Loop: Header=BB4_357 Depth=4
	v_or_b32_e32 v117, 0x7b, v100
; %bb.910:                              ;   in Loop: Header=BB4_357 Depth=4
	s_or_b32 exec_lo, exec_lo, s13
                                        ; implicit-def: $vgpr4
                                        ; implicit-def: $vgpr5
.LBB4_911:                              ;   in Loop: Header=BB4_357 Depth=4
	s_and_not1_saveexec_b32 s13, s63
	s_cbranch_execz .LBB4_917
; %bb.912:                              ;   in Loop: Header=BB4_357 Depth=4
	s_mov_b32 s63, exec_lo
                                        ; implicit-def: $vgpr117
	v_cmpx_ne_u64_e32 0, v[2:3]
	s_xor_b32 s63, exec_lo, s63
; %bb.913:                              ;   in Loop: Header=BB4_357 Depth=4
	v_or_b32_e32 v117, 0x7f, v5
                                        ; implicit-def: $vgpr4
; %bb.914:                              ;   in Loop: Header=BB4_357 Depth=4
	s_and_not1_saveexec_b32 s63, s63
; %bb.915:                              ;   in Loop: Header=BB4_357 Depth=4
	v_cmp_lt_i32_e32 vcc_lo, -1, v4
	v_cndmask_b32_e32 v117, 0xfc, v113, vcc_lo
; %bb.916:                              ;   in Loop: Header=BB4_357 Depth=4
	s_or_b32 exec_lo, exec_lo, s63
.LBB4_917:                              ;   in Loop: Header=BB4_357 Depth=4
	s_delay_alu instid0(SALU_CYCLE_1) | instskip(SKIP_3) | instid1(VALU_DEP_2)
	s_or_b32 exec_lo, exec_lo, s13
	v_dual_lshrrev_b32 v2, 16, v23 :: v_dual_mov_b32 v4, 0
	v_mov_b32_e32 v5, 0
	s_mov_b32 s13, exec_lo
	v_and_b32_e32 v16, 0xff, v2
	s_delay_alu instid0(VALU_DEP_1)
	v_cmpx_ne_u16_e32 0, v16
	s_cbranch_execz .LBB4_927
; %bb.918:                              ;   in Loop: Header=BB4_357 Depth=4
	v_bfrev_b32_e32 v5, 1
	s_mov_b32 s63, exec_lo
	v_cmpx_ne_u16_e32 0x80, v16
	s_cbranch_execz .LBB4_926
; %bb.919:                              ;   in Loop: Header=BB4_357 Depth=4
	v_and_b32_e32 v5, 0x7c0000, v23
	v_bfe_u32 v16, v23, 16, 2
	s_delay_alu instid0(VALU_DEP_2) | instskip(SKIP_1) | instid1(SALU_CYCLE_1)
	v_cmp_ne_u32_e32 vcc_lo, 0x7c0000, v5
                                        ; implicit-def: $vgpr5
	s_and_saveexec_b32 s72, vcc_lo
	s_xor_b32 s72, exec_lo, s72
	s_cbranch_execz .LBB4_923
; %bb.920:                              ;   in Loop: Header=BB4_357 Depth=4
	v_bfe_u32 v5, v23, 18, 5
	s_mov_b32 s73, exec_lo
	s_delay_alu instid0(VALU_DEP_1)
	v_cmpx_eq_u32_e32 0, v5
; %bb.921:                              ;   in Loop: Header=BB4_357 Depth=4
	v_clz_i32_u32_e32 v5, v16
	s_delay_alu instid0(VALU_DEP_1) | instskip(NEXT) | instid1(VALU_DEP_1)
	v_min_u32_e32 v5, 32, v5
	v_subrev_nc_u32_e32 v16, 29, v5
	s_delay_alu instid0(VALU_DEP_1) | instskip(NEXT) | instid1(VALU_DEP_1)
	v_lshlrev_b64_e32 v[16:17], v16, v[2:3]
	v_dual_sub_nc_u32 v5, 30, v5 :: v_dual_bitop2_b32 v16, 3, v16 bitop3:0x40
; %bb.922:                              ;   in Loop: Header=BB4_357 Depth=4
	s_or_b32 exec_lo, exec_lo, s73
	v_lshlrev_b32_e32 v2, 24, v2
	s_delay_alu instid0(VALU_DEP_1) | instskip(NEXT) | instid1(VALU_DEP_1)
	v_and_b32_e32 v2, 0x80000000, v2
	v_lshl_add_u32 v2, v5, 23, v2
	s_delay_alu instid0(VALU_DEP_1) | instskip(NEXT) | instid1(VALU_DEP_1)
	v_lshl_or_b32 v2, v16, 21, v2
                                        ; implicit-def: $vgpr16
	v_add_nc_u32_e32 v5, 0x38000000, v2
                                        ; implicit-def: $vgpr2
.LBB4_923:                              ;   in Loop: Header=BB4_357 Depth=4
	s_and_not1_saveexec_b32 s72, s72
; %bb.924:                              ;   in Loop: Header=BB4_357 Depth=4
	v_bfe_i32 v2, v2, 0, 8
	s_delay_alu instid0(VALU_DEP_1) | instskip(SKIP_2) | instid1(VALU_DEP_2)
	v_cmp_lt_i16_e32 vcc_lo, -1, v2
	v_cndmask_b32_e32 v2, 0xff800000, v112, vcc_lo
	v_cmp_eq_u32_e32 vcc_lo, 0, v16
	v_cndmask_b32_e32 v5, 0x7f800001, v2, vcc_lo
; %bb.925:                              ;   in Loop: Header=BB4_357 Depth=4
	s_or_b32 exec_lo, exec_lo, s72
.LBB4_926:                              ;   in Loop: Header=BB4_357 Depth=4
	s_delay_alu instid0(SALU_CYCLE_1)
	s_or_b32 exec_lo, exec_lo, s63
.LBB4_927:                              ;   in Loop: Header=BB4_357 Depth=4
	s_delay_alu instid0(SALU_CYCLE_1) | instskip(SKIP_2) | instid1(VALU_DEP_1)
	s_or_b32 exec_lo, exec_lo, s13
	v_lshrrev_b32_e32 v2, 16, v19
	s_mov_b32 s13, exec_lo
	v_and_b32_e32 v16, 0xff, v2
	s_delay_alu instid0(VALU_DEP_1)
	v_cmpx_ne_u16_e32 0, v16
	s_cbranch_execz .LBB4_937
; %bb.928:                              ;   in Loop: Header=BB4_357 Depth=4
	v_bfrev_b32_e32 v4, 1
	s_mov_b32 s63, exec_lo
	v_cmpx_ne_u16_e32 0x80, v16
	s_cbranch_execz .LBB4_936
; %bb.929:                              ;   in Loop: Header=BB4_357 Depth=4
	v_and_b32_e32 v4, 0x7c0000, v19
	v_bfe_u32 v16, v19, 16, 2
	s_delay_alu instid0(VALU_DEP_2) | instskip(SKIP_1) | instid1(SALU_CYCLE_1)
	v_cmp_ne_u32_e32 vcc_lo, 0x7c0000, v4
                                        ; implicit-def: $vgpr4
	s_and_saveexec_b32 s72, vcc_lo
	s_xor_b32 s72, exec_lo, s72
	s_cbranch_execz .LBB4_933
; %bb.930:                              ;   in Loop: Header=BB4_357 Depth=4
	v_bfe_u32 v4, v19, 18, 5
	s_mov_b32 s73, exec_lo
	s_delay_alu instid0(VALU_DEP_1)
	v_cmpx_eq_u32_e32 0, v4
; %bb.931:                              ;   in Loop: Header=BB4_357 Depth=4
	v_clz_i32_u32_e32 v4, v16
	s_delay_alu instid0(VALU_DEP_1) | instskip(NEXT) | instid1(VALU_DEP_1)
	v_min_u32_e32 v4, 32, v4
	v_subrev_nc_u32_e32 v16, 29, v4
	v_sub_nc_u32_e32 v4, 30, v4
	s_delay_alu instid0(VALU_DEP_2) | instskip(NEXT) | instid1(VALU_DEP_1)
	v_lshlrev_b64_e32 v[16:17], v16, v[2:3]
	v_and_b32_e32 v16, 3, v16
; %bb.932:                              ;   in Loop: Header=BB4_357 Depth=4
	s_or_b32 exec_lo, exec_lo, s73
	v_lshlrev_b32_e32 v2, 24, v2
	s_delay_alu instid0(VALU_DEP_1) | instskip(NEXT) | instid1(VALU_DEP_1)
	v_and_b32_e32 v2, 0x80000000, v2
	v_lshl_add_u32 v2, v4, 23, v2
	s_delay_alu instid0(VALU_DEP_1) | instskip(NEXT) | instid1(VALU_DEP_1)
	v_lshl_or_b32 v2, v16, 21, v2
                                        ; implicit-def: $vgpr16
	v_add_nc_u32_e32 v4, 0x38000000, v2
                                        ; implicit-def: $vgpr2
.LBB4_933:                              ;   in Loop: Header=BB4_357 Depth=4
	s_and_not1_saveexec_b32 s72, s72
; %bb.934:                              ;   in Loop: Header=BB4_357 Depth=4
	v_bfe_i32 v2, v2, 0, 8
	s_delay_alu instid0(VALU_DEP_1) | instskip(SKIP_2) | instid1(VALU_DEP_2)
	v_cmp_lt_i16_e32 vcc_lo, -1, v2
	v_cndmask_b32_e32 v2, 0xff800000, v112, vcc_lo
	v_cmp_eq_u32_e32 vcc_lo, 0, v16
	v_cndmask_b32_e32 v4, 0x7f800001, v2, vcc_lo
; %bb.935:                              ;   in Loop: Header=BB4_357 Depth=4
	s_or_b32 exec_lo, exec_lo, s72
.LBB4_936:                              ;   in Loop: Header=BB4_357 Depth=4
	s_delay_alu instid0(SALU_CYCLE_1)
	s_or_b32 exec_lo, exec_lo, s63
.LBB4_937:                              ;   in Loop: Header=BB4_357 Depth=4
	s_delay_alu instid0(SALU_CYCLE_1) | instskip(NEXT) | instid1(VALU_DEP_1)
	s_or_b32 exec_lo, exec_lo, s13
	v_dual_mul_f32 v4, v5, v4 :: v_dual_mov_b32 v17, v3
                                        ; implicit-def: $vgpr43
	s_mov_b32 s13, exec_lo
	s_delay_alu instid0(VALU_DEP_1) | instskip(SKIP_2) | instid1(VALU_DEP_3)
	v_and_b32_e32 v16, 0x7f800000, v4
	v_and_b32_e32 v2, 0x7fffff, v4
	v_lshrrev_b32_e32 v5, 24, v4
	v_cmpx_ne_u64_e32 0x7f800000, v[16:17]
	s_xor_b32 s63, exec_lo, s13
	s_cbranch_execz .LBB4_951
; %bb.938:                              ;   in Loop: Header=BB4_357 Depth=4
	v_and_b32_e32 v16, 0x7fffffff, v4
	v_mov_b32_e32 v17, v3
	v_and_b32_e32 v100, 0x80, v5
                                        ; implicit-def: $vgpr43
	s_mov_b32 s13, exec_lo
	s_delay_alu instid0(VALU_DEP_2)
	v_cmpx_gt_u64_e32 0x47600001, v[16:17]
	s_xor_b32 s72, exec_lo, s13
	s_cbranch_execz .LBB4_948
; %bb.939:                              ;   in Loop: Header=BB4_357 Depth=4
	v_mov_b32_e32 v43, 0
	s_mov_b32 s73, exec_lo
	v_cmpx_ne_u32_e32 0, v4
	s_cbranch_execz .LBB4_947
; %bb.940:                              ;   in Loop: Header=BB4_357 Depth=4
	v_bfe_u32 v101, v4, 23, 8
	v_or_b32_e32 v16, 0x800000, v2
	s_delay_alu instid0(VALU_DEP_2) | instskip(SKIP_1) | instid1(VALU_DEP_2)
	v_sub_nc_u32_e32 v4, 0x71, v101
	v_cmp_gt_u32_e32 vcc_lo, 0x72, v101
	v_cndmask_b32_e32 v4, 0, v4, vcc_lo
	v_cmp_eq_u32_e32 vcc_lo, 0, v101
	s_delay_alu instid0(VALU_DEP_2) | instskip(SKIP_1) | instid1(VALU_DEP_2)
	v_cndmask_b32_e64 v102, v4, 0x70, vcc_lo
	v_cndmask_b32_e32 v2, v16, v2, vcc_lo
	v_dual_add_nc_u32 v4, 21, v102 :: v_dual_add_nc_u32 v17, 20, v102
	s_delay_alu instid0(VALU_DEP_1) | instskip(NEXT) | instid1(VALU_DEP_2)
	v_lshlrev_b64_e64 v[4:5], v4, -1
	v_lshlrev_b64_e64 v[16:17], v17, 1
	s_delay_alu instid0(VALU_DEP_2) | instskip(NEXT) | instid1(VALU_DEP_3)
	v_bfi_b32 v73, v5, 0, 0
	v_bfi_b32 v72, v4, 0, v2
	v_lshrrev_b64 v[4:5], v102, v[2:3]
	s_delay_alu instid0(VALU_DEP_2) | instskip(NEXT) | instid1(VALU_DEP_2)
	v_cmp_eq_u64_e64 s13, v[72:73], v[16:17]
	v_mov_b64_e32 v[16:17], v[4:5]
	s_and_saveexec_b32 s74, s13
; %bb.941:                              ;   in Loop: Header=BB4_357 Depth=4
	v_bfe_u32 v2, v4, 21, 1
	s_delay_alu instid0(VALU_DEP_1) | instskip(NEXT) | instid1(VALU_DEP_1)
	v_add_nc_u64_e32 v[16:17], v[4:5], v[2:3]
	v_add_nc_u64_e32 v[16:17], -1, v[16:17]
; %bb.942:                              ;   in Loop: Header=BB4_357 Depth=4
	s_or_b32 exec_lo, exec_lo, s74
	v_add_nc_u32_e32 v2, 0xffffff81, v101
	v_lshrrev_b32_e32 v5, 23, v4
	s_mov_b32 s13, exec_lo
	s_delay_alu instid0(VALU_DEP_2) | instskip(NEXT) | instid1(VALU_DEP_1)
	v_cndmask_b32_e64 v2, v2, 0xffffff82, vcc_lo
	v_add3_u32 v17, v102, v2, v5
	v_and_b32_e32 v2, 0x1fffff, v16
                                        ; implicit-def: $vgpr16
	s_delay_alu instid0(VALU_DEP_1) | instskip(NEXT) | instid1(VALU_DEP_1)
	v_dual_add_nc_u32 v101, 14, v17 :: v_dual_add_nc_u32 v2, v2, v4
                                        ; implicit-def: $vgpr4_vgpr5
	v_cmpx_ne_u32_e32 0, v101
	s_xor_b32 s13, exec_lo, s13
; %bb.943:                              ;   in Loop: Header=BB4_357 Depth=4
	s_delay_alu instid0(VALU_DEP_2) | instskip(SKIP_1) | instid1(VALU_DEP_1)
	v_cmp_lt_u64_e32 vcc_lo, 0xffffff, v[2:3]
	v_add_nc_u32_e32 v4, 15, v17
	v_cndmask_b32_e32 v16, v101, v4, vcc_lo
	v_cndmask_b32_e64 v4, 0, 1, vcc_lo
	s_delay_alu instid0(VALU_DEP_1)
	v_lshrrev_b64 v[4:5], v4, v[2:3]
; %bb.944:                              ;   in Loop: Header=BB4_357 Depth=4
	s_and_not1_saveexec_b32 s13, s13
; %bb.945:                              ;   in Loop: Header=BB4_357 Depth=4
	v_mov_b64_e32 v[4:5], v[2:3]
	v_bfe_u32 v16, v2, 23, 1
; %bb.946:                              ;   in Loop: Header=BB4_357 Depth=4
	s_or_b32 exec_lo, exec_lo, s13
	s_delay_alu instid0(VALU_DEP_2) | instskip(NEXT) | instid1(VALU_DEP_2)
	v_lshrrev_b64 v[4:5], 21, v[4:5]
	v_cmp_gt_i32_e32 vcc_lo, 32, v16
	v_min_i32_e32 v2, 31, v16
	v_cmp_eq_u32_e64 s13, 0, v16
	s_delay_alu instid0(VALU_DEP_2) | instskip(SKIP_1) | instid1(VALU_DEP_2)
	v_dual_cndmask_b32 v5, 0, v5 :: v_dual_lshlrev_b32 v2, 2, v2
	v_cndmask_b32_e32 v4, 3, v4, vcc_lo
	v_and_b32_e32 v2, 0xfc, v2
	s_delay_alu instid0(VALU_DEP_2) | instskip(NEXT) | instid1(VALU_DEP_2)
	v_cmp_eq_u64_e32 vcc_lo, 0, v[4:5]
	v_and_or_b32 v2, v4, 3, v2
	s_and_b32 s13, s13, vcc_lo
	s_delay_alu instid0(VALU_DEP_1) | instid1(SALU_CYCLE_1)
	v_cndmask_b32_e64 v2, v2, 0, s13
	s_delay_alu instid0(VALU_DEP_1)
	v_or_b32_e32 v43, v2, v100
.LBB4_947:                              ;   in Loop: Header=BB4_357 Depth=4
	s_or_b32 exec_lo, exec_lo, s73
                                        ; implicit-def: $vgpr100
.LBB4_948:                              ;   in Loop: Header=BB4_357 Depth=4
	s_and_not1_saveexec_b32 s13, s72
; %bb.949:                              ;   in Loop: Header=BB4_357 Depth=4
	v_or_b32_e32 v43, 0x7b, v100
; %bb.950:                              ;   in Loop: Header=BB4_357 Depth=4
	s_or_b32 exec_lo, exec_lo, s13
                                        ; implicit-def: $vgpr4
                                        ; implicit-def: $vgpr5
.LBB4_951:                              ;   in Loop: Header=BB4_357 Depth=4
	s_and_not1_saveexec_b32 s13, s63
	s_cbranch_execz .LBB4_957
; %bb.952:                              ;   in Loop: Header=BB4_357 Depth=4
	s_mov_b32 s63, exec_lo
                                        ; implicit-def: $vgpr43
	v_cmpx_ne_u64_e32 0, v[2:3]
	s_xor_b32 s63, exec_lo, s63
; %bb.953:                              ;   in Loop: Header=BB4_357 Depth=4
	v_or_b32_e32 v43, 0x7f, v5
                                        ; implicit-def: $vgpr4
; %bb.954:                              ;   in Loop: Header=BB4_357 Depth=4
	s_and_not1_saveexec_b32 s63, s63
; %bb.955:                              ;   in Loop: Header=BB4_357 Depth=4
	v_cmp_lt_i32_e32 vcc_lo, -1, v4
	v_cndmask_b32_e32 v43, 0xfc, v113, vcc_lo
; %bb.956:                              ;   in Loop: Header=BB4_357 Depth=4
	s_or_b32 exec_lo, exec_lo, s63
.LBB4_957:                              ;   in Loop: Header=BB4_357 Depth=4
	s_delay_alu instid0(SALU_CYCLE_1)
	s_or_b32 exec_lo, exec_lo, s13
	v_dual_mov_b32 v4, 0 :: v_dual_mov_b32 v5, 0
	s_mov_b32 s13, exec_lo
	v_cmpx_lt_u64_e64 s[22:23], v[22:23]
	s_cbranch_execz .LBB4_967
; %bb.958:                              ;   in Loop: Header=BB4_357 Depth=4
	v_lshrrev_b32_e32 v2, 24, v23
	v_bfrev_b32_e32 v5, 1
	s_mov_b32 s63, exec_lo
	s_delay_alu instid0(VALU_DEP_2)
	v_cmpx_ne_u32_e32 0x80, v2
	s_cbranch_execz .LBB4_966
; %bb.959:                              ;   in Loop: Header=BB4_357 Depth=4
	v_and_b32_e32 v5, 0x7c000000, v23
	v_bfe_u32 v16, v23, 24, 2
	s_delay_alu instid0(VALU_DEP_2) | instskip(SKIP_1) | instid1(SALU_CYCLE_1)
	v_cmp_ne_u32_e32 vcc_lo, 0x7c000000, v5
                                        ; implicit-def: $vgpr5
	s_and_saveexec_b32 s72, vcc_lo
	s_xor_b32 s72, exec_lo, s72
	s_cbranch_execz .LBB4_963
; %bb.960:                              ;   in Loop: Header=BB4_357 Depth=4
	v_bfe_u32 v5, v23, 26, 5
	s_mov_b32 s73, exec_lo
	s_delay_alu instid0(VALU_DEP_1)
	v_cmpx_eq_u32_e32 0, v5
; %bb.961:                              ;   in Loop: Header=BB4_357 Depth=4
	v_clz_i32_u32_e32 v5, v16
	s_delay_alu instid0(VALU_DEP_1) | instskip(NEXT) | instid1(VALU_DEP_1)
	v_min_u32_e32 v5, 32, v5
	v_subrev_nc_u32_e32 v16, 29, v5
	s_delay_alu instid0(VALU_DEP_1) | instskip(NEXT) | instid1(VALU_DEP_1)
	v_lshlrev_b64_e32 v[16:17], v16, v[2:3]
	v_dual_sub_nc_u32 v5, 30, v5 :: v_dual_bitop2_b32 v16, 3, v16 bitop3:0x40
; %bb.962:                              ;   in Loop: Header=BB4_357 Depth=4
	s_or_b32 exec_lo, exec_lo, s73
	v_and_b32_e32 v2, 0x80000000, v23
                                        ; implicit-def: $vgpr22_vgpr23
	s_delay_alu instid0(VALU_DEP_1) | instskip(NEXT) | instid1(VALU_DEP_1)
	v_lshl_add_u32 v2, v5, 23, v2
	v_lshl_or_b32 v2, v16, 21, v2
                                        ; implicit-def: $vgpr16
	s_delay_alu instid0(VALU_DEP_1)
	v_add_nc_u32_e32 v5, 0x38000000, v2
.LBB4_963:                              ;   in Loop: Header=BB4_357 Depth=4
	s_and_not1_saveexec_b32 s72, s72
; %bb.964:                              ;   in Loop: Header=BB4_357 Depth=4
	v_cmp_lt_i64_e32 vcc_lo, -1, v[22:23]
	v_cndmask_b32_e32 v2, 0xff800000, v112, vcc_lo
	v_cmp_eq_u32_e32 vcc_lo, 0, v16
	s_delay_alu instid0(VALU_DEP_2)
	v_cndmask_b32_e32 v5, 0x7f800001, v2, vcc_lo
; %bb.965:                              ;   in Loop: Header=BB4_357 Depth=4
	s_or_b32 exec_lo, exec_lo, s72
.LBB4_966:                              ;   in Loop: Header=BB4_357 Depth=4
	s_delay_alu instid0(SALU_CYCLE_1)
	s_or_b32 exec_lo, exec_lo, s63
.LBB4_967:                              ;   in Loop: Header=BB4_357 Depth=4
	s_delay_alu instid0(SALU_CYCLE_1) | instskip(NEXT) | instid1(SALU_CYCLE_1)
	s_or_b32 exec_lo, exec_lo, s13
	s_mov_b32 s13, exec_lo
	v_cmpx_lt_u64_e64 s[22:23], v[18:19]
	s_cbranch_execz .LBB4_977
; %bb.968:                              ;   in Loop: Header=BB4_357 Depth=4
	v_lshrrev_b32_e32 v2, 24, v19
	v_bfrev_b32_e32 v4, 1
	s_mov_b32 s63, exec_lo
	s_delay_alu instid0(VALU_DEP_2)
	v_cmpx_ne_u32_e32 0x80, v2
	s_cbranch_execz .LBB4_976
; %bb.969:                              ;   in Loop: Header=BB4_357 Depth=4
	v_and_b32_e32 v4, 0x7c000000, v19
	v_bfe_u32 v16, v19, 24, 2
	s_delay_alu instid0(VALU_DEP_2) | instskip(SKIP_1) | instid1(SALU_CYCLE_1)
	v_cmp_ne_u32_e32 vcc_lo, 0x7c000000, v4
                                        ; implicit-def: $vgpr4
	s_and_saveexec_b32 s72, vcc_lo
	s_xor_b32 s72, exec_lo, s72
	s_cbranch_execz .LBB4_973
; %bb.970:                              ;   in Loop: Header=BB4_357 Depth=4
	v_bfe_u32 v4, v19, 26, 5
	s_mov_b32 s73, exec_lo
	s_delay_alu instid0(VALU_DEP_1)
	v_cmpx_eq_u32_e32 0, v4
; %bb.971:                              ;   in Loop: Header=BB4_357 Depth=4
	v_clz_i32_u32_e32 v4, v16
	s_delay_alu instid0(VALU_DEP_1) | instskip(NEXT) | instid1(VALU_DEP_1)
	v_min_u32_e32 v4, 32, v4
	v_subrev_nc_u32_e32 v16, 29, v4
	v_sub_nc_u32_e32 v4, 30, v4
	s_delay_alu instid0(VALU_DEP_2) | instskip(NEXT) | instid1(VALU_DEP_1)
	v_lshlrev_b64_e32 v[16:17], v16, v[2:3]
	v_and_b32_e32 v16, 3, v16
; %bb.972:                              ;   in Loop: Header=BB4_357 Depth=4
	s_or_b32 exec_lo, exec_lo, s73
	v_and_b32_e32 v2, 0x80000000, v19
                                        ; implicit-def: $vgpr18_vgpr19
	s_delay_alu instid0(VALU_DEP_1) | instskip(NEXT) | instid1(VALU_DEP_1)
	v_lshl_add_u32 v2, v4, 23, v2
	v_lshl_or_b32 v2, v16, 21, v2
                                        ; implicit-def: $vgpr16
	s_delay_alu instid0(VALU_DEP_1)
	v_add_nc_u32_e32 v4, 0x38000000, v2
.LBB4_973:                              ;   in Loop: Header=BB4_357 Depth=4
	s_and_not1_saveexec_b32 s72, s72
; %bb.974:                              ;   in Loop: Header=BB4_357 Depth=4
	v_cmp_lt_i64_e32 vcc_lo, -1, v[18:19]
	v_cndmask_b32_e32 v2, 0xff800000, v112, vcc_lo
	v_cmp_eq_u32_e32 vcc_lo, 0, v16
	s_delay_alu instid0(VALU_DEP_2)
	v_cndmask_b32_e32 v4, 0x7f800001, v2, vcc_lo
; %bb.975:                              ;   in Loop: Header=BB4_357 Depth=4
	s_or_b32 exec_lo, exec_lo, s72
.LBB4_976:                              ;   in Loop: Header=BB4_357 Depth=4
	s_delay_alu instid0(SALU_CYCLE_1)
	s_or_b32 exec_lo, exec_lo, s63
.LBB4_977:                              ;   in Loop: Header=BB4_357 Depth=4
	s_delay_alu instid0(SALU_CYCLE_1) | instskip(NEXT) | instid1(VALU_DEP_1)
	s_or_b32 exec_lo, exec_lo, s13
	v_dual_mul_f32 v4, v5, v4 :: v_dual_mov_b32 v17, v3
                                        ; implicit-def: $vgpr18
	s_mov_b32 s13, exec_lo
	s_delay_alu instid0(VALU_DEP_1) | instskip(SKIP_2) | instid1(VALU_DEP_3)
	v_and_b32_e32 v16, 0x7f800000, v4
	v_and_b32_e32 v2, 0x7fffff, v4
	v_lshrrev_b32_e32 v5, 24, v4
	v_cmpx_ne_u64_e32 0x7f800000, v[16:17]
	s_xor_b32 s63, exec_lo, s13
	s_cbranch_execz .LBB4_991
; %bb.978:                              ;   in Loop: Header=BB4_357 Depth=4
	v_and_b32_e32 v16, 0x7fffffff, v4
	v_mov_b32_e32 v17, v3
	v_and_b32_e32 v19, 0x80, v5
                                        ; implicit-def: $vgpr18
	s_mov_b32 s13, exec_lo
	s_delay_alu instid0(VALU_DEP_2)
	v_cmpx_gt_u64_e32 0x47600001, v[16:17]
	s_xor_b32 s72, exec_lo, s13
	s_cbranch_execz .LBB4_988
; %bb.979:                              ;   in Loop: Header=BB4_357 Depth=4
	v_mov_b32_e32 v18, 0
	s_mov_b32 s73, exec_lo
	v_cmpx_ne_u32_e32 0, v4
	s_cbranch_execz .LBB4_987
; %bb.980:                              ;   in Loop: Header=BB4_357 Depth=4
	v_bfe_u32 v18, v4, 23, 8
	v_or_b32_e32 v16, 0x800000, v2
	s_delay_alu instid0(VALU_DEP_2) | instskip(SKIP_1) | instid1(VALU_DEP_2)
	v_sub_nc_u32_e32 v4, 0x71, v18
	v_cmp_gt_u32_e32 vcc_lo, 0x72, v18
	v_cndmask_b32_e32 v4, 0, v4, vcc_lo
	v_cmp_eq_u32_e32 vcc_lo, 0, v18
	s_delay_alu instid0(VALU_DEP_2) | instskip(SKIP_1) | instid1(VALU_DEP_2)
	v_cndmask_b32_e64 v22, v4, 0x70, vcc_lo
	v_cndmask_b32_e32 v2, v16, v2, vcc_lo
	v_dual_add_nc_u32 v4, 21, v22 :: v_dual_add_nc_u32 v17, 20, v22
	s_delay_alu instid0(VALU_DEP_1) | instskip(NEXT) | instid1(VALU_DEP_2)
	v_lshlrev_b64_e64 v[4:5], v4, -1
	v_lshlrev_b64_e64 v[16:17], v17, 1
	s_delay_alu instid0(VALU_DEP_2) | instskip(NEXT) | instid1(VALU_DEP_3)
	v_bfi_b32 v101, v5, 0, 0
	v_bfi_b32 v100, v4, 0, v2
	v_lshrrev_b64 v[4:5], v22, v[2:3]
	s_delay_alu instid0(VALU_DEP_2) | instskip(NEXT) | instid1(VALU_DEP_2)
	v_cmp_eq_u64_e64 s13, v[100:101], v[16:17]
	v_mov_b64_e32 v[16:17], v[4:5]
	s_and_saveexec_b32 s74, s13
; %bb.981:                              ;   in Loop: Header=BB4_357 Depth=4
	v_bfe_u32 v2, v4, 21, 1
	s_delay_alu instid0(VALU_DEP_1) | instskip(NEXT) | instid1(VALU_DEP_1)
	v_add_nc_u64_e32 v[16:17], v[4:5], v[2:3]
	v_add_nc_u64_e32 v[16:17], -1, v[16:17]
; %bb.982:                              ;   in Loop: Header=BB4_357 Depth=4
	s_or_b32 exec_lo, exec_lo, s74
	v_add_nc_u32_e32 v2, 0xffffff81, v18
	v_lshrrev_b32_e32 v5, 23, v4
	s_mov_b32 s13, exec_lo
	s_delay_alu instid0(VALU_DEP_2) | instskip(NEXT) | instid1(VALU_DEP_1)
	v_cndmask_b32_e64 v2, v2, 0xffffff82, vcc_lo
	v_add3_u32 v17, v22, v2, v5
	v_and_b32_e32 v2, 0x1fffff, v16
                                        ; implicit-def: $vgpr16
	s_delay_alu instid0(VALU_DEP_1) | instskip(NEXT) | instid1(VALU_DEP_1)
	v_dual_add_nc_u32 v18, 14, v17 :: v_dual_add_nc_u32 v2, v2, v4
                                        ; implicit-def: $vgpr4_vgpr5
	v_cmpx_ne_u32_e32 0, v18
	s_xor_b32 s13, exec_lo, s13
; %bb.983:                              ;   in Loop: Header=BB4_357 Depth=4
	s_delay_alu instid0(VALU_DEP_2) | instskip(SKIP_1) | instid1(VALU_DEP_1)
	v_cmp_lt_u64_e32 vcc_lo, 0xffffff, v[2:3]
	v_add_nc_u32_e32 v4, 15, v17
	v_cndmask_b32_e32 v16, v18, v4, vcc_lo
	v_cndmask_b32_e64 v4, 0, 1, vcc_lo
	s_delay_alu instid0(VALU_DEP_1)
	v_lshrrev_b64 v[4:5], v4, v[2:3]
; %bb.984:                              ;   in Loop: Header=BB4_357 Depth=4
	s_and_not1_saveexec_b32 s13, s13
; %bb.985:                              ;   in Loop: Header=BB4_357 Depth=4
	v_mov_b64_e32 v[4:5], v[2:3]
	v_bfe_u32 v16, v2, 23, 1
; %bb.986:                              ;   in Loop: Header=BB4_357 Depth=4
	s_or_b32 exec_lo, exec_lo, s13
	s_delay_alu instid0(VALU_DEP_2) | instskip(NEXT) | instid1(VALU_DEP_2)
	v_lshrrev_b64 v[4:5], 21, v[4:5]
	v_cmp_gt_i32_e32 vcc_lo, 32, v16
	v_min_i32_e32 v2, 31, v16
	v_cmp_eq_u32_e64 s13, 0, v16
	s_delay_alu instid0(VALU_DEP_2) | instskip(SKIP_1) | instid1(VALU_DEP_2)
	v_dual_cndmask_b32 v5, 0, v5 :: v_dual_lshlrev_b32 v2, 2, v2
	v_cndmask_b32_e32 v4, 3, v4, vcc_lo
	v_and_b32_e32 v2, 0xfc, v2
	s_delay_alu instid0(VALU_DEP_2) | instskip(NEXT) | instid1(VALU_DEP_2)
	v_cmp_eq_u64_e32 vcc_lo, 0, v[4:5]
	v_and_or_b32 v2, v4, 3, v2
	s_and_b32 s13, s13, vcc_lo
	s_delay_alu instid0(VALU_DEP_1) | instid1(SALU_CYCLE_1)
	v_cndmask_b32_e64 v2, v2, 0, s13
	s_delay_alu instid0(VALU_DEP_1)
	v_or_b32_e32 v18, v2, v19
.LBB4_987:                              ;   in Loop: Header=BB4_357 Depth=4
	s_or_b32 exec_lo, exec_lo, s73
                                        ; implicit-def: $vgpr19
.LBB4_988:                              ;   in Loop: Header=BB4_357 Depth=4
	s_and_not1_saveexec_b32 s13, s72
; %bb.989:                              ;   in Loop: Header=BB4_357 Depth=4
	v_or_b32_e32 v18, 0x7b, v19
; %bb.990:                              ;   in Loop: Header=BB4_357 Depth=4
	s_or_b32 exec_lo, exec_lo, s13
                                        ; implicit-def: $vgpr4
                                        ; implicit-def: $vgpr5
.LBB4_991:                              ;   in Loop: Header=BB4_357 Depth=4
	s_and_not1_saveexec_b32 s13, s63
	s_cbranch_execz .LBB4_997
; %bb.992:                              ;   in Loop: Header=BB4_357 Depth=4
	s_mov_b32 s63, exec_lo
                                        ; implicit-def: $vgpr18
	v_cmpx_ne_u64_e32 0, v[2:3]
	s_xor_b32 s63, exec_lo, s63
; %bb.993:                              ;   in Loop: Header=BB4_357 Depth=4
	v_or_b32_e32 v18, 0x7f, v5
                                        ; implicit-def: $vgpr4
; %bb.994:                              ;   in Loop: Header=BB4_357 Depth=4
	s_and_not1_saveexec_b32 s63, s63
; %bb.995:                              ;   in Loop: Header=BB4_357 Depth=4
	v_cmp_lt_i32_e32 vcc_lo, -1, v4
	v_cndmask_b32_e32 v18, 0xfc, v113, vcc_lo
; %bb.996:                              ;   in Loop: Header=BB4_357 Depth=4
	s_or_b32 exec_lo, exec_lo, s63
.LBB4_997:                              ;   in Loop: Header=BB4_357 Depth=4
	s_delay_alu instid0(SALU_CYCLE_1) | instskip(SKIP_2) | instid1(VALU_DEP_2)
	s_or_b32 exec_lo, exec_lo, s13
	v_and_b32_e32 v4, 0xff, v12
	v_mov_b32_e32 v2, 0
	v_cmp_ne_u16_e32 vcc_lo, 0, v4
	v_mov_b32_e32 v4, 0
	s_and_saveexec_b32 s13, vcc_lo
	s_cbranch_execz .LBB4_1007
; %bb.998:                              ;   in Loop: Header=BB4_357 Depth=4
	v_bfe_i32 v16, v12, 0, 8
	v_bfrev_b32_e32 v4, 1
	s_mov_b32 s63, exec_lo
	s_delay_alu instid0(VALU_DEP_2)
	v_cmpx_ne_u16_e32 0xff80, v16
	s_cbranch_execz .LBB4_1006
; %bb.999:                              ;   in Loop: Header=BB4_357 Depth=4
	v_and_b32_e32 v4, 0x7c, v12
	v_and_b32_e32 v5, 3, v12
	s_delay_alu instid0(VALU_DEP_2) | instskip(SKIP_1) | instid1(SALU_CYCLE_1)
	v_cmp_ne_u32_e32 vcc_lo, 0x7c, v4
                                        ; implicit-def: $vgpr4
	s_and_saveexec_b32 s72, vcc_lo
	s_xor_b32 s72, exec_lo, s72
	s_cbranch_execz .LBB4_1003
; %bb.1000:                             ;   in Loop: Header=BB4_357 Depth=4
	v_bfe_u32 v4, v12, 2, 5
	s_mov_b32 s73, exec_lo
	s_delay_alu instid0(VALU_DEP_1)
	v_cmpx_eq_u32_e32 0, v4
; %bb.1001:                             ;   in Loop: Header=BB4_357 Depth=4
	v_clz_i32_u32_e32 v4, v5
	s_delay_alu instid0(VALU_DEP_1) | instskip(NEXT) | instid1(VALU_DEP_1)
	v_min_u32_e32 v4, 32, v4
	v_subrev_nc_u32_e32 v5, 29, v4
	v_sub_nc_u32_e32 v4, 30, v4
	s_delay_alu instid0(VALU_DEP_2) | instskip(NEXT) | instid1(VALU_DEP_1)
	v_lshlrev_b64_e32 v[16:17], v5, v[12:13]
	v_and_b32_e32 v5, 3, v16
; %bb.1002:                             ;   in Loop: Header=BB4_357 Depth=4
	s_or_b32 exec_lo, exec_lo, s73
	v_lshlrev_b32_e32 v16, 24, v12
	s_delay_alu instid0(VALU_DEP_1) | instskip(NEXT) | instid1(VALU_DEP_1)
	v_and_b32_e32 v16, 0x80000000, v16
	v_lshl_add_u32 v4, v4, 23, v16
                                        ; implicit-def: $vgpr16
	s_delay_alu instid0(VALU_DEP_1) | instskip(NEXT) | instid1(VALU_DEP_1)
	v_lshl_or_b32 v4, v5, 21, v4
                                        ; implicit-def: $vgpr5
	v_add_nc_u32_e32 v4, 0x38000000, v4
.LBB4_1003:                             ;   in Loop: Header=BB4_357 Depth=4
	s_and_not1_saveexec_b32 s72, s72
; %bb.1004:                             ;   in Loop: Header=BB4_357 Depth=4
	v_cmp_lt_i16_e32 vcc_lo, -1, v16
	v_cndmask_b32_e32 v4, 0xff800000, v112, vcc_lo
	v_cmp_eq_u32_e32 vcc_lo, 0, v5
	s_delay_alu instid0(VALU_DEP_2)
	v_cndmask_b32_e32 v4, 0x7f800001, v4, vcc_lo
; %bb.1005:                             ;   in Loop: Header=BB4_357 Depth=4
	s_or_b32 exec_lo, exec_lo, s72
.LBB4_1006:                             ;   in Loop: Header=BB4_357 Depth=4
	s_delay_alu instid0(SALU_CYCLE_1)
	s_or_b32 exec_lo, exec_lo, s63
.LBB4_1007:                             ;   in Loop: Header=BB4_357 Depth=4
	s_delay_alu instid0(SALU_CYCLE_1) | instskip(SKIP_3) | instid1(VALU_DEP_1)
	s_or_b32 exec_lo, exec_lo, s13
	s_wait_loadcnt 0x0
	v_and_b32_e32 v5, 0xff, v8
	s_mov_b32 s13, exec_lo
	v_cmpx_ne_u16_e32 0, v5
	s_cbranch_execz .LBB4_1017
; %bb.1008:                             ;   in Loop: Header=BB4_357 Depth=4
	v_bfe_i32 v16, v8, 0, 8
	v_bfrev_b32_e32 v2, 1
	s_mov_b32 s63, exec_lo
	s_delay_alu instid0(VALU_DEP_2)
	v_cmpx_ne_u16_e32 0xff80, v16
	s_cbranch_execz .LBB4_1016
; %bb.1009:                             ;   in Loop: Header=BB4_357 Depth=4
	v_and_b32_e32 v2, 0x7c, v8
	v_and_b32_e32 v5, 3, v8
	s_delay_alu instid0(VALU_DEP_2) | instskip(SKIP_1) | instid1(SALU_CYCLE_1)
	v_cmp_ne_u32_e32 vcc_lo, 0x7c, v2
                                        ; implicit-def: $vgpr2
	s_and_saveexec_b32 s72, vcc_lo
	s_xor_b32 s72, exec_lo, s72
	s_cbranch_execz .LBB4_1013
; %bb.1010:                             ;   in Loop: Header=BB4_357 Depth=4
	v_bfe_u32 v2, v8, 2, 5
	s_mov_b32 s73, exec_lo
	s_delay_alu instid0(VALU_DEP_1)
	v_cmpx_eq_u32_e32 0, v2
; %bb.1011:                             ;   in Loop: Header=BB4_357 Depth=4
	v_clz_i32_u32_e32 v2, v5
	s_delay_alu instid0(VALU_DEP_1) | instskip(NEXT) | instid1(VALU_DEP_1)
	v_min_u32_e32 v2, 32, v2
	v_subrev_nc_u32_e32 v5, 29, v2
	s_delay_alu instid0(VALU_DEP_1) | instskip(NEXT) | instid1(VALU_DEP_1)
	v_lshlrev_b64_e32 v[16:17], v5, v[8:9]
	v_dual_sub_nc_u32 v2, 30, v2 :: v_dual_bitop2_b32 v5, 3, v16 bitop3:0x40
; %bb.1012:                             ;   in Loop: Header=BB4_357 Depth=4
	s_or_b32 exec_lo, exec_lo, s73
	v_lshlrev_b32_e32 v16, 24, v8
	s_delay_alu instid0(VALU_DEP_1) | instskip(NEXT) | instid1(VALU_DEP_1)
	v_and_b32_e32 v16, 0x80000000, v16
	v_lshl_add_u32 v2, v2, 23, v16
                                        ; implicit-def: $vgpr16
	s_delay_alu instid0(VALU_DEP_1) | instskip(NEXT) | instid1(VALU_DEP_1)
	v_lshl_or_b32 v2, v5, 21, v2
                                        ; implicit-def: $vgpr5
	v_add_nc_u32_e32 v2, 0x38000000, v2
.LBB4_1013:                             ;   in Loop: Header=BB4_357 Depth=4
	s_and_not1_saveexec_b32 s72, s72
; %bb.1014:                             ;   in Loop: Header=BB4_357 Depth=4
	v_cmp_lt_i16_e32 vcc_lo, -1, v16
	v_cndmask_b32_e32 v2, 0xff800000, v112, vcc_lo
	v_cmp_eq_u32_e32 vcc_lo, 0, v5
	s_delay_alu instid0(VALU_DEP_2)
	v_cndmask_b32_e32 v2, 0x7f800001, v2, vcc_lo
; %bb.1015:                             ;   in Loop: Header=BB4_357 Depth=4
	s_or_b32 exec_lo, exec_lo, s72
.LBB4_1016:                             ;   in Loop: Header=BB4_357 Depth=4
	s_delay_alu instid0(SALU_CYCLE_1)
	s_or_b32 exec_lo, exec_lo, s63
.LBB4_1017:                             ;   in Loop: Header=BB4_357 Depth=4
	s_delay_alu instid0(SALU_CYCLE_1) | instskip(NEXT) | instid1(VALU_DEP_1)
	s_or_b32 exec_lo, exec_lo, s13
	v_dual_mul_f32 v4, v4, v2 :: v_dual_mov_b32 v17, v3
                                        ; implicit-def: $vgpr19
	s_mov_b32 s13, exec_lo
	s_delay_alu instid0(VALU_DEP_1) | instskip(SKIP_2) | instid1(VALU_DEP_3)
	v_and_b32_e32 v16, 0x7f800000, v4
	v_and_b32_e32 v2, 0x7fffff, v4
	v_lshrrev_b32_e32 v5, 24, v4
	v_cmpx_ne_u64_e32 0x7f800000, v[16:17]
	s_xor_b32 s63, exec_lo, s13
	s_cbranch_execz .LBB4_1031
; %bb.1018:                             ;   in Loop: Header=BB4_357 Depth=4
	v_and_b32_e32 v16, 0x7fffffff, v4
	v_mov_b32_e32 v17, v3
	v_and_b32_e32 v22, 0x80, v5
                                        ; implicit-def: $vgpr19
	s_mov_b32 s13, exec_lo
	s_delay_alu instid0(VALU_DEP_2)
	v_cmpx_gt_u64_e32 0x47600001, v[16:17]
	s_xor_b32 s72, exec_lo, s13
	s_cbranch_execz .LBB4_1028
; %bb.1019:                             ;   in Loop: Header=BB4_357 Depth=4
	v_mov_b32_e32 v19, 0
	s_mov_b32 s73, exec_lo
	v_cmpx_ne_u32_e32 0, v4
	s_cbranch_execz .LBB4_1027
; %bb.1020:                             ;   in Loop: Header=BB4_357 Depth=4
	v_bfe_u32 v19, v4, 23, 8
	v_or_b32_e32 v16, 0x800000, v2
	s_delay_alu instid0(VALU_DEP_2) | instskip(SKIP_1) | instid1(VALU_DEP_2)
	v_sub_nc_u32_e32 v4, 0x71, v19
	v_cmp_gt_u32_e32 vcc_lo, 0x72, v19
	v_cndmask_b32_e32 v4, 0, v4, vcc_lo
	v_cmp_eq_u32_e32 vcc_lo, 0, v19
	s_delay_alu instid0(VALU_DEP_2) | instskip(NEXT) | instid1(VALU_DEP_1)
	v_cndmask_b32_e64 v23, v4, 0x70, vcc_lo
	v_dual_cndmask_b32 v2, v16, v2, vcc_lo :: v_dual_add_nc_u32 v4, 21, v23
	v_add_nc_u32_e32 v17, 20, v23
	s_delay_alu instid0(VALU_DEP_2) | instskip(NEXT) | instid1(VALU_DEP_2)
	v_lshlrev_b64_e64 v[4:5], v4, -1
	v_lshlrev_b64_e64 v[16:17], v17, 1
	s_delay_alu instid0(VALU_DEP_2) | instskip(NEXT) | instid1(VALU_DEP_3)
	v_bfi_b32 v101, v5, 0, 0
	v_bfi_b32 v100, v4, 0, v2
	v_lshrrev_b64 v[4:5], v23, v[2:3]
	s_delay_alu instid0(VALU_DEP_2) | instskip(NEXT) | instid1(VALU_DEP_2)
	v_cmp_eq_u64_e64 s13, v[100:101], v[16:17]
	v_mov_b64_e32 v[16:17], v[4:5]
	s_and_saveexec_b32 s74, s13
; %bb.1021:                             ;   in Loop: Header=BB4_357 Depth=4
	v_bfe_u32 v2, v4, 21, 1
	s_delay_alu instid0(VALU_DEP_1) | instskip(NEXT) | instid1(VALU_DEP_1)
	v_add_nc_u64_e32 v[16:17], v[4:5], v[2:3]
	v_add_nc_u64_e32 v[16:17], -1, v[16:17]
; %bb.1022:                             ;   in Loop: Header=BB4_357 Depth=4
	s_or_b32 exec_lo, exec_lo, s74
	v_add_nc_u32_e32 v2, 0xffffff81, v19
	v_lshrrev_b32_e32 v5, 23, v4
	s_mov_b32 s13, exec_lo
	s_delay_alu instid0(VALU_DEP_2) | instskip(NEXT) | instid1(VALU_DEP_1)
	v_cndmask_b32_e64 v2, v2, 0xffffff82, vcc_lo
	v_add3_u32 v17, v23, v2, v5
	v_and_b32_e32 v2, 0x1fffff, v16
                                        ; implicit-def: $vgpr16
	s_delay_alu instid0(VALU_DEP_1) | instskip(NEXT) | instid1(VALU_DEP_1)
	v_dual_add_nc_u32 v19, 14, v17 :: v_dual_add_nc_u32 v2, v2, v4
                                        ; implicit-def: $vgpr4_vgpr5
	v_cmpx_ne_u32_e32 0, v19
	s_xor_b32 s13, exec_lo, s13
; %bb.1023:                             ;   in Loop: Header=BB4_357 Depth=4
	s_delay_alu instid0(VALU_DEP_2) | instskip(SKIP_1) | instid1(VALU_DEP_1)
	v_cmp_lt_u64_e32 vcc_lo, 0xffffff, v[2:3]
	v_add_nc_u32_e32 v4, 15, v17
	v_cndmask_b32_e32 v16, v19, v4, vcc_lo
	v_cndmask_b32_e64 v4, 0, 1, vcc_lo
	s_delay_alu instid0(VALU_DEP_1)
	v_lshrrev_b64 v[4:5], v4, v[2:3]
; %bb.1024:                             ;   in Loop: Header=BB4_357 Depth=4
	s_and_not1_saveexec_b32 s13, s13
; %bb.1025:                             ;   in Loop: Header=BB4_357 Depth=4
	v_mov_b64_e32 v[4:5], v[2:3]
	v_bfe_u32 v16, v2, 23, 1
; %bb.1026:                             ;   in Loop: Header=BB4_357 Depth=4
	s_or_b32 exec_lo, exec_lo, s13
	s_delay_alu instid0(VALU_DEP_2) | instskip(NEXT) | instid1(VALU_DEP_2)
	v_lshrrev_b64 v[4:5], 21, v[4:5]
	v_cmp_gt_i32_e32 vcc_lo, 32, v16
	v_min_i32_e32 v2, 31, v16
	v_cmp_eq_u32_e64 s13, 0, v16
	s_delay_alu instid0(VALU_DEP_2) | instskip(SKIP_1) | instid1(VALU_DEP_2)
	v_dual_cndmask_b32 v5, 0, v5 :: v_dual_lshlrev_b32 v2, 2, v2
	v_cndmask_b32_e32 v4, 3, v4, vcc_lo
	v_and_b32_e32 v2, 0xfc, v2
	s_delay_alu instid0(VALU_DEP_2) | instskip(NEXT) | instid1(VALU_DEP_2)
	v_cmp_eq_u64_e32 vcc_lo, 0, v[4:5]
	v_and_or_b32 v2, v4, 3, v2
	s_and_b32 s13, s13, vcc_lo
	s_delay_alu instid0(VALU_DEP_1) | instid1(SALU_CYCLE_1)
	v_cndmask_b32_e64 v2, v2, 0, s13
	s_delay_alu instid0(VALU_DEP_1)
	v_or_b32_e32 v19, v2, v22
.LBB4_1027:                             ;   in Loop: Header=BB4_357 Depth=4
	s_or_b32 exec_lo, exec_lo, s73
                                        ; implicit-def: $vgpr22
.LBB4_1028:                             ;   in Loop: Header=BB4_357 Depth=4
	s_and_not1_saveexec_b32 s13, s72
; %bb.1029:                             ;   in Loop: Header=BB4_357 Depth=4
	v_or_b32_e32 v19, 0x7b, v22
; %bb.1030:                             ;   in Loop: Header=BB4_357 Depth=4
	s_or_b32 exec_lo, exec_lo, s13
                                        ; implicit-def: $vgpr4
                                        ; implicit-def: $vgpr5
.LBB4_1031:                             ;   in Loop: Header=BB4_357 Depth=4
	s_and_not1_saveexec_b32 s13, s63
	s_cbranch_execz .LBB4_1037
; %bb.1032:                             ;   in Loop: Header=BB4_357 Depth=4
	s_mov_b32 s63, exec_lo
                                        ; implicit-def: $vgpr19
	v_cmpx_ne_u64_e32 0, v[2:3]
	s_xor_b32 s63, exec_lo, s63
; %bb.1033:                             ;   in Loop: Header=BB4_357 Depth=4
	v_or_b32_e32 v19, 0x7f, v5
                                        ; implicit-def: $vgpr4
; %bb.1034:                             ;   in Loop: Header=BB4_357 Depth=4
	s_and_not1_saveexec_b32 s63, s63
; %bb.1035:                             ;   in Loop: Header=BB4_357 Depth=4
	v_cmp_lt_i32_e32 vcc_lo, -1, v4
	v_cndmask_b32_e32 v19, 0xfc, v113, vcc_lo
; %bb.1036:                             ;   in Loop: Header=BB4_357 Depth=4
	s_or_b32 exec_lo, exec_lo, s63
.LBB4_1037:                             ;   in Loop: Header=BB4_357 Depth=4
	s_delay_alu instid0(SALU_CYCLE_1) | instskip(SKIP_3) | instid1(VALU_DEP_2)
	s_or_b32 exec_lo, exec_lo, s13
	v_lshrrev_b16 v2, 8, v12
	v_dual_mov_b32 v4, 0 :: v_dual_mov_b32 v5, 0
	s_mov_b32 s13, exec_lo
	v_cmpx_ne_u16_e32 0, v2
	s_cbranch_execz .LBB4_1047
; %bb.1038:                             ;   in Loop: Header=BB4_357 Depth=4
	v_bfrev_b32_e32 v5, 1
	s_mov_b32 s63, exec_lo
	v_cmpx_ne_u16_e32 0x80, v2
	s_cbranch_execz .LBB4_1046
; %bb.1039:                             ;   in Loop: Header=BB4_357 Depth=4
	v_and_b32_e32 v17, 0xffff, v2
	s_delay_alu instid0(VALU_DEP_1) | instskip(SKIP_1) | instid1(VALU_DEP_2)
	v_and_b32_e32 v5, 0x7c, v17
	v_and_b32_e32 v16, 3, v17
	v_cmp_ne_u32_e32 vcc_lo, 0x7c, v5
                                        ; implicit-def: $vgpr5
	s_and_saveexec_b32 s72, vcc_lo
	s_delay_alu instid0(SALU_CYCLE_1)
	s_xor_b32 s72, exec_lo, s72
	s_cbranch_execz .LBB4_1043
; %bb.1040:                             ;   in Loop: Header=BB4_357 Depth=4
	v_bfe_u32 v5, v17, 2, 5
	s_mov_b32 s73, exec_lo
	s_delay_alu instid0(VALU_DEP_1)
	v_cmpx_eq_u32_e32 0, v5
; %bb.1041:                             ;   in Loop: Header=BB4_357 Depth=4
	v_clz_i32_u32_e32 v5, v16
	s_delay_alu instid0(VALU_DEP_1) | instskip(NEXT) | instid1(VALU_DEP_1)
	v_min_u32_e32 v5, 32, v5
	v_subrev_nc_u32_e32 v16, 29, v5
	s_delay_alu instid0(VALU_DEP_1) | instskip(NEXT) | instid1(VALU_DEP_1)
	v_lshlrev_b64_e32 v[16:17], v16, v[2:3]
	v_dual_sub_nc_u32 v5, 30, v5 :: v_dual_bitop2_b32 v16, 3, v16 bitop3:0x40
; %bb.1042:                             ;   in Loop: Header=BB4_357 Depth=4
	s_or_b32 exec_lo, exec_lo, s73
	v_lshlrev_b32_e32 v2, 16, v12
	s_delay_alu instid0(VALU_DEP_1) | instskip(NEXT) | instid1(VALU_DEP_1)
	v_and_b32_e32 v2, 0x80000000, v2
	v_lshl_add_u32 v2, v5, 23, v2
	s_delay_alu instid0(VALU_DEP_1) | instskip(NEXT) | instid1(VALU_DEP_1)
	v_lshl_or_b32 v2, v16, 21, v2
                                        ; implicit-def: $vgpr16
	v_add_nc_u32_e32 v5, 0x38000000, v2
.LBB4_1043:                             ;   in Loop: Header=BB4_357 Depth=4
	s_and_not1_saveexec_b32 s72, s72
; %bb.1044:                             ;   in Loop: Header=BB4_357 Depth=4
	v_cmp_lt_i16_e32 vcc_lo, -1, v12
	v_cndmask_b32_e32 v2, 0xff800000, v112, vcc_lo
	v_cmp_eq_u32_e32 vcc_lo, 0, v16
	s_delay_alu instid0(VALU_DEP_2)
	v_cndmask_b32_e32 v5, 0x7f800001, v2, vcc_lo
; %bb.1045:                             ;   in Loop: Header=BB4_357 Depth=4
	s_or_b32 exec_lo, exec_lo, s72
.LBB4_1046:                             ;   in Loop: Header=BB4_357 Depth=4
	s_delay_alu instid0(SALU_CYCLE_1)
	s_or_b32 exec_lo, exec_lo, s63
.LBB4_1047:                             ;   in Loop: Header=BB4_357 Depth=4
	s_delay_alu instid0(SALU_CYCLE_1) | instskip(SKIP_2) | instid1(VALU_DEP_1)
	s_or_b32 exec_lo, exec_lo, s13
	v_lshrrev_b16 v2, 8, v8
	s_mov_b32 s13, exec_lo
	v_cmpx_ne_u16_e32 0, v2
	s_cbranch_execz .LBB4_1057
; %bb.1048:                             ;   in Loop: Header=BB4_357 Depth=4
	v_bfrev_b32_e32 v4, 1
	s_mov_b32 s63, exec_lo
	v_cmpx_ne_u16_e32 0x80, v2
	s_cbranch_execz .LBB4_1056
; %bb.1049:                             ;   in Loop: Header=BB4_357 Depth=4
	v_and_b32_e32 v17, 0xffff, v2
	s_delay_alu instid0(VALU_DEP_1) | instskip(SKIP_1) | instid1(VALU_DEP_2)
	v_and_b32_e32 v4, 0x7c, v17
	v_and_b32_e32 v16, 3, v17
	v_cmp_ne_u32_e32 vcc_lo, 0x7c, v4
                                        ; implicit-def: $vgpr4
	s_and_saveexec_b32 s72, vcc_lo
	s_delay_alu instid0(SALU_CYCLE_1)
	s_xor_b32 s72, exec_lo, s72
	s_cbranch_execz .LBB4_1053
; %bb.1050:                             ;   in Loop: Header=BB4_357 Depth=4
	v_bfe_u32 v4, v17, 2, 5
	s_mov_b32 s73, exec_lo
	s_delay_alu instid0(VALU_DEP_1)
	v_cmpx_eq_u32_e32 0, v4
; %bb.1051:                             ;   in Loop: Header=BB4_357 Depth=4
	v_clz_i32_u32_e32 v4, v16
	s_delay_alu instid0(VALU_DEP_1) | instskip(NEXT) | instid1(VALU_DEP_1)
	v_min_u32_e32 v4, 32, v4
	v_subrev_nc_u32_e32 v16, 29, v4
	v_sub_nc_u32_e32 v4, 30, v4
	s_delay_alu instid0(VALU_DEP_2) | instskip(NEXT) | instid1(VALU_DEP_1)
	v_lshlrev_b64_e32 v[16:17], v16, v[2:3]
	v_and_b32_e32 v16, 3, v16
; %bb.1052:                             ;   in Loop: Header=BB4_357 Depth=4
	s_or_b32 exec_lo, exec_lo, s73
	v_lshlrev_b32_e32 v2, 16, v8
	s_delay_alu instid0(VALU_DEP_1) | instskip(NEXT) | instid1(VALU_DEP_1)
	v_and_b32_e32 v2, 0x80000000, v2
	v_lshl_add_u32 v2, v4, 23, v2
	s_delay_alu instid0(VALU_DEP_1) | instskip(NEXT) | instid1(VALU_DEP_1)
	v_lshl_or_b32 v2, v16, 21, v2
                                        ; implicit-def: $vgpr16
	v_add_nc_u32_e32 v4, 0x38000000, v2
.LBB4_1053:                             ;   in Loop: Header=BB4_357 Depth=4
	s_and_not1_saveexec_b32 s72, s72
; %bb.1054:                             ;   in Loop: Header=BB4_357 Depth=4
	v_cmp_lt_i16_e32 vcc_lo, -1, v8
	v_cndmask_b32_e32 v2, 0xff800000, v112, vcc_lo
	v_cmp_eq_u32_e32 vcc_lo, 0, v16
	s_delay_alu instid0(VALU_DEP_2)
	v_cndmask_b32_e32 v4, 0x7f800001, v2, vcc_lo
; %bb.1055:                             ;   in Loop: Header=BB4_357 Depth=4
	s_or_b32 exec_lo, exec_lo, s72
.LBB4_1056:                             ;   in Loop: Header=BB4_357 Depth=4
	s_delay_alu instid0(SALU_CYCLE_1)
	s_or_b32 exec_lo, exec_lo, s63
.LBB4_1057:                             ;   in Loop: Header=BB4_357 Depth=4
	s_delay_alu instid0(SALU_CYCLE_1) | instskip(NEXT) | instid1(VALU_DEP_1)
	s_or_b32 exec_lo, exec_lo, s13
	v_dual_mul_f32 v4, v5, v4 :: v_dual_mov_b32 v17, v3
                                        ; implicit-def: $vgpr22
	s_mov_b32 s13, exec_lo
	s_delay_alu instid0(VALU_DEP_1) | instskip(SKIP_2) | instid1(VALU_DEP_3)
	v_and_b32_e32 v16, 0x7f800000, v4
	v_and_b32_e32 v2, 0x7fffff, v4
	v_lshrrev_b32_e32 v5, 24, v4
	v_cmpx_ne_u64_e32 0x7f800000, v[16:17]
	s_xor_b32 s63, exec_lo, s13
	s_cbranch_execz .LBB4_1071
; %bb.1058:                             ;   in Loop: Header=BB4_357 Depth=4
	v_and_b32_e32 v16, 0x7fffffff, v4
	v_mov_b32_e32 v17, v3
	v_and_b32_e32 v23, 0x80, v5
                                        ; implicit-def: $vgpr22
	s_mov_b32 s13, exec_lo
	s_delay_alu instid0(VALU_DEP_2)
	v_cmpx_gt_u64_e32 0x47600001, v[16:17]
	s_xor_b32 s72, exec_lo, s13
	s_cbranch_execz .LBB4_1068
; %bb.1059:                             ;   in Loop: Header=BB4_357 Depth=4
	v_mov_b32_e32 v22, 0
	s_mov_b32 s73, exec_lo
	v_cmpx_ne_u32_e32 0, v4
	s_cbranch_execz .LBB4_1067
; %bb.1060:                             ;   in Loop: Header=BB4_357 Depth=4
	v_bfe_u32 v22, v4, 23, 8
	v_or_b32_e32 v16, 0x800000, v2
	s_delay_alu instid0(VALU_DEP_2) | instskip(SKIP_1) | instid1(VALU_DEP_2)
	v_sub_nc_u32_e32 v4, 0x71, v22
	v_cmp_gt_u32_e32 vcc_lo, 0x72, v22
	v_cndmask_b32_e32 v4, 0, v4, vcc_lo
	v_cmp_eq_u32_e32 vcc_lo, 0, v22
	v_cndmask_b32_e32 v2, v16, v2, vcc_lo
	s_delay_alu instid0(VALU_DEP_3) | instskip(NEXT) | instid1(VALU_DEP_1)
	v_cndmask_b32_e64 v100, v4, 0x70, vcc_lo
	v_dual_add_nc_u32 v4, 21, v100 :: v_dual_add_nc_u32 v17, 20, v100
	s_delay_alu instid0(VALU_DEP_1) | instskip(NEXT) | instid1(VALU_DEP_2)
	v_lshlrev_b64_e64 v[4:5], v4, -1
	v_lshlrev_b64_e64 v[16:17], v17, 1
	s_delay_alu instid0(VALU_DEP_2) | instskip(NEXT) | instid1(VALU_DEP_3)
	v_bfi_b32 v103, v5, 0, 0
	v_bfi_b32 v102, v4, 0, v2
	v_lshrrev_b64 v[4:5], v100, v[2:3]
	s_delay_alu instid0(VALU_DEP_2) | instskip(NEXT) | instid1(VALU_DEP_2)
	v_cmp_eq_u64_e64 s13, v[102:103], v[16:17]
	v_mov_b64_e32 v[16:17], v[4:5]
	s_and_saveexec_b32 s74, s13
; %bb.1061:                             ;   in Loop: Header=BB4_357 Depth=4
	v_bfe_u32 v2, v4, 21, 1
	s_delay_alu instid0(VALU_DEP_1) | instskip(NEXT) | instid1(VALU_DEP_1)
	v_add_nc_u64_e32 v[16:17], v[4:5], v[2:3]
	v_add_nc_u64_e32 v[16:17], -1, v[16:17]
; %bb.1062:                             ;   in Loop: Header=BB4_357 Depth=4
	s_or_b32 exec_lo, exec_lo, s74
	v_add_nc_u32_e32 v2, 0xffffff81, v22
	v_lshrrev_b32_e32 v5, 23, v4
	s_mov_b32 s13, exec_lo
	s_delay_alu instid0(VALU_DEP_2) | instskip(NEXT) | instid1(VALU_DEP_1)
	v_cndmask_b32_e64 v2, v2, 0xffffff82, vcc_lo
	v_add3_u32 v17, v100, v2, v5
	v_and_b32_e32 v2, 0x1fffff, v16
                                        ; implicit-def: $vgpr16
	s_delay_alu instid0(VALU_DEP_1) | instskip(NEXT) | instid1(VALU_DEP_1)
	v_dual_add_nc_u32 v22, 14, v17 :: v_dual_add_nc_u32 v2, v2, v4
                                        ; implicit-def: $vgpr4_vgpr5
	v_cmpx_ne_u32_e32 0, v22
	s_xor_b32 s13, exec_lo, s13
; %bb.1063:                             ;   in Loop: Header=BB4_357 Depth=4
	s_delay_alu instid0(VALU_DEP_2) | instskip(SKIP_1) | instid1(VALU_DEP_1)
	v_cmp_lt_u64_e32 vcc_lo, 0xffffff, v[2:3]
	v_add_nc_u32_e32 v4, 15, v17
	v_cndmask_b32_e32 v16, v22, v4, vcc_lo
	v_cndmask_b32_e64 v4, 0, 1, vcc_lo
	s_delay_alu instid0(VALU_DEP_1)
	v_lshrrev_b64 v[4:5], v4, v[2:3]
; %bb.1064:                             ;   in Loop: Header=BB4_357 Depth=4
	s_and_not1_saveexec_b32 s13, s13
; %bb.1065:                             ;   in Loop: Header=BB4_357 Depth=4
	v_mov_b64_e32 v[4:5], v[2:3]
	v_bfe_u32 v16, v2, 23, 1
; %bb.1066:                             ;   in Loop: Header=BB4_357 Depth=4
	s_or_b32 exec_lo, exec_lo, s13
	s_delay_alu instid0(VALU_DEP_2) | instskip(NEXT) | instid1(VALU_DEP_2)
	v_lshrrev_b64 v[4:5], 21, v[4:5]
	v_cmp_gt_i32_e32 vcc_lo, 32, v16
	v_min_i32_e32 v2, 31, v16
	v_cmp_eq_u32_e64 s13, 0, v16
	s_delay_alu instid0(VALU_DEP_2) | instskip(SKIP_1) | instid1(VALU_DEP_2)
	v_dual_cndmask_b32 v5, 0, v5 :: v_dual_lshlrev_b32 v2, 2, v2
	v_cndmask_b32_e32 v4, 3, v4, vcc_lo
	v_and_b32_e32 v2, 0xfc, v2
	s_delay_alu instid0(VALU_DEP_2) | instskip(NEXT) | instid1(VALU_DEP_2)
	v_cmp_eq_u64_e32 vcc_lo, 0, v[4:5]
	v_and_or_b32 v2, v4, 3, v2
	s_and_b32 s13, s13, vcc_lo
	s_delay_alu instid0(VALU_DEP_1) | instid1(SALU_CYCLE_1)
	v_cndmask_b32_e64 v2, v2, 0, s13
	s_delay_alu instid0(VALU_DEP_1)
	v_or_b32_e32 v22, v2, v23
.LBB4_1067:                             ;   in Loop: Header=BB4_357 Depth=4
	s_or_b32 exec_lo, exec_lo, s73
                                        ; implicit-def: $vgpr23
.LBB4_1068:                             ;   in Loop: Header=BB4_357 Depth=4
	s_and_not1_saveexec_b32 s13, s72
; %bb.1069:                             ;   in Loop: Header=BB4_357 Depth=4
	v_or_b32_e32 v22, 0x7b, v23
; %bb.1070:                             ;   in Loop: Header=BB4_357 Depth=4
	s_or_b32 exec_lo, exec_lo, s13
                                        ; implicit-def: $vgpr4
                                        ; implicit-def: $vgpr5
.LBB4_1071:                             ;   in Loop: Header=BB4_357 Depth=4
	s_and_not1_saveexec_b32 s13, s63
	s_cbranch_execz .LBB4_1077
; %bb.1072:                             ;   in Loop: Header=BB4_357 Depth=4
	s_mov_b32 s63, exec_lo
                                        ; implicit-def: $vgpr22
	v_cmpx_ne_u64_e32 0, v[2:3]
	s_xor_b32 s63, exec_lo, s63
; %bb.1073:                             ;   in Loop: Header=BB4_357 Depth=4
	v_or_b32_e32 v22, 0x7f, v5
                                        ; implicit-def: $vgpr4
; %bb.1074:                             ;   in Loop: Header=BB4_357 Depth=4
	s_and_not1_saveexec_b32 s63, s63
; %bb.1075:                             ;   in Loop: Header=BB4_357 Depth=4
	v_cmp_lt_i32_e32 vcc_lo, -1, v4
	v_cndmask_b32_e32 v22, 0xfc, v113, vcc_lo
; %bb.1076:                             ;   in Loop: Header=BB4_357 Depth=4
	s_or_b32 exec_lo, exec_lo, s63
.LBB4_1077:                             ;   in Loop: Header=BB4_357 Depth=4
	s_delay_alu instid0(SALU_CYCLE_1) | instskip(SKIP_3) | instid1(VALU_DEP_2)
	s_or_b32 exec_lo, exec_lo, s13
	v_dual_lshrrev_b32 v2, 16, v12 :: v_dual_mov_b32 v4, 0
	v_mov_b32_e32 v5, 0
	s_mov_b32 s13, exec_lo
	v_and_b32_e32 v16, 0xff, v2
	s_delay_alu instid0(VALU_DEP_1)
	v_cmpx_ne_u16_e32 0, v16
	s_cbranch_execz .LBB4_1087
; %bb.1078:                             ;   in Loop: Header=BB4_357 Depth=4
	v_bfrev_b32_e32 v5, 1
	s_mov_b32 s63, exec_lo
	v_cmpx_ne_u16_e32 0x80, v16
	s_cbranch_execz .LBB4_1086
; %bb.1079:                             ;   in Loop: Header=BB4_357 Depth=4
	v_and_b32_e32 v5, 0x7c0000, v12
	v_bfe_u32 v16, v12, 16, 2
	s_delay_alu instid0(VALU_DEP_2) | instskip(SKIP_1) | instid1(SALU_CYCLE_1)
	v_cmp_ne_u32_e32 vcc_lo, 0x7c0000, v5
                                        ; implicit-def: $vgpr5
	s_and_saveexec_b32 s72, vcc_lo
	s_xor_b32 s72, exec_lo, s72
	s_cbranch_execz .LBB4_1083
; %bb.1080:                             ;   in Loop: Header=BB4_357 Depth=4
	v_bfe_u32 v5, v12, 18, 5
	s_mov_b32 s73, exec_lo
	s_delay_alu instid0(VALU_DEP_1)
	v_cmpx_eq_u32_e32 0, v5
; %bb.1081:                             ;   in Loop: Header=BB4_357 Depth=4
	v_clz_i32_u32_e32 v5, v16
	s_delay_alu instid0(VALU_DEP_1) | instskip(NEXT) | instid1(VALU_DEP_1)
	v_min_u32_e32 v5, 32, v5
	v_subrev_nc_u32_e32 v16, 29, v5
	s_delay_alu instid0(VALU_DEP_1) | instskip(NEXT) | instid1(VALU_DEP_1)
	v_lshlrev_b64_e32 v[16:17], v16, v[2:3]
	v_dual_sub_nc_u32 v5, 30, v5 :: v_dual_bitop2_b32 v16, 3, v16 bitop3:0x40
; %bb.1082:                             ;   in Loop: Header=BB4_357 Depth=4
	s_or_b32 exec_lo, exec_lo, s73
	v_lshlrev_b32_e32 v2, 24, v2
	s_delay_alu instid0(VALU_DEP_1) | instskip(NEXT) | instid1(VALU_DEP_1)
	v_and_b32_e32 v2, 0x80000000, v2
	v_lshl_add_u32 v2, v5, 23, v2
	s_delay_alu instid0(VALU_DEP_1) | instskip(NEXT) | instid1(VALU_DEP_1)
	v_lshl_or_b32 v2, v16, 21, v2
                                        ; implicit-def: $vgpr16
	v_add_nc_u32_e32 v5, 0x38000000, v2
                                        ; implicit-def: $vgpr2
.LBB4_1083:                             ;   in Loop: Header=BB4_357 Depth=4
	s_and_not1_saveexec_b32 s72, s72
; %bb.1084:                             ;   in Loop: Header=BB4_357 Depth=4
	v_bfe_i32 v2, v2, 0, 8
	s_delay_alu instid0(VALU_DEP_1) | instskip(SKIP_2) | instid1(VALU_DEP_2)
	v_cmp_lt_i16_e32 vcc_lo, -1, v2
	v_cndmask_b32_e32 v2, 0xff800000, v112, vcc_lo
	v_cmp_eq_u32_e32 vcc_lo, 0, v16
	v_cndmask_b32_e32 v5, 0x7f800001, v2, vcc_lo
; %bb.1085:                             ;   in Loop: Header=BB4_357 Depth=4
	s_or_b32 exec_lo, exec_lo, s72
.LBB4_1086:                             ;   in Loop: Header=BB4_357 Depth=4
	s_delay_alu instid0(SALU_CYCLE_1)
	s_or_b32 exec_lo, exec_lo, s63
.LBB4_1087:                             ;   in Loop: Header=BB4_357 Depth=4
	s_delay_alu instid0(SALU_CYCLE_1) | instskip(SKIP_2) | instid1(VALU_DEP_1)
	s_or_b32 exec_lo, exec_lo, s13
	v_lshrrev_b32_e32 v2, 16, v8
	s_mov_b32 s13, exec_lo
	v_and_b32_e32 v16, 0xff, v2
	s_delay_alu instid0(VALU_DEP_1)
	v_cmpx_ne_u16_e32 0, v16
	s_cbranch_execz .LBB4_1097
; %bb.1088:                             ;   in Loop: Header=BB4_357 Depth=4
	v_bfrev_b32_e32 v4, 1
	s_mov_b32 s63, exec_lo
	v_cmpx_ne_u16_e32 0x80, v16
	s_cbranch_execz .LBB4_1096
; %bb.1089:                             ;   in Loop: Header=BB4_357 Depth=4
	v_and_b32_e32 v4, 0x7c0000, v8
	v_bfe_u32 v16, v8, 16, 2
	s_delay_alu instid0(VALU_DEP_2) | instskip(SKIP_1) | instid1(SALU_CYCLE_1)
	v_cmp_ne_u32_e32 vcc_lo, 0x7c0000, v4
                                        ; implicit-def: $vgpr4
	s_and_saveexec_b32 s72, vcc_lo
	s_xor_b32 s72, exec_lo, s72
	s_cbranch_execz .LBB4_1093
; %bb.1090:                             ;   in Loop: Header=BB4_357 Depth=4
	v_bfe_u32 v4, v8, 18, 5
	s_mov_b32 s73, exec_lo
	s_delay_alu instid0(VALU_DEP_1)
	v_cmpx_eq_u32_e32 0, v4
; %bb.1091:                             ;   in Loop: Header=BB4_357 Depth=4
	v_clz_i32_u32_e32 v4, v16
	s_delay_alu instid0(VALU_DEP_1) | instskip(NEXT) | instid1(VALU_DEP_1)
	v_min_u32_e32 v4, 32, v4
	v_subrev_nc_u32_e32 v16, 29, v4
	v_sub_nc_u32_e32 v4, 30, v4
	s_delay_alu instid0(VALU_DEP_2) | instskip(NEXT) | instid1(VALU_DEP_1)
	v_lshlrev_b64_e32 v[16:17], v16, v[2:3]
	v_and_b32_e32 v16, 3, v16
; %bb.1092:                             ;   in Loop: Header=BB4_357 Depth=4
	s_or_b32 exec_lo, exec_lo, s73
	v_lshlrev_b32_e32 v2, 24, v2
	s_delay_alu instid0(VALU_DEP_1) | instskip(NEXT) | instid1(VALU_DEP_1)
	v_and_b32_e32 v2, 0x80000000, v2
	v_lshl_add_u32 v2, v4, 23, v2
	s_delay_alu instid0(VALU_DEP_1) | instskip(NEXT) | instid1(VALU_DEP_1)
	v_lshl_or_b32 v2, v16, 21, v2
                                        ; implicit-def: $vgpr16
	v_add_nc_u32_e32 v4, 0x38000000, v2
                                        ; implicit-def: $vgpr2
.LBB4_1093:                             ;   in Loop: Header=BB4_357 Depth=4
	s_and_not1_saveexec_b32 s72, s72
; %bb.1094:                             ;   in Loop: Header=BB4_357 Depth=4
	v_bfe_i32 v2, v2, 0, 8
	s_delay_alu instid0(VALU_DEP_1) | instskip(SKIP_2) | instid1(VALU_DEP_2)
	v_cmp_lt_i16_e32 vcc_lo, -1, v2
	v_cndmask_b32_e32 v2, 0xff800000, v112, vcc_lo
	v_cmp_eq_u32_e32 vcc_lo, 0, v16
	v_cndmask_b32_e32 v4, 0x7f800001, v2, vcc_lo
; %bb.1095:                             ;   in Loop: Header=BB4_357 Depth=4
	s_or_b32 exec_lo, exec_lo, s72
.LBB4_1096:                             ;   in Loop: Header=BB4_357 Depth=4
	s_delay_alu instid0(SALU_CYCLE_1)
	s_or_b32 exec_lo, exec_lo, s63
.LBB4_1097:                             ;   in Loop: Header=BB4_357 Depth=4
	s_delay_alu instid0(SALU_CYCLE_1) | instskip(NEXT) | instid1(VALU_DEP_1)
	s_or_b32 exec_lo, exec_lo, s13
	v_dual_mul_f32 v4, v5, v4 :: v_dual_mov_b32 v17, v3
                                        ; implicit-def: $vgpr23
	s_mov_b32 s13, exec_lo
	s_delay_alu instid0(VALU_DEP_1) | instskip(SKIP_2) | instid1(VALU_DEP_3)
	v_and_b32_e32 v16, 0x7f800000, v4
	v_and_b32_e32 v2, 0x7fffff, v4
	v_lshrrev_b32_e32 v5, 24, v4
	v_cmpx_ne_u64_e32 0x7f800000, v[16:17]
	s_xor_b32 s63, exec_lo, s13
	s_cbranch_execz .LBB4_1111
; %bb.1098:                             ;   in Loop: Header=BB4_357 Depth=4
	v_and_b32_e32 v16, 0x7fffffff, v4
	v_mov_b32_e32 v17, v3
	v_and_b32_e32 v100, 0x80, v5
                                        ; implicit-def: $vgpr23
	s_mov_b32 s13, exec_lo
	s_delay_alu instid0(VALU_DEP_2)
	v_cmpx_gt_u64_e32 0x47600001, v[16:17]
	s_xor_b32 s72, exec_lo, s13
	s_cbranch_execz .LBB4_1108
; %bb.1099:                             ;   in Loop: Header=BB4_357 Depth=4
	v_mov_b32_e32 v23, 0
	s_mov_b32 s73, exec_lo
	v_cmpx_ne_u32_e32 0, v4
	s_cbranch_execz .LBB4_1107
; %bb.1100:                             ;   in Loop: Header=BB4_357 Depth=4
	v_bfe_u32 v23, v4, 23, 8
	v_or_b32_e32 v16, 0x800000, v2
	s_delay_alu instid0(VALU_DEP_2) | instskip(SKIP_1) | instid1(VALU_DEP_2)
	v_sub_nc_u32_e32 v4, 0x71, v23
	v_cmp_gt_u32_e32 vcc_lo, 0x72, v23
	v_cndmask_b32_e32 v4, 0, v4, vcc_lo
	v_cmp_eq_u32_e32 vcc_lo, 0, v23
	s_delay_alu instid0(VALU_DEP_2) | instskip(NEXT) | instid1(VALU_DEP_1)
	v_cndmask_b32_e64 v101, v4, 0x70, vcc_lo
	v_dual_cndmask_b32 v2, v16, v2, vcc_lo :: v_dual_add_nc_u32 v4, 21, v101
	v_add_nc_u32_e32 v17, 20, v101
	s_delay_alu instid0(VALU_DEP_2) | instskip(NEXT) | instid1(VALU_DEP_2)
	v_lshlrev_b64_e64 v[4:5], v4, -1
	v_lshlrev_b64_e64 v[16:17], v17, 1
	s_delay_alu instid0(VALU_DEP_2) | instskip(NEXT) | instid1(VALU_DEP_3)
	v_bfi_b32 v103, v5, 0, 0
	v_bfi_b32 v102, v4, 0, v2
	v_lshrrev_b64 v[4:5], v101, v[2:3]
	s_delay_alu instid0(VALU_DEP_2) | instskip(NEXT) | instid1(VALU_DEP_2)
	v_cmp_eq_u64_e64 s13, v[102:103], v[16:17]
	v_mov_b64_e32 v[16:17], v[4:5]
	s_and_saveexec_b32 s74, s13
; %bb.1101:                             ;   in Loop: Header=BB4_357 Depth=4
	v_bfe_u32 v2, v4, 21, 1
	s_delay_alu instid0(VALU_DEP_1) | instskip(NEXT) | instid1(VALU_DEP_1)
	v_add_nc_u64_e32 v[16:17], v[4:5], v[2:3]
	v_add_nc_u64_e32 v[16:17], -1, v[16:17]
; %bb.1102:                             ;   in Loop: Header=BB4_357 Depth=4
	s_or_b32 exec_lo, exec_lo, s74
	v_add_nc_u32_e32 v2, 0xffffff81, v23
	v_lshrrev_b32_e32 v5, 23, v4
	s_mov_b32 s13, exec_lo
	s_delay_alu instid0(VALU_DEP_2) | instskip(NEXT) | instid1(VALU_DEP_1)
	v_cndmask_b32_e64 v2, v2, 0xffffff82, vcc_lo
	v_add3_u32 v17, v101, v2, v5
	v_and_b32_e32 v2, 0x1fffff, v16
                                        ; implicit-def: $vgpr16
	s_delay_alu instid0(VALU_DEP_1) | instskip(NEXT) | instid1(VALU_DEP_1)
	v_dual_add_nc_u32 v23, 14, v17 :: v_dual_add_nc_u32 v2, v2, v4
                                        ; implicit-def: $vgpr4_vgpr5
	v_cmpx_ne_u32_e32 0, v23
	s_xor_b32 s13, exec_lo, s13
; %bb.1103:                             ;   in Loop: Header=BB4_357 Depth=4
	s_delay_alu instid0(VALU_DEP_2) | instskip(SKIP_1) | instid1(VALU_DEP_1)
	v_cmp_lt_u64_e32 vcc_lo, 0xffffff, v[2:3]
	v_add_nc_u32_e32 v4, 15, v17
	v_cndmask_b32_e32 v16, v23, v4, vcc_lo
	v_cndmask_b32_e64 v4, 0, 1, vcc_lo
	s_delay_alu instid0(VALU_DEP_1)
	v_lshrrev_b64 v[4:5], v4, v[2:3]
; %bb.1104:                             ;   in Loop: Header=BB4_357 Depth=4
	s_and_not1_saveexec_b32 s13, s13
; %bb.1105:                             ;   in Loop: Header=BB4_357 Depth=4
	v_mov_b64_e32 v[4:5], v[2:3]
	v_bfe_u32 v16, v2, 23, 1
; %bb.1106:                             ;   in Loop: Header=BB4_357 Depth=4
	s_or_b32 exec_lo, exec_lo, s13
	s_delay_alu instid0(VALU_DEP_2) | instskip(NEXT) | instid1(VALU_DEP_2)
	v_lshrrev_b64 v[4:5], 21, v[4:5]
	v_cmp_gt_i32_e32 vcc_lo, 32, v16
	v_min_i32_e32 v2, 31, v16
	v_cmp_eq_u32_e64 s13, 0, v16
	s_delay_alu instid0(VALU_DEP_2) | instskip(SKIP_1) | instid1(VALU_DEP_2)
	v_dual_cndmask_b32 v5, 0, v5 :: v_dual_lshlrev_b32 v2, 2, v2
	v_cndmask_b32_e32 v4, 3, v4, vcc_lo
	v_and_b32_e32 v2, 0xfc, v2
	s_delay_alu instid0(VALU_DEP_2) | instskip(NEXT) | instid1(VALU_DEP_2)
	v_cmp_eq_u64_e32 vcc_lo, 0, v[4:5]
	v_and_or_b32 v2, v4, 3, v2
	s_and_b32 s13, s13, vcc_lo
	s_delay_alu instid0(VALU_DEP_1) | instid1(SALU_CYCLE_1)
	v_cndmask_b32_e64 v2, v2, 0, s13
	s_delay_alu instid0(VALU_DEP_1)
	v_or_b32_e32 v23, v2, v100
.LBB4_1107:                             ;   in Loop: Header=BB4_357 Depth=4
	s_or_b32 exec_lo, exec_lo, s73
                                        ; implicit-def: $vgpr100
.LBB4_1108:                             ;   in Loop: Header=BB4_357 Depth=4
	s_and_not1_saveexec_b32 s13, s72
; %bb.1109:                             ;   in Loop: Header=BB4_357 Depth=4
	v_or_b32_e32 v23, 0x7b, v100
; %bb.1110:                             ;   in Loop: Header=BB4_357 Depth=4
	s_or_b32 exec_lo, exec_lo, s13
                                        ; implicit-def: $vgpr4
                                        ; implicit-def: $vgpr5
.LBB4_1111:                             ;   in Loop: Header=BB4_357 Depth=4
	s_and_not1_saveexec_b32 s13, s63
	s_cbranch_execz .LBB4_1117
; %bb.1112:                             ;   in Loop: Header=BB4_357 Depth=4
	s_mov_b32 s63, exec_lo
                                        ; implicit-def: $vgpr23
	v_cmpx_ne_u64_e32 0, v[2:3]
	s_xor_b32 s63, exec_lo, s63
; %bb.1113:                             ;   in Loop: Header=BB4_357 Depth=4
	v_or_b32_e32 v23, 0x7f, v5
                                        ; implicit-def: $vgpr4
; %bb.1114:                             ;   in Loop: Header=BB4_357 Depth=4
	s_and_not1_saveexec_b32 s63, s63
; %bb.1115:                             ;   in Loop: Header=BB4_357 Depth=4
	v_cmp_lt_i32_e32 vcc_lo, -1, v4
	v_cndmask_b32_e32 v23, 0xfc, v113, vcc_lo
; %bb.1116:                             ;   in Loop: Header=BB4_357 Depth=4
	s_or_b32 exec_lo, exec_lo, s63
.LBB4_1117:                             ;   in Loop: Header=BB4_357 Depth=4
	s_delay_alu instid0(SALU_CYCLE_1)
	s_or_b32 exec_lo, exec_lo, s13
	v_dual_mov_b32 v4, 0 :: v_dual_mov_b32 v5, 0
	s_mov_b32 s13, exec_lo
	v_cmpx_lt_u32_e32 0xffffff, v12
	s_cbranch_execz .LBB4_1127
; %bb.1118:                             ;   in Loop: Header=BB4_357 Depth=4
	v_lshrrev_b32_e32 v2, 24, v12
	v_bfrev_b32_e32 v5, 1
	s_mov_b32 s63, exec_lo
	s_delay_alu instid0(VALU_DEP_2)
	v_cmpx_ne_u32_e32 0x80, v2
	s_cbranch_execz .LBB4_1126
; %bb.1119:                             ;   in Loop: Header=BB4_357 Depth=4
	v_and_b32_e32 v5, 0x7c000000, v12
	v_bfe_u32 v16, v12, 24, 2
	s_delay_alu instid0(VALU_DEP_2) | instskip(SKIP_1) | instid1(SALU_CYCLE_1)
	v_cmp_ne_u32_e32 vcc_lo, 0x7c000000, v5
                                        ; implicit-def: $vgpr5
	s_and_saveexec_b32 s72, vcc_lo
	s_xor_b32 s72, exec_lo, s72
	s_cbranch_execz .LBB4_1123
; %bb.1120:                             ;   in Loop: Header=BB4_357 Depth=4
	v_bfe_u32 v5, v12, 26, 5
	s_mov_b32 s73, exec_lo
	s_delay_alu instid0(VALU_DEP_1)
	v_cmpx_eq_u32_e32 0, v5
; %bb.1121:                             ;   in Loop: Header=BB4_357 Depth=4
	v_clz_i32_u32_e32 v5, v16
	s_delay_alu instid0(VALU_DEP_1) | instskip(NEXT) | instid1(VALU_DEP_1)
	v_min_u32_e32 v5, 32, v5
	v_subrev_nc_u32_e32 v16, 29, v5
	s_delay_alu instid0(VALU_DEP_1) | instskip(NEXT) | instid1(VALU_DEP_1)
	v_lshlrev_b64_e32 v[16:17], v16, v[2:3]
	v_dual_sub_nc_u32 v5, 30, v5 :: v_dual_bitop2_b32 v16, 3, v16 bitop3:0x40
; %bb.1122:                             ;   in Loop: Header=BB4_357 Depth=4
	s_or_b32 exec_lo, exec_lo, s73
	v_and_b32_e32 v2, 0x80000000, v12
	s_delay_alu instid0(VALU_DEP_1) | instskip(NEXT) | instid1(VALU_DEP_1)
	v_lshl_add_u32 v2, v5, 23, v2
	v_lshl_or_b32 v2, v16, 21, v2
                                        ; implicit-def: $vgpr16
	s_delay_alu instid0(VALU_DEP_1)
	v_add_nc_u32_e32 v5, 0x38000000, v2
.LBB4_1123:                             ;   in Loop: Header=BB4_357 Depth=4
	s_and_not1_saveexec_b32 s72, s72
; %bb.1124:                             ;   in Loop: Header=BB4_357 Depth=4
	v_cmp_lt_i32_e32 vcc_lo, -1, v12
	v_cndmask_b32_e32 v2, 0xff800000, v112, vcc_lo
	v_cmp_eq_u32_e32 vcc_lo, 0, v16
	s_delay_alu instid0(VALU_DEP_2)
	v_cndmask_b32_e32 v5, 0x7f800001, v2, vcc_lo
; %bb.1125:                             ;   in Loop: Header=BB4_357 Depth=4
	s_or_b32 exec_lo, exec_lo, s72
.LBB4_1126:                             ;   in Loop: Header=BB4_357 Depth=4
	s_delay_alu instid0(SALU_CYCLE_1)
	s_or_b32 exec_lo, exec_lo, s63
.LBB4_1127:                             ;   in Loop: Header=BB4_357 Depth=4
	s_delay_alu instid0(SALU_CYCLE_1) | instskip(NEXT) | instid1(SALU_CYCLE_1)
	s_or_b32 exec_lo, exec_lo, s13
	s_mov_b32 s13, exec_lo
	v_cmpx_lt_u32_e32 0xffffff, v8
	s_cbranch_execz .LBB4_1137
; %bb.1128:                             ;   in Loop: Header=BB4_357 Depth=4
	v_lshrrev_b32_e32 v2, 24, v8
	v_bfrev_b32_e32 v4, 1
	s_mov_b32 s63, exec_lo
	s_delay_alu instid0(VALU_DEP_2)
	v_cmpx_ne_u32_e32 0x80, v2
	s_cbranch_execz .LBB4_1136
; %bb.1129:                             ;   in Loop: Header=BB4_357 Depth=4
	v_and_b32_e32 v4, 0x7c000000, v8
	v_bfe_u32 v16, v8, 24, 2
	s_delay_alu instid0(VALU_DEP_2) | instskip(SKIP_1) | instid1(SALU_CYCLE_1)
	v_cmp_ne_u32_e32 vcc_lo, 0x7c000000, v4
                                        ; implicit-def: $vgpr4
	s_and_saveexec_b32 s72, vcc_lo
	s_xor_b32 s72, exec_lo, s72
	s_cbranch_execz .LBB4_1133
; %bb.1130:                             ;   in Loop: Header=BB4_357 Depth=4
	v_bfe_u32 v4, v8, 26, 5
	s_mov_b32 s73, exec_lo
	s_delay_alu instid0(VALU_DEP_1)
	v_cmpx_eq_u32_e32 0, v4
; %bb.1131:                             ;   in Loop: Header=BB4_357 Depth=4
	v_clz_i32_u32_e32 v4, v16
	s_delay_alu instid0(VALU_DEP_1) | instskip(NEXT) | instid1(VALU_DEP_1)
	v_min_u32_e32 v4, 32, v4
	v_subrev_nc_u32_e32 v16, 29, v4
	v_sub_nc_u32_e32 v4, 30, v4
	s_delay_alu instid0(VALU_DEP_2) | instskip(NEXT) | instid1(VALU_DEP_1)
	v_lshlrev_b64_e32 v[16:17], v16, v[2:3]
	v_and_b32_e32 v16, 3, v16
; %bb.1132:                             ;   in Loop: Header=BB4_357 Depth=4
	s_or_b32 exec_lo, exec_lo, s73
	v_and_b32_e32 v2, 0x80000000, v8
	s_delay_alu instid0(VALU_DEP_1) | instskip(NEXT) | instid1(VALU_DEP_1)
	v_lshl_add_u32 v2, v4, 23, v2
	v_lshl_or_b32 v2, v16, 21, v2
                                        ; implicit-def: $vgpr16
	s_delay_alu instid0(VALU_DEP_1)
	v_add_nc_u32_e32 v4, 0x38000000, v2
.LBB4_1133:                             ;   in Loop: Header=BB4_357 Depth=4
	s_and_not1_saveexec_b32 s72, s72
; %bb.1134:                             ;   in Loop: Header=BB4_357 Depth=4
	v_cmp_lt_i32_e32 vcc_lo, -1, v8
	v_cndmask_b32_e32 v2, 0xff800000, v112, vcc_lo
	v_cmp_eq_u32_e32 vcc_lo, 0, v16
	s_delay_alu instid0(VALU_DEP_2)
	v_cndmask_b32_e32 v4, 0x7f800001, v2, vcc_lo
; %bb.1135:                             ;   in Loop: Header=BB4_357 Depth=4
	s_or_b32 exec_lo, exec_lo, s72
.LBB4_1136:                             ;   in Loop: Header=BB4_357 Depth=4
	s_delay_alu instid0(SALU_CYCLE_1)
	s_or_b32 exec_lo, exec_lo, s63
.LBB4_1137:                             ;   in Loop: Header=BB4_357 Depth=4
	s_delay_alu instid0(SALU_CYCLE_1) | instskip(NEXT) | instid1(VALU_DEP_1)
	s_or_b32 exec_lo, exec_lo, s13
	v_dual_mul_f32 v4, v5, v4 :: v_dual_mov_b32 v17, v3
                                        ; implicit-def: $vgpr100
	s_mov_b32 s13, exec_lo
	s_delay_alu instid0(VALU_DEP_1) | instskip(SKIP_2) | instid1(VALU_DEP_3)
	v_and_b32_e32 v16, 0x7f800000, v4
	v_and_b32_e32 v2, 0x7fffff, v4
	v_lshrrev_b32_e32 v5, 24, v4
	v_cmpx_ne_u64_e32 0x7f800000, v[16:17]
	s_xor_b32 s63, exec_lo, s13
	s_cbranch_execz .LBB4_1151
; %bb.1138:                             ;   in Loop: Header=BB4_357 Depth=4
	v_and_b32_e32 v16, 0x7fffffff, v4
	v_mov_b32_e32 v17, v3
	v_and_b32_e32 v101, 0x80, v5
                                        ; implicit-def: $vgpr100
	s_mov_b32 s13, exec_lo
	s_delay_alu instid0(VALU_DEP_2)
	v_cmpx_gt_u64_e32 0x47600001, v[16:17]
	s_xor_b32 s72, exec_lo, s13
	s_cbranch_execz .LBB4_1148
; %bb.1139:                             ;   in Loop: Header=BB4_357 Depth=4
	v_mov_b32_e32 v100, 0
	s_mov_b32 s73, exec_lo
	v_cmpx_ne_u32_e32 0, v4
	s_cbranch_execz .LBB4_1147
; %bb.1140:                             ;   in Loop: Header=BB4_357 Depth=4
	v_bfe_u32 v100, v4, 23, 8
	v_or_b32_e32 v16, 0x800000, v2
	s_delay_alu instid0(VALU_DEP_2) | instskip(SKIP_1) | instid1(VALU_DEP_2)
	v_sub_nc_u32_e32 v4, 0x71, v100
	v_cmp_gt_u32_e32 vcc_lo, 0x72, v100
	v_cndmask_b32_e32 v4, 0, v4, vcc_lo
	v_cmp_eq_u32_e32 vcc_lo, 0, v100
	s_delay_alu instid0(VALU_DEP_2) | instskip(SKIP_1) | instid1(VALU_DEP_2)
	v_cndmask_b32_e64 v102, v4, 0x70, vcc_lo
	v_cndmask_b32_e32 v2, v16, v2, vcc_lo
	v_dual_add_nc_u32 v4, 21, v102 :: v_dual_add_nc_u32 v17, 20, v102
	s_delay_alu instid0(VALU_DEP_1) | instskip(NEXT) | instid1(VALU_DEP_2)
	v_lshlrev_b64_e64 v[4:5], v4, -1
	v_lshlrev_b64_e64 v[16:17], v17, 1
	s_delay_alu instid0(VALU_DEP_2) | instskip(NEXT) | instid1(VALU_DEP_3)
	v_bfi_b32 v73, v5, 0, 0
	v_bfi_b32 v72, v4, 0, v2
	v_lshrrev_b64 v[4:5], v102, v[2:3]
	s_delay_alu instid0(VALU_DEP_2) | instskip(NEXT) | instid1(VALU_DEP_2)
	v_cmp_eq_u64_e64 s13, v[72:73], v[16:17]
	v_mov_b64_e32 v[16:17], v[4:5]
	s_and_saveexec_b32 s74, s13
; %bb.1141:                             ;   in Loop: Header=BB4_357 Depth=4
	v_bfe_u32 v2, v4, 21, 1
	s_delay_alu instid0(VALU_DEP_1) | instskip(NEXT) | instid1(VALU_DEP_1)
	v_add_nc_u64_e32 v[16:17], v[4:5], v[2:3]
	v_add_nc_u64_e32 v[16:17], -1, v[16:17]
; %bb.1142:                             ;   in Loop: Header=BB4_357 Depth=4
	s_or_b32 exec_lo, exec_lo, s74
	v_add_nc_u32_e32 v2, 0xffffff81, v100
	v_lshrrev_b32_e32 v5, 23, v4
	s_mov_b32 s13, exec_lo
	s_delay_alu instid0(VALU_DEP_2) | instskip(NEXT) | instid1(VALU_DEP_1)
	v_cndmask_b32_e64 v2, v2, 0xffffff82, vcc_lo
	v_add3_u32 v17, v102, v2, v5
	v_and_b32_e32 v2, 0x1fffff, v16
                                        ; implicit-def: $vgpr16
	s_delay_alu instid0(VALU_DEP_1) | instskip(NEXT) | instid1(VALU_DEP_1)
	v_dual_add_nc_u32 v100, 14, v17 :: v_dual_add_nc_u32 v2, v2, v4
                                        ; implicit-def: $vgpr4_vgpr5
	v_cmpx_ne_u32_e32 0, v100
	s_xor_b32 s13, exec_lo, s13
; %bb.1143:                             ;   in Loop: Header=BB4_357 Depth=4
	s_delay_alu instid0(VALU_DEP_2) | instskip(SKIP_1) | instid1(VALU_DEP_1)
	v_cmp_lt_u64_e32 vcc_lo, 0xffffff, v[2:3]
	v_add_nc_u32_e32 v4, 15, v17
	v_cndmask_b32_e32 v16, v100, v4, vcc_lo
	v_cndmask_b32_e64 v4, 0, 1, vcc_lo
	s_delay_alu instid0(VALU_DEP_1)
	v_lshrrev_b64 v[4:5], v4, v[2:3]
; %bb.1144:                             ;   in Loop: Header=BB4_357 Depth=4
	s_and_not1_saveexec_b32 s13, s13
; %bb.1145:                             ;   in Loop: Header=BB4_357 Depth=4
	v_mov_b64_e32 v[4:5], v[2:3]
	v_bfe_u32 v16, v2, 23, 1
; %bb.1146:                             ;   in Loop: Header=BB4_357 Depth=4
	s_or_b32 exec_lo, exec_lo, s13
	s_delay_alu instid0(VALU_DEP_2) | instskip(NEXT) | instid1(VALU_DEP_2)
	v_lshrrev_b64 v[4:5], 21, v[4:5]
	v_cmp_gt_i32_e32 vcc_lo, 32, v16
	v_min_i32_e32 v2, 31, v16
	v_cmp_eq_u32_e64 s13, 0, v16
	s_delay_alu instid0(VALU_DEP_2) | instskip(SKIP_1) | instid1(VALU_DEP_2)
	v_dual_cndmask_b32 v5, 0, v5 :: v_dual_lshlrev_b32 v2, 2, v2
	v_cndmask_b32_e32 v4, 3, v4, vcc_lo
	v_and_b32_e32 v2, 0xfc, v2
	s_delay_alu instid0(VALU_DEP_2) | instskip(NEXT) | instid1(VALU_DEP_2)
	v_cmp_eq_u64_e32 vcc_lo, 0, v[4:5]
	v_and_or_b32 v2, v4, 3, v2
	s_and_b32 s13, s13, vcc_lo
	s_delay_alu instid0(VALU_DEP_1) | instid1(SALU_CYCLE_1)
	v_cndmask_b32_e64 v2, v2, 0, s13
	s_delay_alu instid0(VALU_DEP_1)
	v_or_b32_e32 v100, v2, v101
.LBB4_1147:                             ;   in Loop: Header=BB4_357 Depth=4
	s_or_b32 exec_lo, exec_lo, s73
                                        ; implicit-def: $vgpr101
.LBB4_1148:                             ;   in Loop: Header=BB4_357 Depth=4
	s_and_not1_saveexec_b32 s13, s72
; %bb.1149:                             ;   in Loop: Header=BB4_357 Depth=4
	v_or_b32_e32 v100, 0x7b, v101
; %bb.1150:                             ;   in Loop: Header=BB4_357 Depth=4
	s_or_b32 exec_lo, exec_lo, s13
                                        ; implicit-def: $vgpr4
                                        ; implicit-def: $vgpr5
.LBB4_1151:                             ;   in Loop: Header=BB4_357 Depth=4
	s_and_not1_saveexec_b32 s13, s63
	s_cbranch_execz .LBB4_1157
; %bb.1152:                             ;   in Loop: Header=BB4_357 Depth=4
	s_mov_b32 s63, exec_lo
                                        ; implicit-def: $vgpr100
	v_cmpx_ne_u64_e32 0, v[2:3]
	s_xor_b32 s63, exec_lo, s63
; %bb.1153:                             ;   in Loop: Header=BB4_357 Depth=4
	v_or_b32_e32 v100, 0x7f, v5
                                        ; implicit-def: $vgpr4
; %bb.1154:                             ;   in Loop: Header=BB4_357 Depth=4
	s_and_not1_saveexec_b32 s63, s63
; %bb.1155:                             ;   in Loop: Header=BB4_357 Depth=4
	v_cmp_lt_i32_e32 vcc_lo, -1, v4
	v_cndmask_b32_e32 v100, 0xfc, v113, vcc_lo
; %bb.1156:                             ;   in Loop: Header=BB4_357 Depth=4
	s_or_b32 exec_lo, exec_lo, s63
.LBB4_1157:                             ;   in Loop: Header=BB4_357 Depth=4
	s_delay_alu instid0(SALU_CYCLE_1) | instskip(SKIP_4) | instid1(VALU_DEP_3)
	s_or_b32 exec_lo, exec_lo, s13
	v_and_b32_e32 v16, 0xff, v13
	v_dual_mov_b32 v2, v13 :: v_dual_mov_b32 v5, 0
	v_mov_b32_e32 v4, 0
	s_mov_b32 s13, exec_lo
	v_cmpx_ne_u16_e32 0, v16
	s_cbranch_execz .LBB4_1167
; %bb.1158:                             ;   in Loop: Header=BB4_357 Depth=4
	v_bfrev_b32_e32 v4, 1
	s_mov_b32 s63, exec_lo
	v_cmpx_ne_u16_e32 0x80, v16
	s_cbranch_execz .LBB4_1166
; %bb.1159:                             ;   in Loop: Header=BB4_357 Depth=4
	v_and_b32_e32 v4, 0x7c, v13
	v_and_b32_e32 v16, 3, v13
	s_delay_alu instid0(VALU_DEP_2) | instskip(SKIP_1) | instid1(SALU_CYCLE_1)
	v_cmp_ne_u32_e32 vcc_lo, 0x7c, v4
                                        ; implicit-def: $vgpr4
	s_and_saveexec_b32 s72, vcc_lo
	s_xor_b32 s72, exec_lo, s72
	s_cbranch_execz .LBB4_1163
; %bb.1160:                             ;   in Loop: Header=BB4_357 Depth=4
	v_bfe_u32 v4, v13, 2, 5
	s_mov_b32 s73, exec_lo
	s_delay_alu instid0(VALU_DEP_1)
	v_cmpx_eq_u32_e32 0, v4
; %bb.1161:                             ;   in Loop: Header=BB4_357 Depth=4
	v_clz_i32_u32_e32 v4, v16
	s_delay_alu instid0(VALU_DEP_1) | instskip(NEXT) | instid1(VALU_DEP_1)
	v_min_u32_e32 v4, 32, v4
	v_subrev_nc_u32_e32 v16, 29, v4
	v_sub_nc_u32_e32 v4, 30, v4
	s_delay_alu instid0(VALU_DEP_2) | instskip(NEXT) | instid1(VALU_DEP_1)
	v_lshlrev_b64_e32 v[16:17], v16, v[2:3]
	v_and_b32_e32 v16, 3, v16
; %bb.1162:                             ;   in Loop: Header=BB4_357 Depth=4
	s_or_b32 exec_lo, exec_lo, s73
	v_lshlrev_b32_e32 v17, 24, v13
	s_delay_alu instid0(VALU_DEP_1) | instskip(NEXT) | instid1(VALU_DEP_1)
	v_and_b32_e32 v17, 0x80000000, v17
	v_lshl_add_u32 v4, v4, 23, v17
	s_delay_alu instid0(VALU_DEP_1) | instskip(NEXT) | instid1(VALU_DEP_1)
	v_lshl_or_b32 v4, v16, 21, v4
                                        ; implicit-def: $vgpr16
	v_add_nc_u32_e32 v4, 0x38000000, v4
.LBB4_1163:                             ;   in Loop: Header=BB4_357 Depth=4
	s_and_not1_saveexec_b32 s72, s72
; %bb.1164:                             ;   in Loop: Header=BB4_357 Depth=4
	v_bfe_i32 v4, v13, 0, 8
	s_delay_alu instid0(VALU_DEP_1) | instskip(SKIP_2) | instid1(VALU_DEP_2)
	v_cmp_lt_i16_e32 vcc_lo, -1, v4
	v_cndmask_b32_e32 v4, 0xff800000, v112, vcc_lo
	v_cmp_eq_u32_e32 vcc_lo, 0, v16
	v_cndmask_b32_e32 v4, 0x7f800001, v4, vcc_lo
; %bb.1165:                             ;   in Loop: Header=BB4_357 Depth=4
	s_or_b32 exec_lo, exec_lo, s72
.LBB4_1166:                             ;   in Loop: Header=BB4_357 Depth=4
	s_delay_alu instid0(SALU_CYCLE_1)
	s_or_b32 exec_lo, exec_lo, s63
.LBB4_1167:                             ;   in Loop: Header=BB4_357 Depth=4
	s_delay_alu instid0(SALU_CYCLE_1) | instskip(SKIP_2) | instid1(VALU_DEP_1)
	s_or_b32 exec_lo, exec_lo, s13
	v_and_b32_e32 v16, 0xff, v9
	s_mov_b32 s13, exec_lo
	v_cmpx_ne_u16_e32 0, v16
	s_cbranch_execz .LBB4_1177
; %bb.1168:                             ;   in Loop: Header=BB4_357 Depth=4
	v_bfrev_b32_e32 v5, 1
	s_mov_b32 s63, exec_lo
	v_cmpx_ne_u16_e32 0x80, v16
	s_cbranch_execz .LBB4_1176
; %bb.1169:                             ;   in Loop: Header=BB4_357 Depth=4
	v_and_b32_e32 v5, 0x7c, v9
	v_and_b32_e32 v16, 3, v9
	s_delay_alu instid0(VALU_DEP_2) | instskip(SKIP_1) | instid1(SALU_CYCLE_1)
	v_cmp_ne_u32_e32 vcc_lo, 0x7c, v5
                                        ; implicit-def: $vgpr5
	s_and_saveexec_b32 s72, vcc_lo
	s_xor_b32 s72, exec_lo, s72
	s_cbranch_execz .LBB4_1173
; %bb.1170:                             ;   in Loop: Header=BB4_357 Depth=4
	v_bfe_u32 v5, v9, 2, 5
	s_mov_b32 s73, exec_lo
	s_delay_alu instid0(VALU_DEP_1)
	v_cmpx_eq_u32_e32 0, v5
; %bb.1171:                             ;   in Loop: Header=BB4_357 Depth=4
	v_clz_i32_u32_e32 v5, v16
	v_dual_mov_b32 v16, v9 :: v_dual_mov_b32 v17, v3
	s_delay_alu instid0(VALU_DEP_2) | instskip(NEXT) | instid1(VALU_DEP_1)
	v_min_u32_e32 v5, 32, v5
	v_subrev_nc_u32_e32 v101, 29, v5
	s_delay_alu instid0(VALU_DEP_1) | instskip(NEXT) | instid1(VALU_DEP_1)
	v_lshlrev_b64_e32 v[16:17], v101, v[16:17]
	v_dual_sub_nc_u32 v5, 30, v5 :: v_dual_bitop2_b32 v16, 3, v16 bitop3:0x40
; %bb.1172:                             ;   in Loop: Header=BB4_357 Depth=4
	s_or_b32 exec_lo, exec_lo, s73
	v_lshlrev_b32_e32 v17, 24, v9
	s_delay_alu instid0(VALU_DEP_1) | instskip(NEXT) | instid1(VALU_DEP_1)
	v_and_b32_e32 v17, 0x80000000, v17
	v_lshl_add_u32 v5, v5, 23, v17
	s_delay_alu instid0(VALU_DEP_1) | instskip(NEXT) | instid1(VALU_DEP_1)
	v_lshl_or_b32 v5, v16, 21, v5
                                        ; implicit-def: $vgpr16
	v_add_nc_u32_e32 v5, 0x38000000, v5
.LBB4_1173:                             ;   in Loop: Header=BB4_357 Depth=4
	s_and_not1_saveexec_b32 s72, s72
; %bb.1174:                             ;   in Loop: Header=BB4_357 Depth=4
	v_bfe_i32 v5, v9, 0, 8
	s_delay_alu instid0(VALU_DEP_1) | instskip(SKIP_2) | instid1(VALU_DEP_2)
	v_cmp_lt_i16_e32 vcc_lo, -1, v5
	v_cndmask_b32_e32 v5, 0xff800000, v112, vcc_lo
	v_cmp_eq_u32_e32 vcc_lo, 0, v16
	v_cndmask_b32_e32 v5, 0x7f800001, v5, vcc_lo
; %bb.1175:                             ;   in Loop: Header=BB4_357 Depth=4
	s_or_b32 exec_lo, exec_lo, s72
.LBB4_1176:                             ;   in Loop: Header=BB4_357 Depth=4
	s_delay_alu instid0(SALU_CYCLE_1)
	s_or_b32 exec_lo, exec_lo, s63
.LBB4_1177:                             ;   in Loop: Header=BB4_357 Depth=4
	s_delay_alu instid0(SALU_CYCLE_1) | instskip(NEXT) | instid1(VALU_DEP_1)
	s_or_b32 exec_lo, exec_lo, s13
	v_dual_mul_f32 v16, v4, v5 :: v_dual_mov_b32 v103, v3
	v_mov_b32_e32 v5, v3
                                        ; implicit-def: $vgpr101
	s_mov_b32 s13, exec_lo
	s_delay_alu instid0(VALU_DEP_2) | instskip(SKIP_2) | instid1(VALU_DEP_3)
	v_and_b32_e32 v102, 0x7f800000, v16
	v_and_b32_e32 v4, 0x7fffff, v16
	v_lshrrev_b32_e32 v17, 24, v16
	v_cmpx_ne_u64_e32 0x7f800000, v[102:103]
	s_xor_b32 s63, exec_lo, s13
	s_cbranch_execz .LBB4_1191
; %bb.1178:                             ;   in Loop: Header=BB4_357 Depth=4
	v_and_b32_e32 v102, 0x7fffffff, v16
	v_mov_b32_e32 v103, v3
                                        ; implicit-def: $vgpr101
	s_delay_alu instid0(VALU_DEP_1) | instskip(SKIP_2) | instid1(SALU_CYCLE_1)
	v_cmp_gt_u64_e32 vcc_lo, 0x47600001, v[102:103]
	v_and_b32_e32 v102, 0x80, v17
	s_and_saveexec_b32 s13, vcc_lo
	s_xor_b32 s72, exec_lo, s13
	s_cbranch_execz .LBB4_1188
; %bb.1179:                             ;   in Loop: Header=BB4_357 Depth=4
	v_mov_b32_e32 v101, 0
	s_mov_b32 s73, exec_lo
	v_cmpx_ne_u32_e32 0, v16
	s_cbranch_execz .LBB4_1187
; %bb.1180:                             ;   in Loop: Header=BB4_357 Depth=4
	v_bfe_u32 v101, v16, 23, 8
	v_or_b32_e32 v17, 0x800000, v4
	s_delay_alu instid0(VALU_DEP_2) | instskip(SKIP_2) | instid1(VALU_DEP_2)
	v_cmp_gt_u32_e64 s13, 0x72, v101
	v_sub_nc_u32_e32 v16, 0x71, v101
	v_cmp_eq_u32_e32 vcc_lo, 0, v101
	v_cndmask_b32_e64 v16, 0, v16, s13
	s_delay_alu instid0(VALU_DEP_1) | instskip(NEXT) | instid1(VALU_DEP_1)
	v_cndmask_b32_e64 v103, v16, 0x70, vcc_lo
	v_dual_cndmask_b32 v4, v17, v4, vcc_lo :: v_dual_add_nc_u32 v16, 21, v103
	v_add_nc_u32_e32 v72, 20, v103
	s_delay_alu instid0(VALU_DEP_2) | instskip(NEXT) | instid1(VALU_DEP_2)
	v_lshlrev_b64_e64 v[16:17], v16, -1
	v_lshlrev_b64_e64 v[72:73], v72, 1
	s_delay_alu instid0(VALU_DEP_2) | instskip(SKIP_1) | instid1(VALU_DEP_4)
	v_bfi_b32 v16, v16, 0, v4
	v_lshrrev_b64 v[4:5], v103, v[4:5]
	v_bfi_b32 v17, v17, 0, 0
	s_delay_alu instid0(VALU_DEP_1) | instskip(NEXT) | instid1(VALU_DEP_3)
	v_cmp_eq_u64_e64 s13, v[16:17], v[72:73]
	v_mov_b64_e32 v[16:17], v[4:5]
	s_and_saveexec_b32 s74, s13
; %bb.1181:                             ;   in Loop: Header=BB4_357 Depth=4
	v_bfe_u32 v16, v4, 21, 1
	v_mov_b32_e32 v17, v3
	s_delay_alu instid0(VALU_DEP_1) | instskip(NEXT) | instid1(VALU_DEP_1)
	v_add_nc_u64_e32 v[16:17], v[4:5], v[16:17]
	v_add_nc_u64_e32 v[16:17], -1, v[16:17]
; %bb.1182:                             ;   in Loop: Header=BB4_357 Depth=4
	s_or_b32 exec_lo, exec_lo, s74
	v_add_nc_u32_e32 v5, 0xffffff81, v101
	v_lshrrev_b32_e32 v17, 23, v4
	s_mov_b32 s13, exec_lo
	s_delay_alu instid0(VALU_DEP_2) | instskip(NEXT) | instid1(VALU_DEP_1)
	v_cndmask_b32_e64 v5, v5, 0xffffff82, vcc_lo
	v_add3_u32 v17, v103, v5, v17
	v_and_b32_e32 v5, 0x1fffff, v16
                                        ; implicit-def: $vgpr16
	s_delay_alu instid0(VALU_DEP_1) | instskip(SKIP_1) | instid1(VALU_DEP_2)
	v_dual_add_nc_u32 v101, 14, v17 :: v_dual_add_nc_u32 v4, v5, v4
	v_mov_b32_e32 v5, v3
	v_cmpx_ne_u32_e32 0, v101
	s_xor_b32 s13, exec_lo, s13
; %bb.1183:                             ;   in Loop: Header=BB4_357 Depth=4
	s_delay_alu instid0(VALU_DEP_2) | instskip(SKIP_2) | instid1(VALU_DEP_2)
	v_cmp_lt_u64_e32 vcc_lo, 0xffffff, v[4:5]
	v_add_nc_u32_e32 v16, 15, v17
	v_cndmask_b32_e64 v17, 0, 1, vcc_lo
	v_cndmask_b32_e32 v16, v101, v16, vcc_lo
	s_delay_alu instid0(VALU_DEP_2)
	v_lshrrev_b64 v[4:5], v17, v[4:5]
; %bb.1184:                             ;   in Loop: Header=BB4_357 Depth=4
	s_and_not1_saveexec_b32 s13, s13
; %bb.1185:                             ;   in Loop: Header=BB4_357 Depth=4
	s_delay_alu instid0(VALU_DEP_1)
	v_bfe_u32 v16, v4, 23, 1
; %bb.1186:                             ;   in Loop: Header=BB4_357 Depth=4
	s_or_b32 exec_lo, exec_lo, s13
	s_delay_alu instid0(VALU_DEP_2) | instskip(NEXT) | instid1(VALU_DEP_2)
	v_lshrrev_b64 v[4:5], 21, v[4:5]
	v_cmp_gt_i32_e32 vcc_lo, 32, v16
	v_min_i32_e32 v17, 31, v16
	v_cmp_eq_u32_e64 s13, 0, v16
	s_delay_alu instid0(VALU_DEP_4) | instskip(NEXT) | instid1(VALU_DEP_3)
	v_cndmask_b32_e32 v5, 0, v5, vcc_lo
	v_dual_cndmask_b32 v4, 3, v4 :: v_dual_lshlrev_b32 v17, 2, v17
	s_delay_alu instid0(VALU_DEP_1) | instskip(NEXT) | instid1(VALU_DEP_2)
	v_and_b32_e32 v17, 0xfc, v17
	v_cmp_eq_u64_e32 vcc_lo, 0, v[4:5]
	s_delay_alu instid0(VALU_DEP_2)
	v_and_or_b32 v4, v4, 3, v17
	s_and_b32 s13, s13, vcc_lo
	s_delay_alu instid0(VALU_DEP_1) | instid1(SALU_CYCLE_1)
	v_cndmask_b32_e64 v4, v4, 0, s13
	s_delay_alu instid0(VALU_DEP_1)
	v_or_b32_e32 v101, v4, v102
.LBB4_1187:                             ;   in Loop: Header=BB4_357 Depth=4
	s_or_b32 exec_lo, exec_lo, s73
                                        ; implicit-def: $vgpr102
.LBB4_1188:                             ;   in Loop: Header=BB4_357 Depth=4
	s_and_not1_saveexec_b32 s13, s72
; %bb.1189:                             ;   in Loop: Header=BB4_357 Depth=4
	v_or_b32_e32 v101, 0x7b, v102
; %bb.1190:                             ;   in Loop: Header=BB4_357 Depth=4
	s_or_b32 exec_lo, exec_lo, s13
                                        ; implicit-def: $vgpr16
                                        ; implicit-def: $vgpr4_vgpr5
                                        ; implicit-def: $vgpr17
.LBB4_1191:                             ;   in Loop: Header=BB4_357 Depth=4
	s_and_not1_saveexec_b32 s13, s63
	s_cbranch_execz .LBB4_1197
; %bb.1192:                             ;   in Loop: Header=BB4_357 Depth=4
	s_mov_b32 s63, exec_lo
                                        ; implicit-def: $vgpr101
	v_cmpx_ne_u64_e32 0, v[4:5]
	s_xor_b32 s63, exec_lo, s63
; %bb.1193:                             ;   in Loop: Header=BB4_357 Depth=4
	v_or_b32_e32 v101, 0x7f, v17
                                        ; implicit-def: $vgpr16
; %bb.1194:                             ;   in Loop: Header=BB4_357 Depth=4
	s_and_not1_saveexec_b32 s63, s63
; %bb.1195:                             ;   in Loop: Header=BB4_357 Depth=4
	v_cmp_lt_i32_e32 vcc_lo, -1, v16
	v_cndmask_b32_e32 v101, 0xfc, v113, vcc_lo
; %bb.1196:                             ;   in Loop: Header=BB4_357 Depth=4
	s_or_b32 exec_lo, exec_lo, s63
.LBB4_1197:                             ;   in Loop: Header=BB4_357 Depth=4
	s_delay_alu instid0(SALU_CYCLE_1) | instskip(SKIP_3) | instid1(VALU_DEP_2)
	s_or_b32 exec_lo, exec_lo, s13
	v_lshrrev_b16 v4, 8, v2
	v_dual_mov_b32 v16, 0 :: v_dual_mov_b32 v5, 0
	s_mov_b32 s13, exec_lo
	v_cmpx_ne_u16_e32 0, v4
	s_cbranch_execz .LBB4_1207
; %bb.1198:                             ;   in Loop: Header=BB4_357 Depth=4
	v_bfrev_b32_e32 v5, 1
	s_mov_b32 s63, exec_lo
	v_cmpx_ne_u16_e32 0x80, v4
	s_cbranch_execz .LBB4_1206
; %bb.1199:                             ;   in Loop: Header=BB4_357 Depth=4
	v_and_b32_e32 v102, 0xffff, v4
	s_delay_alu instid0(VALU_DEP_1) | instskip(SKIP_1) | instid1(VALU_DEP_2)
	v_and_b32_e32 v5, 0x7c, v102
	v_and_b32_e32 v17, 3, v102
	v_cmp_ne_u32_e32 vcc_lo, 0x7c, v5
                                        ; implicit-def: $vgpr5
	s_and_saveexec_b32 s72, vcc_lo
	s_delay_alu instid0(SALU_CYCLE_1)
	s_xor_b32 s72, exec_lo, s72
	s_cbranch_execz .LBB4_1203
; %bb.1200:                             ;   in Loop: Header=BB4_357 Depth=4
	v_bfe_u32 v5, v102, 2, 5
	s_mov_b32 s73, exec_lo
	s_delay_alu instid0(VALU_DEP_1)
	v_cmpx_eq_u32_e32 0, v5
; %bb.1201:                             ;   in Loop: Header=BB4_357 Depth=4
	v_clz_i32_u32_e32 v5, v17
	s_delay_alu instid0(VALU_DEP_1) | instskip(SKIP_1) | instid1(VALU_DEP_2)
	v_min_u32_e32 v17, 32, v5
	v_mov_b32_e32 v5, v3
	v_subrev_nc_u32_e32 v102, 29, v17
	s_delay_alu instid0(VALU_DEP_1) | instskip(NEXT) | instid1(VALU_DEP_1)
	v_lshlrev_b64_e32 v[4:5], v102, v[4:5]
	v_dual_sub_nc_u32 v5, 30, v17 :: v_dual_bitop2_b32 v17, 3, v4 bitop3:0x40
; %bb.1202:                             ;   in Loop: Header=BB4_357 Depth=4
	s_or_b32 exec_lo, exec_lo, s73
	v_lshlrev_b32_e32 v2, 16, v2
	s_delay_alu instid0(VALU_DEP_1) | instskip(NEXT) | instid1(VALU_DEP_1)
	v_and_b32_e32 v2, 0x80000000, v2
	v_lshl_add_u32 v2, v5, 23, v2
	s_delay_alu instid0(VALU_DEP_1) | instskip(NEXT) | instid1(VALU_DEP_1)
	v_lshl_or_b32 v2, v17, 21, v2
                                        ; implicit-def: $vgpr17
	v_add_nc_u32_e32 v5, 0x38000000, v2
.LBB4_1203:                             ;   in Loop: Header=BB4_357 Depth=4
	s_and_not1_saveexec_b32 s72, s72
; %bb.1204:                             ;   in Loop: Header=BB4_357 Depth=4
	v_cmp_lt_i16_e32 vcc_lo, -1, v2
	v_cndmask_b32_e32 v2, 0xff800000, v112, vcc_lo
	v_cmp_eq_u32_e32 vcc_lo, 0, v17
	s_delay_alu instid0(VALU_DEP_2)
	v_cndmask_b32_e32 v5, 0x7f800001, v2, vcc_lo
; %bb.1205:                             ;   in Loop: Header=BB4_357 Depth=4
	s_or_b32 exec_lo, exec_lo, s72
.LBB4_1206:                             ;   in Loop: Header=BB4_357 Depth=4
	s_delay_alu instid0(SALU_CYCLE_1)
	s_or_b32 exec_lo, exec_lo, s63
.LBB4_1207:                             ;   in Loop: Header=BB4_357 Depth=4
	s_delay_alu instid0(SALU_CYCLE_1) | instskip(SKIP_2) | instid1(VALU_DEP_1)
	s_or_b32 exec_lo, exec_lo, s13
	v_lshrrev_b16 v2, 8, v9
	s_mov_b32 s13, exec_lo
	v_cmpx_ne_u16_e32 0, v2
	s_cbranch_execz .LBB4_1217
; %bb.1208:                             ;   in Loop: Header=BB4_357 Depth=4
	v_bfrev_b32_e32 v16, 1
	s_mov_b32 s63, exec_lo
	v_cmpx_ne_u16_e32 0x80, v2
	s_cbranch_execz .LBB4_1216
; %bb.1209:                             ;   in Loop: Header=BB4_357 Depth=4
	v_and_b32_e32 v17, 0xffff, v2
	s_delay_alu instid0(VALU_DEP_1) | instskip(SKIP_1) | instid1(VALU_DEP_2)
	v_and_b32_e32 v16, 0x7c, v17
	v_and_b32_e32 v4, 3, v17
	v_cmp_ne_u32_e32 vcc_lo, 0x7c, v16
                                        ; implicit-def: $vgpr16
	s_and_saveexec_b32 s72, vcc_lo
	s_delay_alu instid0(SALU_CYCLE_1)
	s_xor_b32 s72, exec_lo, s72
	s_cbranch_execz .LBB4_1213
; %bb.1210:                             ;   in Loop: Header=BB4_357 Depth=4
	v_bfe_u32 v16, v17, 2, 5
	s_mov_b32 s73, exec_lo
	s_delay_alu instid0(VALU_DEP_1)
	v_cmpx_eq_u32_e32 0, v16
; %bb.1211:                             ;   in Loop: Header=BB4_357 Depth=4
	v_clz_i32_u32_e32 v4, v4
	s_delay_alu instid0(VALU_DEP_1) | instskip(NEXT) | instid1(VALU_DEP_1)
	v_min_u32_e32 v4, 32, v4
	v_subrev_nc_u32_e32 v16, 29, v4
	s_delay_alu instid0(VALU_DEP_1) | instskip(NEXT) | instid1(VALU_DEP_1)
	v_lshlrev_b64_e32 v[102:103], v16, v[2:3]
	v_dual_sub_nc_u32 v16, 30, v4 :: v_dual_bitop2_b32 v4, 3, v102 bitop3:0x40
; %bb.1212:                             ;   in Loop: Header=BB4_357 Depth=4
	s_or_b32 exec_lo, exec_lo, s73
	v_lshlrev_b32_e32 v2, 16, v9
	s_delay_alu instid0(VALU_DEP_1) | instskip(NEXT) | instid1(VALU_DEP_1)
	v_and_b32_e32 v2, 0x80000000, v2
	v_lshl_add_u32 v2, v16, 23, v2
	s_delay_alu instid0(VALU_DEP_1) | instskip(NEXT) | instid1(VALU_DEP_1)
	v_lshl_or_b32 v2, v4, 21, v2
                                        ; implicit-def: $vgpr4
	v_add_nc_u32_e32 v16, 0x38000000, v2
.LBB4_1213:                             ;   in Loop: Header=BB4_357 Depth=4
	s_and_not1_saveexec_b32 s72, s72
; %bb.1214:                             ;   in Loop: Header=BB4_357 Depth=4
	v_cmp_lt_i16_e32 vcc_lo, -1, v9
	v_cndmask_b32_e32 v2, 0xff800000, v112, vcc_lo
	v_cmp_eq_u32_e32 vcc_lo, 0, v4
	s_delay_alu instid0(VALU_DEP_2)
	v_cndmask_b32_e32 v16, 0x7f800001, v2, vcc_lo
; %bb.1215:                             ;   in Loop: Header=BB4_357 Depth=4
	s_or_b32 exec_lo, exec_lo, s72
.LBB4_1216:                             ;   in Loop: Header=BB4_357 Depth=4
	s_delay_alu instid0(SALU_CYCLE_1)
	s_or_b32 exec_lo, exec_lo, s63
.LBB4_1217:                             ;   in Loop: Header=BB4_357 Depth=4
	s_delay_alu instid0(SALU_CYCLE_1) | instskip(NEXT) | instid1(VALU_DEP_1)
	s_or_b32 exec_lo, exec_lo, s13
	v_dual_mul_f32 v4, v5, v16 :: v_dual_mov_b32 v17, v3
                                        ; implicit-def: $vgpr102
	s_mov_b32 s13, exec_lo
	s_delay_alu instid0(VALU_DEP_1) | instskip(SKIP_2) | instid1(VALU_DEP_3)
	v_and_b32_e32 v16, 0x7f800000, v4
	v_and_b32_e32 v2, 0x7fffff, v4
	v_lshrrev_b32_e32 v5, 24, v4
	v_cmpx_ne_u64_e32 0x7f800000, v[16:17]
	s_xor_b32 s63, exec_lo, s13
	s_cbranch_execz .LBB4_1231
; %bb.1218:                             ;   in Loop: Header=BB4_357 Depth=4
	v_and_b32_e32 v16, 0x7fffffff, v4
	v_mov_b32_e32 v17, v3
	v_and_b32_e32 v103, 0x80, v5
                                        ; implicit-def: $vgpr102
	s_mov_b32 s13, exec_lo
	s_delay_alu instid0(VALU_DEP_2)
	v_cmpx_gt_u64_e32 0x47600001, v[16:17]
	s_xor_b32 s72, exec_lo, s13
	s_cbranch_execz .LBB4_1228
; %bb.1219:                             ;   in Loop: Header=BB4_357 Depth=4
	v_mov_b32_e32 v102, 0
	s_mov_b32 s73, exec_lo
	v_cmpx_ne_u32_e32 0, v4
	s_cbranch_execz .LBB4_1227
; %bb.1220:                             ;   in Loop: Header=BB4_357 Depth=4
	v_bfe_u32 v102, v4, 23, 8
	v_or_b32_e32 v5, 0x800000, v2
	s_delay_alu instid0(VALU_DEP_2) | instskip(SKIP_2) | instid1(VALU_DEP_2)
	v_cmp_gt_u32_e64 s13, 0x72, v102
	v_sub_nc_u32_e32 v4, 0x71, v102
	v_cmp_eq_u32_e32 vcc_lo, 0, v102
	v_dual_cndmask_b32 v4, 0, v4, s13 :: v_dual_cndmask_b32 v2, v5, v2, vcc_lo
	s_delay_alu instid0(VALU_DEP_1) | instskip(NEXT) | instid1(VALU_DEP_1)
	v_cndmask_b32_e64 v72, v4, 0x70, vcc_lo
	v_dual_add_nc_u32 v4, 21, v72 :: v_dual_add_nc_u32 v16, 20, v72
	s_delay_alu instid0(VALU_DEP_1) | instskip(NEXT) | instid1(VALU_DEP_2)
	v_lshlrev_b64_e64 v[4:5], v4, -1
	v_lshlrev_b64_e64 v[16:17], v16, 1
	s_delay_alu instid0(VALU_DEP_2) | instskip(NEXT) | instid1(VALU_DEP_3)
	v_bfi_b32 v5, v5, 0, 0
	v_bfi_b32 v4, v4, 0, v2
	s_delay_alu instid0(VALU_DEP_1) | instskip(SKIP_1) | instid1(VALU_DEP_1)
	v_cmp_eq_u64_e64 s13, v[4:5], v[16:17]
	v_lshrrev_b64 v[4:5], v72, v[2:3]
	v_mov_b64_e32 v[16:17], v[4:5]
	s_and_saveexec_b32 s74, s13
; %bb.1221:                             ;   in Loop: Header=BB4_357 Depth=4
	v_bfe_u32 v2, v4, 21, 1
	s_delay_alu instid0(VALU_DEP_1) | instskip(NEXT) | instid1(VALU_DEP_1)
	v_add_nc_u64_e32 v[16:17], v[4:5], v[2:3]
	v_add_nc_u64_e32 v[16:17], -1, v[16:17]
; %bb.1222:                             ;   in Loop: Header=BB4_357 Depth=4
	s_or_b32 exec_lo, exec_lo, s74
	v_add_nc_u32_e32 v2, 0xffffff81, v102
	v_lshrrev_b32_e32 v5, 23, v4
	s_mov_b32 s13, exec_lo
	s_delay_alu instid0(VALU_DEP_2) | instskip(NEXT) | instid1(VALU_DEP_1)
	v_cndmask_b32_e64 v2, v2, 0xffffff82, vcc_lo
	v_add3_u32 v17, v72, v2, v5
	v_and_b32_e32 v2, 0x1fffff, v16
                                        ; implicit-def: $vgpr16
	s_delay_alu instid0(VALU_DEP_1) | instskip(NEXT) | instid1(VALU_DEP_1)
	v_dual_add_nc_u32 v102, 14, v17 :: v_dual_add_nc_u32 v2, v2, v4
                                        ; implicit-def: $vgpr4_vgpr5
	v_cmpx_ne_u32_e32 0, v102
	s_xor_b32 s13, exec_lo, s13
; %bb.1223:                             ;   in Loop: Header=BB4_357 Depth=4
	s_delay_alu instid0(VALU_DEP_2) | instskip(SKIP_1) | instid1(VALU_DEP_1)
	v_cmp_lt_u64_e32 vcc_lo, 0xffffff, v[2:3]
	v_add_nc_u32_e32 v4, 15, v17
	v_cndmask_b32_e32 v16, v102, v4, vcc_lo
	v_cndmask_b32_e64 v4, 0, 1, vcc_lo
	s_delay_alu instid0(VALU_DEP_1)
	v_lshrrev_b64 v[4:5], v4, v[2:3]
; %bb.1224:                             ;   in Loop: Header=BB4_357 Depth=4
	s_and_not1_saveexec_b32 s13, s13
; %bb.1225:                             ;   in Loop: Header=BB4_357 Depth=4
	v_mov_b64_e32 v[4:5], v[2:3]
	v_bfe_u32 v16, v2, 23, 1
; %bb.1226:                             ;   in Loop: Header=BB4_357 Depth=4
	s_or_b32 exec_lo, exec_lo, s13
	s_delay_alu instid0(VALU_DEP_2) | instskip(NEXT) | instid1(VALU_DEP_2)
	v_lshrrev_b64 v[4:5], 21, v[4:5]
	v_cmp_gt_i32_e32 vcc_lo, 32, v16
	v_min_i32_e32 v2, 31, v16
	v_cmp_eq_u32_e64 s13, 0, v16
	s_delay_alu instid0(VALU_DEP_2) | instskip(SKIP_1) | instid1(VALU_DEP_2)
	v_dual_cndmask_b32 v5, 0, v5 :: v_dual_lshlrev_b32 v2, 2, v2
	v_cndmask_b32_e32 v4, 3, v4, vcc_lo
	v_and_b32_e32 v2, 0xfc, v2
	s_delay_alu instid0(VALU_DEP_2) | instskip(NEXT) | instid1(VALU_DEP_2)
	v_cmp_eq_u64_e32 vcc_lo, 0, v[4:5]
	v_and_or_b32 v2, v4, 3, v2
	s_and_b32 s13, s13, vcc_lo
	s_delay_alu instid0(VALU_DEP_1) | instid1(SALU_CYCLE_1)
	v_cndmask_b32_e64 v2, v2, 0, s13
	s_delay_alu instid0(VALU_DEP_1)
	v_or_b32_e32 v102, v2, v103
.LBB4_1227:                             ;   in Loop: Header=BB4_357 Depth=4
	s_or_b32 exec_lo, exec_lo, s73
                                        ; implicit-def: $vgpr103
.LBB4_1228:                             ;   in Loop: Header=BB4_357 Depth=4
	s_and_not1_saveexec_b32 s13, s72
; %bb.1229:                             ;   in Loop: Header=BB4_357 Depth=4
	v_or_b32_e32 v102, 0x7b, v103
; %bb.1230:                             ;   in Loop: Header=BB4_357 Depth=4
	s_or_b32 exec_lo, exec_lo, s13
                                        ; implicit-def: $vgpr4
                                        ; implicit-def: $vgpr5
.LBB4_1231:                             ;   in Loop: Header=BB4_357 Depth=4
	s_and_not1_saveexec_b32 s13, s63
	s_cbranch_execz .LBB4_1237
; %bb.1232:                             ;   in Loop: Header=BB4_357 Depth=4
	s_mov_b32 s63, exec_lo
                                        ; implicit-def: $vgpr102
	v_cmpx_ne_u64_e32 0, v[2:3]
	s_xor_b32 s63, exec_lo, s63
; %bb.1233:                             ;   in Loop: Header=BB4_357 Depth=4
	v_or_b32_e32 v102, 0x7f, v5
                                        ; implicit-def: $vgpr4
; %bb.1234:                             ;   in Loop: Header=BB4_357 Depth=4
	s_and_not1_saveexec_b32 s63, s63
; %bb.1235:                             ;   in Loop: Header=BB4_357 Depth=4
	v_cmp_lt_i32_e32 vcc_lo, -1, v4
	v_cndmask_b32_e32 v102, 0xfc, v113, vcc_lo
; %bb.1236:                             ;   in Loop: Header=BB4_357 Depth=4
	s_or_b32 exec_lo, exec_lo, s63
.LBB4_1237:                             ;   in Loop: Header=BB4_357 Depth=4
	s_delay_alu instid0(SALU_CYCLE_1) | instskip(SKIP_3) | instid1(VALU_DEP_2)
	s_or_b32 exec_lo, exec_lo, s13
	v_dual_lshrrev_b32 v2, 16, v13 :: v_dual_mov_b32 v4, 0
	v_mov_b32_e32 v5, 0
	s_mov_b32 s13, exec_lo
	v_and_b32_e32 v16, 0xff, v2
	s_delay_alu instid0(VALU_DEP_1)
	v_cmpx_ne_u16_e32 0, v16
	s_cbranch_execz .LBB4_1247
; %bb.1238:                             ;   in Loop: Header=BB4_357 Depth=4
	v_bfrev_b32_e32 v5, 1
	s_mov_b32 s63, exec_lo
	v_cmpx_ne_u16_e32 0x80, v16
	s_cbranch_execz .LBB4_1246
; %bb.1239:                             ;   in Loop: Header=BB4_357 Depth=4
	v_and_b32_e32 v5, 0x7c0000, v13
	v_bfe_u32 v16, v13, 16, 2
	s_delay_alu instid0(VALU_DEP_2) | instskip(SKIP_1) | instid1(SALU_CYCLE_1)
	v_cmp_ne_u32_e32 vcc_lo, 0x7c0000, v5
                                        ; implicit-def: $vgpr5
	s_and_saveexec_b32 s72, vcc_lo
	s_xor_b32 s72, exec_lo, s72
	s_cbranch_execz .LBB4_1243
; %bb.1240:                             ;   in Loop: Header=BB4_357 Depth=4
	v_bfe_u32 v5, v13, 18, 5
	s_mov_b32 s73, exec_lo
	s_delay_alu instid0(VALU_DEP_1)
	v_cmpx_eq_u32_e32 0, v5
; %bb.1241:                             ;   in Loop: Header=BB4_357 Depth=4
	v_clz_i32_u32_e32 v5, v16
	s_delay_alu instid0(VALU_DEP_1) | instskip(NEXT) | instid1(VALU_DEP_1)
	v_min_u32_e32 v5, 32, v5
	v_subrev_nc_u32_e32 v16, 29, v5
	s_delay_alu instid0(VALU_DEP_1) | instskip(NEXT) | instid1(VALU_DEP_1)
	v_lshlrev_b64_e32 v[16:17], v16, v[2:3]
	v_dual_sub_nc_u32 v5, 30, v5 :: v_dual_bitop2_b32 v16, 3, v16 bitop3:0x40
; %bb.1242:                             ;   in Loop: Header=BB4_357 Depth=4
	s_or_b32 exec_lo, exec_lo, s73
	v_lshlrev_b32_e32 v2, 24, v2
	s_delay_alu instid0(VALU_DEP_1) | instskip(NEXT) | instid1(VALU_DEP_1)
	v_and_b32_e32 v2, 0x80000000, v2
	v_lshl_add_u32 v2, v5, 23, v2
	s_delay_alu instid0(VALU_DEP_1) | instskip(NEXT) | instid1(VALU_DEP_1)
	v_lshl_or_b32 v2, v16, 21, v2
                                        ; implicit-def: $vgpr16
	v_add_nc_u32_e32 v5, 0x38000000, v2
                                        ; implicit-def: $vgpr2
.LBB4_1243:                             ;   in Loop: Header=BB4_357 Depth=4
	s_and_not1_saveexec_b32 s72, s72
; %bb.1244:                             ;   in Loop: Header=BB4_357 Depth=4
	v_bfe_i32 v2, v2, 0, 8
	s_delay_alu instid0(VALU_DEP_1) | instskip(SKIP_2) | instid1(VALU_DEP_2)
	v_cmp_lt_i16_e32 vcc_lo, -1, v2
	v_cndmask_b32_e32 v2, 0xff800000, v112, vcc_lo
	v_cmp_eq_u32_e32 vcc_lo, 0, v16
	v_cndmask_b32_e32 v5, 0x7f800001, v2, vcc_lo
; %bb.1245:                             ;   in Loop: Header=BB4_357 Depth=4
	s_or_b32 exec_lo, exec_lo, s72
.LBB4_1246:                             ;   in Loop: Header=BB4_357 Depth=4
	s_delay_alu instid0(SALU_CYCLE_1)
	s_or_b32 exec_lo, exec_lo, s63
.LBB4_1247:                             ;   in Loop: Header=BB4_357 Depth=4
	s_delay_alu instid0(SALU_CYCLE_1) | instskip(SKIP_2) | instid1(VALU_DEP_1)
	s_or_b32 exec_lo, exec_lo, s13
	v_lshrrev_b32_e32 v2, 16, v9
	s_mov_b32 s13, exec_lo
	v_and_b32_e32 v16, 0xff, v2
	s_delay_alu instid0(VALU_DEP_1)
	v_cmpx_ne_u16_e32 0, v16
	s_cbranch_execz .LBB4_1257
; %bb.1248:                             ;   in Loop: Header=BB4_357 Depth=4
	v_bfrev_b32_e32 v4, 1
	s_mov_b32 s63, exec_lo
	v_cmpx_ne_u16_e32 0x80, v16
	s_cbranch_execz .LBB4_1256
; %bb.1249:                             ;   in Loop: Header=BB4_357 Depth=4
	v_and_b32_e32 v4, 0x7c0000, v9
	v_bfe_u32 v16, v9, 16, 2
	s_delay_alu instid0(VALU_DEP_2) | instskip(SKIP_1) | instid1(SALU_CYCLE_1)
	v_cmp_ne_u32_e32 vcc_lo, 0x7c0000, v4
                                        ; implicit-def: $vgpr4
	s_and_saveexec_b32 s72, vcc_lo
	s_xor_b32 s72, exec_lo, s72
	s_cbranch_execz .LBB4_1253
; %bb.1250:                             ;   in Loop: Header=BB4_357 Depth=4
	v_bfe_u32 v4, v9, 18, 5
	s_mov_b32 s73, exec_lo
	s_delay_alu instid0(VALU_DEP_1)
	v_cmpx_eq_u32_e32 0, v4
; %bb.1251:                             ;   in Loop: Header=BB4_357 Depth=4
	v_clz_i32_u32_e32 v4, v16
	s_delay_alu instid0(VALU_DEP_1) | instskip(NEXT) | instid1(VALU_DEP_1)
	v_min_u32_e32 v4, 32, v4
	v_subrev_nc_u32_e32 v16, 29, v4
	v_sub_nc_u32_e32 v4, 30, v4
	s_delay_alu instid0(VALU_DEP_2) | instskip(NEXT) | instid1(VALU_DEP_1)
	v_lshlrev_b64_e32 v[16:17], v16, v[2:3]
	v_and_b32_e32 v16, 3, v16
; %bb.1252:                             ;   in Loop: Header=BB4_357 Depth=4
	s_or_b32 exec_lo, exec_lo, s73
	v_lshlrev_b32_e32 v2, 24, v2
	s_delay_alu instid0(VALU_DEP_1) | instskip(NEXT) | instid1(VALU_DEP_1)
	v_and_b32_e32 v2, 0x80000000, v2
	v_lshl_add_u32 v2, v4, 23, v2
	s_delay_alu instid0(VALU_DEP_1) | instskip(NEXT) | instid1(VALU_DEP_1)
	v_lshl_or_b32 v2, v16, 21, v2
                                        ; implicit-def: $vgpr16
	v_add_nc_u32_e32 v4, 0x38000000, v2
                                        ; implicit-def: $vgpr2
.LBB4_1253:                             ;   in Loop: Header=BB4_357 Depth=4
	s_and_not1_saveexec_b32 s72, s72
; %bb.1254:                             ;   in Loop: Header=BB4_357 Depth=4
	v_bfe_i32 v2, v2, 0, 8
	s_delay_alu instid0(VALU_DEP_1) | instskip(SKIP_2) | instid1(VALU_DEP_2)
	v_cmp_lt_i16_e32 vcc_lo, -1, v2
	v_cndmask_b32_e32 v2, 0xff800000, v112, vcc_lo
	v_cmp_eq_u32_e32 vcc_lo, 0, v16
	v_cndmask_b32_e32 v4, 0x7f800001, v2, vcc_lo
; %bb.1255:                             ;   in Loop: Header=BB4_357 Depth=4
	s_or_b32 exec_lo, exec_lo, s72
.LBB4_1256:                             ;   in Loop: Header=BB4_357 Depth=4
	s_delay_alu instid0(SALU_CYCLE_1)
	s_or_b32 exec_lo, exec_lo, s63
.LBB4_1257:                             ;   in Loop: Header=BB4_357 Depth=4
	s_delay_alu instid0(SALU_CYCLE_1) | instskip(NEXT) | instid1(VALU_DEP_1)
	s_or_b32 exec_lo, exec_lo, s13
	v_dual_mul_f32 v4, v5, v4 :: v_dual_mov_b32 v17, v3
	s_delay_alu instid0(VALU_DEP_1) | instskip(SKIP_2) | instid1(VALU_DEP_3)
	v_and_b32_e32 v16, 0x7f800000, v4
	v_and_b32_e32 v2, 0x7fffff, v4
	v_lshrrev_b32_e32 v5, 24, v4
	v_cmp_ne_u64_e32 vcc_lo, 0x7f800000, v[16:17]
                                        ; implicit-def: $vgpr16
	s_and_saveexec_b32 s13, vcc_lo
	s_delay_alu instid0(SALU_CYCLE_1)
	s_xor_b32 s63, exec_lo, s13
	s_cbranch_execz .LBB4_1271
; %bb.1258:                             ;   in Loop: Header=BB4_357 Depth=4
	v_and_b32_e32 v16, 0x7fffffff, v4
	v_mov_b32_e32 v17, v3
	v_and_b32_e32 v103, 0x80, v5
	s_delay_alu instid0(VALU_DEP_2) | instskip(SKIP_1) | instid1(SALU_CYCLE_1)
	v_cmp_gt_u64_e32 vcc_lo, 0x47600001, v[16:17]
                                        ; implicit-def: $vgpr16
	s_and_saveexec_b32 s13, vcc_lo
	s_xor_b32 s72, exec_lo, s13
	s_cbranch_execz .LBB4_1268
; %bb.1259:                             ;   in Loop: Header=BB4_357 Depth=4
	v_mov_b32_e32 v16, 0
	s_mov_b32 s73, exec_lo
	v_cmpx_ne_u32_e32 0, v4
	s_cbranch_execz .LBB4_1267
; %bb.1260:                             ;   in Loop: Header=BB4_357 Depth=4
	v_bfe_u32 v72, v4, 23, 8
	v_or_b32_e32 v5, 0x800000, v2
	s_delay_alu instid0(VALU_DEP_2) | instskip(SKIP_2) | instid1(VALU_DEP_2)
	v_cmp_gt_u32_e64 s13, 0x72, v72
	v_sub_nc_u32_e32 v4, 0x71, v72
	v_cmp_eq_u32_e32 vcc_lo, 0, v72
	v_dual_cndmask_b32 v4, 0, v4, s13 :: v_dual_cndmask_b32 v2, v5, v2, vcc_lo
	s_delay_alu instid0(VALU_DEP_1) | instskip(NEXT) | instid1(VALU_DEP_1)
	v_cndmask_b32_e64 v73, v4, 0x70, vcc_lo
	v_dual_add_nc_u32 v4, 21, v73 :: v_dual_add_nc_u32 v16, 20, v73
	s_delay_alu instid0(VALU_DEP_1) | instskip(NEXT) | instid1(VALU_DEP_2)
	v_lshlrev_b64_e64 v[4:5], v4, -1
	v_lshlrev_b64_e64 v[16:17], v16, 1
	s_delay_alu instid0(VALU_DEP_2) | instskip(NEXT) | instid1(VALU_DEP_3)
	v_bfi_b32 v5, v5, 0, 0
	v_bfi_b32 v4, v4, 0, v2
	s_delay_alu instid0(VALU_DEP_1) | instskip(SKIP_1) | instid1(VALU_DEP_1)
	v_cmp_eq_u64_e64 s13, v[4:5], v[16:17]
	v_lshrrev_b64 v[4:5], v73, v[2:3]
	v_mov_b64_e32 v[16:17], v[4:5]
	s_and_saveexec_b32 s74, s13
; %bb.1261:                             ;   in Loop: Header=BB4_357 Depth=4
	v_bfe_u32 v2, v4, 21, 1
	s_delay_alu instid0(VALU_DEP_1) | instskip(NEXT) | instid1(VALU_DEP_1)
	v_add_nc_u64_e32 v[16:17], v[4:5], v[2:3]
	v_add_nc_u64_e32 v[16:17], -1, v[16:17]
; %bb.1262:                             ;   in Loop: Header=BB4_357 Depth=4
	s_or_b32 exec_lo, exec_lo, s74
	v_add_nc_u32_e32 v2, 0xffffff81, v72
	v_lshrrev_b32_e32 v5, 23, v4
	s_mov_b32 s13, exec_lo
	s_delay_alu instid0(VALU_DEP_2) | instskip(NEXT) | instid1(VALU_DEP_1)
	v_cndmask_b32_e64 v2, v2, 0xffffff82, vcc_lo
	v_add3_u32 v17, v73, v2, v5
	v_and_b32_e32 v2, 0x1fffff, v16
                                        ; implicit-def: $vgpr16
	s_delay_alu instid0(VALU_DEP_1) | instskip(NEXT) | instid1(VALU_DEP_1)
	v_dual_add_nc_u32 v72, 14, v17 :: v_dual_add_nc_u32 v2, v2, v4
                                        ; implicit-def: $vgpr4_vgpr5
	v_cmpx_ne_u32_e32 0, v72
	s_xor_b32 s13, exec_lo, s13
; %bb.1263:                             ;   in Loop: Header=BB4_357 Depth=4
	s_delay_alu instid0(VALU_DEP_2) | instskip(SKIP_1) | instid1(VALU_DEP_1)
	v_cmp_lt_u64_e32 vcc_lo, 0xffffff, v[2:3]
	v_add_nc_u32_e32 v4, 15, v17
	v_cndmask_b32_e32 v16, v72, v4, vcc_lo
	v_cndmask_b32_e64 v4, 0, 1, vcc_lo
	s_delay_alu instid0(VALU_DEP_1)
	v_lshrrev_b64 v[4:5], v4, v[2:3]
; %bb.1264:                             ;   in Loop: Header=BB4_357 Depth=4
	s_and_not1_saveexec_b32 s13, s13
; %bb.1265:                             ;   in Loop: Header=BB4_357 Depth=4
	v_mov_b64_e32 v[4:5], v[2:3]
	v_bfe_u32 v16, v2, 23, 1
; %bb.1266:                             ;   in Loop: Header=BB4_357 Depth=4
	s_or_b32 exec_lo, exec_lo, s13
	s_delay_alu instid0(VALU_DEP_2) | instskip(NEXT) | instid1(VALU_DEP_2)
	v_lshrrev_b64 v[4:5], 21, v[4:5]
	v_cmp_gt_i32_e32 vcc_lo, 32, v16
	v_min_i32_e32 v2, 31, v16
	v_cmp_eq_u32_e64 s13, 0, v16
	s_delay_alu instid0(VALU_DEP_2) | instskip(SKIP_1) | instid1(VALU_DEP_2)
	v_dual_cndmask_b32 v5, 0, v5 :: v_dual_lshlrev_b32 v2, 2, v2
	v_cndmask_b32_e32 v4, 3, v4, vcc_lo
	v_and_b32_e32 v2, 0xfc, v2
	s_delay_alu instid0(VALU_DEP_2) | instskip(NEXT) | instid1(VALU_DEP_2)
	v_cmp_eq_u64_e32 vcc_lo, 0, v[4:5]
	v_and_or_b32 v2, v4, 3, v2
	s_and_b32 s13, s13, vcc_lo
	s_delay_alu instid0(VALU_DEP_1) | instid1(SALU_CYCLE_1)
	v_cndmask_b32_e64 v2, v2, 0, s13
	s_delay_alu instid0(VALU_DEP_1)
	v_or_b32_e32 v16, v2, v103
.LBB4_1267:                             ;   in Loop: Header=BB4_357 Depth=4
	s_or_b32 exec_lo, exec_lo, s73
                                        ; implicit-def: $vgpr103
.LBB4_1268:                             ;   in Loop: Header=BB4_357 Depth=4
	s_and_not1_saveexec_b32 s13, s72
; %bb.1269:                             ;   in Loop: Header=BB4_357 Depth=4
	v_or_b32_e32 v16, 0x7b, v103
; %bb.1270:                             ;   in Loop: Header=BB4_357 Depth=4
	s_or_b32 exec_lo, exec_lo, s13
                                        ; implicit-def: $vgpr4
                                        ; implicit-def: $vgpr5
.LBB4_1271:                             ;   in Loop: Header=BB4_357 Depth=4
	s_and_not1_saveexec_b32 s13, s63
	s_cbranch_execz .LBB4_1277
; %bb.1272:                             ;   in Loop: Header=BB4_357 Depth=4
	s_mov_b32 s63, exec_lo
                                        ; implicit-def: $vgpr16
	v_cmpx_ne_u64_e32 0, v[2:3]
	s_xor_b32 s63, exec_lo, s63
; %bb.1273:                             ;   in Loop: Header=BB4_357 Depth=4
	v_or_b32_e32 v16, 0x7f, v5
                                        ; implicit-def: $vgpr4
; %bb.1274:                             ;   in Loop: Header=BB4_357 Depth=4
	s_and_not1_saveexec_b32 s63, s63
; %bb.1275:                             ;   in Loop: Header=BB4_357 Depth=4
	v_cmp_lt_i32_e32 vcc_lo, -1, v4
	v_cndmask_b32_e32 v16, 0xfc, v113, vcc_lo
; %bb.1276:                             ;   in Loop: Header=BB4_357 Depth=4
	s_or_b32 exec_lo, exec_lo, s63
.LBB4_1277:                             ;   in Loop: Header=BB4_357 Depth=4
	s_delay_alu instid0(SALU_CYCLE_1)
	s_or_b32 exec_lo, exec_lo, s13
	v_dual_mov_b32 v4, 0 :: v_dual_mov_b32 v5, 0
	s_mov_b32 s13, exec_lo
	v_cmpx_lt_u64_e64 s[22:23], v[12:13]
	s_cbranch_execz .LBB4_1287
; %bb.1278:                             ;   in Loop: Header=BB4_357 Depth=4
	v_lshrrev_b32_e32 v2, 24, v13
	v_bfrev_b32_e32 v5, 1
	s_mov_b32 s63, exec_lo
	s_delay_alu instid0(VALU_DEP_2)
	v_cmpx_ne_u32_e32 0x80, v2
	s_cbranch_execz .LBB4_1286
; %bb.1279:                             ;   in Loop: Header=BB4_357 Depth=4
	v_and_b32_e32 v5, 0x7c000000, v13
	v_bfe_u32 v17, v13, 24, 2
	s_delay_alu instid0(VALU_DEP_2) | instskip(SKIP_1) | instid1(SALU_CYCLE_1)
	v_cmp_ne_u32_e32 vcc_lo, 0x7c000000, v5
                                        ; implicit-def: $vgpr5
	s_and_saveexec_b32 s72, vcc_lo
	s_xor_b32 s72, exec_lo, s72
	s_cbranch_execz .LBB4_1283
; %bb.1280:                             ;   in Loop: Header=BB4_357 Depth=4
	v_bfe_u32 v5, v13, 26, 5
	s_mov_b32 s73, exec_lo
	s_delay_alu instid0(VALU_DEP_1)
	v_cmpx_eq_u32_e32 0, v5
; %bb.1281:                             ;   in Loop: Header=BB4_357 Depth=4
	v_clz_i32_u32_e32 v5, v17
	s_delay_alu instid0(VALU_DEP_1) | instskip(NEXT) | instid1(VALU_DEP_1)
	v_min_u32_e32 v5, 32, v5
	v_subrev_nc_u32_e32 v17, 29, v5
	s_delay_alu instid0(VALU_DEP_1) | instskip(NEXT) | instid1(VALU_DEP_1)
	v_lshlrev_b64_e32 v[72:73], v17, v[2:3]
	v_dual_sub_nc_u32 v5, 30, v5 :: v_dual_bitop2_b32 v17, 3, v72 bitop3:0x40
; %bb.1282:                             ;   in Loop: Header=BB4_357 Depth=4
	s_or_b32 exec_lo, exec_lo, s73
	v_and_b32_e32 v2, 0x80000000, v13
	s_delay_alu instid0(VALU_DEP_1) | instskip(NEXT) | instid1(VALU_DEP_1)
	v_lshl_add_u32 v2, v5, 23, v2
	v_lshl_or_b32 v2, v17, 21, v2
                                        ; implicit-def: $vgpr17
	s_delay_alu instid0(VALU_DEP_1)
	v_add_nc_u32_e32 v5, 0x38000000, v2
.LBB4_1283:                             ;   in Loop: Header=BB4_357 Depth=4
	s_and_not1_saveexec_b32 s72, s72
; %bb.1284:                             ;   in Loop: Header=BB4_357 Depth=4
	v_cmp_lt_i64_e32 vcc_lo, -1, v[12:13]
	v_cndmask_b32_e32 v2, 0xff800000, v112, vcc_lo
	v_cmp_eq_u32_e32 vcc_lo, 0, v17
	s_delay_alu instid0(VALU_DEP_2)
	v_cndmask_b32_e32 v5, 0x7f800001, v2, vcc_lo
; %bb.1285:                             ;   in Loop: Header=BB4_357 Depth=4
	s_or_b32 exec_lo, exec_lo, s72
.LBB4_1286:                             ;   in Loop: Header=BB4_357 Depth=4
	s_delay_alu instid0(SALU_CYCLE_1)
	s_or_b32 exec_lo, exec_lo, s63
.LBB4_1287:                             ;   in Loop: Header=BB4_357 Depth=4
	s_delay_alu instid0(SALU_CYCLE_1) | instskip(NEXT) | instid1(SALU_CYCLE_1)
	s_or_b32 exec_lo, exec_lo, s13
	s_mov_b32 s13, exec_lo
	v_cmpx_lt_u64_e64 s[22:23], v[8:9]
	s_cbranch_execz .LBB4_1297
; %bb.1288:                             ;   in Loop: Header=BB4_357 Depth=4
	v_lshrrev_b32_e32 v2, 24, v9
	v_bfrev_b32_e32 v4, 1
	s_mov_b32 s63, exec_lo
	s_delay_alu instid0(VALU_DEP_2)
	v_cmpx_ne_u32_e32 0x80, v2
	s_cbranch_execz .LBB4_1296
; %bb.1289:                             ;   in Loop: Header=BB4_357 Depth=4
	v_and_b32_e32 v4, 0x7c000000, v9
	v_bfe_u32 v12, v9, 24, 2
	s_delay_alu instid0(VALU_DEP_2) | instskip(SKIP_1) | instid1(SALU_CYCLE_1)
	v_cmp_ne_u32_e32 vcc_lo, 0x7c000000, v4
                                        ; implicit-def: $vgpr4
	s_and_saveexec_b32 s72, vcc_lo
	s_xor_b32 s72, exec_lo, s72
	s_cbranch_execz .LBB4_1293
; %bb.1290:                             ;   in Loop: Header=BB4_357 Depth=4
	v_bfe_u32 v4, v9, 26, 5
	s_mov_b32 s73, exec_lo
	s_delay_alu instid0(VALU_DEP_1)
	v_cmpx_eq_u32_e32 0, v4
; %bb.1291:                             ;   in Loop: Header=BB4_357 Depth=4
	v_clz_i32_u32_e32 v4, v12
	s_delay_alu instid0(VALU_DEP_1) | instskip(NEXT) | instid1(VALU_DEP_1)
	v_min_u32_e32 v4, 32, v4
	v_subrev_nc_u32_e32 v12, 29, v4
	v_sub_nc_u32_e32 v4, 30, v4
	s_delay_alu instid0(VALU_DEP_2) | instskip(NEXT) | instid1(VALU_DEP_1)
	v_lshlrev_b64_e32 v[12:13], v12, v[2:3]
	v_and_b32_e32 v12, 3, v12
; %bb.1292:                             ;   in Loop: Header=BB4_357 Depth=4
	s_or_b32 exec_lo, exec_lo, s73
	v_and_b32_e32 v2, 0x80000000, v9
	s_delay_alu instid0(VALU_DEP_1) | instskip(NEXT) | instid1(VALU_DEP_1)
	v_lshl_add_u32 v2, v4, 23, v2
	v_lshl_or_b32 v2, v12, 21, v2
                                        ; implicit-def: $vgpr12
	s_delay_alu instid0(VALU_DEP_1)
	v_add_nc_u32_e32 v4, 0x38000000, v2
.LBB4_1293:                             ;   in Loop: Header=BB4_357 Depth=4
	s_and_not1_saveexec_b32 s72, s72
; %bb.1294:                             ;   in Loop: Header=BB4_357 Depth=4
	v_cmp_lt_i64_e32 vcc_lo, -1, v[8:9]
	v_cndmask_b32_e32 v2, 0xff800000, v112, vcc_lo
	v_cmp_eq_u32_e32 vcc_lo, 0, v12
	s_delay_alu instid0(VALU_DEP_2)
	v_cndmask_b32_e32 v4, 0x7f800001, v2, vcc_lo
; %bb.1295:                             ;   in Loop: Header=BB4_357 Depth=4
	s_or_b32 exec_lo, exec_lo, s72
.LBB4_1296:                             ;   in Loop: Header=BB4_357 Depth=4
	s_delay_alu instid0(SALU_CYCLE_1)
	s_or_b32 exec_lo, exec_lo, s63
.LBB4_1297:                             ;   in Loop: Header=BB4_357 Depth=4
	s_delay_alu instid0(SALU_CYCLE_1) | instskip(NEXT) | instid1(VALU_DEP_1)
	s_or_b32 exec_lo, exec_lo, s13
	v_dual_mul_f32 v4, v5, v4 :: v_dual_mov_b32 v9, v3
                                        ; implicit-def: $vgpr12
	s_mov_b32 s13, exec_lo
	s_delay_alu instid0(VALU_DEP_1) | instskip(SKIP_2) | instid1(VALU_DEP_3)
	v_and_b32_e32 v8, 0x7f800000, v4
	v_and_b32_e32 v2, 0x7fffff, v4
	v_lshrrev_b32_e32 v5, 24, v4
	v_cmpx_ne_u64_e32 0x7f800000, v[8:9]
	s_xor_b32 s63, exec_lo, s13
	s_cbranch_execz .LBB4_1311
; %bb.1298:                             ;   in Loop: Header=BB4_357 Depth=4
	v_and_b32_e32 v8, 0x7fffffff, v4
	v_mov_b32_e32 v9, v3
	v_and_b32_e32 v13, 0x80, v5
                                        ; implicit-def: $vgpr12
	s_mov_b32 s13, exec_lo
	s_delay_alu instid0(VALU_DEP_2)
	v_cmpx_gt_u64_e32 0x47600001, v[8:9]
	s_xor_b32 s72, exec_lo, s13
	s_cbranch_execz .LBB4_1308
; %bb.1299:                             ;   in Loop: Header=BB4_357 Depth=4
	v_mov_b32_e32 v12, 0
	s_mov_b32 s73, exec_lo
	v_cmpx_ne_u32_e32 0, v4
	s_cbranch_execz .LBB4_1307
; %bb.1300:                             ;   in Loop: Header=BB4_357 Depth=4
	v_bfe_u32 v12, v4, 23, 8
	v_or_b32_e32 v8, 0x800000, v2
	s_delay_alu instid0(VALU_DEP_2) | instskip(SKIP_1) | instid1(VALU_DEP_2)
	v_sub_nc_u32_e32 v4, 0x71, v12
	v_cmp_gt_u32_e32 vcc_lo, 0x72, v12
	v_cndmask_b32_e32 v4, 0, v4, vcc_lo
	v_cmp_eq_u32_e32 vcc_lo, 0, v12
	s_delay_alu instid0(VALU_DEP_2) | instskip(NEXT) | instid1(VALU_DEP_1)
	v_cndmask_b32_e64 v17, v4, 0x70, vcc_lo
	v_dual_cndmask_b32 v2, v8, v2, vcc_lo :: v_dual_add_nc_u32 v4, 21, v17
	v_add_nc_u32_e32 v9, 20, v17
	s_delay_alu instid0(VALU_DEP_2) | instskip(NEXT) | instid1(VALU_DEP_2)
	v_lshlrev_b64_e64 v[4:5], v4, -1
	v_lshlrev_b64_e64 v[8:9], v9, 1
	s_delay_alu instid0(VALU_DEP_2) | instskip(NEXT) | instid1(VALU_DEP_3)
	v_bfi_b32 v73, v5, 0, 0
	v_bfi_b32 v72, v4, 0, v2
	v_lshrrev_b64 v[4:5], v17, v[2:3]
	s_delay_alu instid0(VALU_DEP_2) | instskip(NEXT) | instid1(VALU_DEP_2)
	v_cmp_eq_u64_e64 s13, v[72:73], v[8:9]
	v_mov_b64_e32 v[8:9], v[4:5]
	s_and_saveexec_b32 s74, s13
; %bb.1301:                             ;   in Loop: Header=BB4_357 Depth=4
	v_bfe_u32 v2, v4, 21, 1
	s_delay_alu instid0(VALU_DEP_1) | instskip(NEXT) | instid1(VALU_DEP_1)
	v_add_nc_u64_e32 v[8:9], v[4:5], v[2:3]
	v_add_nc_u64_e32 v[8:9], -1, v[8:9]
; %bb.1302:                             ;   in Loop: Header=BB4_357 Depth=4
	s_or_b32 exec_lo, exec_lo, s74
	v_add_nc_u32_e32 v2, 0xffffff81, v12
	v_lshrrev_b32_e32 v5, 23, v4
	s_mov_b32 s13, exec_lo
	s_delay_alu instid0(VALU_DEP_2) | instskip(NEXT) | instid1(VALU_DEP_1)
	v_cndmask_b32_e64 v2, v2, 0xffffff82, vcc_lo
	v_add3_u32 v9, v17, v2, v5
	v_and_b32_e32 v2, 0x1fffff, v8
                                        ; implicit-def: $vgpr8
	s_delay_alu instid0(VALU_DEP_1) | instskip(NEXT) | instid1(VALU_DEP_1)
	v_dual_add_nc_u32 v12, 14, v9 :: v_dual_add_nc_u32 v2, v2, v4
                                        ; implicit-def: $vgpr4_vgpr5
	v_cmpx_ne_u32_e32 0, v12
	s_xor_b32 s13, exec_lo, s13
; %bb.1303:                             ;   in Loop: Header=BB4_357 Depth=4
	s_delay_alu instid0(VALU_DEP_2) | instskip(SKIP_1) | instid1(VALU_DEP_1)
	v_cmp_lt_u64_e32 vcc_lo, 0xffffff, v[2:3]
	v_add_nc_u32_e32 v4, 15, v9
	v_cndmask_b32_e32 v8, v12, v4, vcc_lo
	v_cndmask_b32_e64 v4, 0, 1, vcc_lo
	s_delay_alu instid0(VALU_DEP_1)
	v_lshrrev_b64 v[4:5], v4, v[2:3]
; %bb.1304:                             ;   in Loop: Header=BB4_357 Depth=4
	s_and_not1_saveexec_b32 s13, s13
; %bb.1305:                             ;   in Loop: Header=BB4_357 Depth=4
	v_mov_b64_e32 v[4:5], v[2:3]
	v_bfe_u32 v8, v2, 23, 1
; %bb.1306:                             ;   in Loop: Header=BB4_357 Depth=4
	s_or_b32 exec_lo, exec_lo, s13
	s_delay_alu instid0(VALU_DEP_2) | instskip(NEXT) | instid1(VALU_DEP_2)
	v_lshrrev_b64 v[4:5], 21, v[4:5]
	v_cmp_gt_i32_e32 vcc_lo, 32, v8
	v_min_i32_e32 v2, 31, v8
	v_cmp_eq_u32_e64 s13, 0, v8
	s_delay_alu instid0(VALU_DEP_2) | instskip(SKIP_1) | instid1(VALU_DEP_2)
	v_dual_cndmask_b32 v5, 0, v5 :: v_dual_lshlrev_b32 v2, 2, v2
	v_cndmask_b32_e32 v4, 3, v4, vcc_lo
	v_and_b32_e32 v2, 0xfc, v2
	s_delay_alu instid0(VALU_DEP_2) | instskip(NEXT) | instid1(VALU_DEP_2)
	v_cmp_eq_u64_e32 vcc_lo, 0, v[4:5]
	v_and_or_b32 v2, v4, 3, v2
	s_and_b32 s13, s13, vcc_lo
	s_delay_alu instid0(VALU_DEP_1) | instid1(SALU_CYCLE_1)
	v_cndmask_b32_e64 v2, v2, 0, s13
	s_delay_alu instid0(VALU_DEP_1)
	v_or_b32_e32 v12, v2, v13
.LBB4_1307:                             ;   in Loop: Header=BB4_357 Depth=4
	s_or_b32 exec_lo, exec_lo, s73
                                        ; implicit-def: $vgpr13
.LBB4_1308:                             ;   in Loop: Header=BB4_357 Depth=4
	s_and_not1_saveexec_b32 s13, s72
; %bb.1309:                             ;   in Loop: Header=BB4_357 Depth=4
	v_or_b32_e32 v12, 0x7b, v13
; %bb.1310:                             ;   in Loop: Header=BB4_357 Depth=4
	s_or_b32 exec_lo, exec_lo, s13
                                        ; implicit-def: $vgpr4
                                        ; implicit-def: $vgpr5
.LBB4_1311:                             ;   in Loop: Header=BB4_357 Depth=4
	s_and_not1_saveexec_b32 s13, s63
	s_cbranch_execz .LBB4_1317
; %bb.1312:                             ;   in Loop: Header=BB4_357 Depth=4
	s_mov_b32 s63, exec_lo
                                        ; implicit-def: $vgpr12
	v_cmpx_ne_u64_e32 0, v[2:3]
	s_xor_b32 s63, exec_lo, s63
; %bb.1313:                             ;   in Loop: Header=BB4_357 Depth=4
	v_or_b32_e32 v12, 0x7f, v5
                                        ; implicit-def: $vgpr4
; %bb.1314:                             ;   in Loop: Header=BB4_357 Depth=4
	s_and_not1_saveexec_b32 s63, s63
; %bb.1315:                             ;   in Loop: Header=BB4_357 Depth=4
	v_cmp_lt_i32_e32 vcc_lo, -1, v4
	v_cndmask_b32_e32 v12, 0xfc, v113, vcc_lo
; %bb.1316:                             ;   in Loop: Header=BB4_357 Depth=4
	s_or_b32 exec_lo, exec_lo, s63
.LBB4_1317:                             ;   in Loop: Header=BB4_357 Depth=4
	s_delay_alu instid0(SALU_CYCLE_1) | instskip(SKIP_2) | instid1(VALU_DEP_2)
	s_or_b32 exec_lo, exec_lo, s13
	v_and_b32_e32 v4, 0xff, v14
	v_mov_b32_e32 v2, 0
	v_cmp_ne_u16_e32 vcc_lo, 0, v4
	v_mov_b32_e32 v4, 0
	s_and_saveexec_b32 s13, vcc_lo
	s_cbranch_execz .LBB4_1327
; %bb.1318:                             ;   in Loop: Header=BB4_357 Depth=4
	v_bfe_i32 v8, v14, 0, 8
	v_bfrev_b32_e32 v4, 1
	s_mov_b32 s63, exec_lo
	s_delay_alu instid0(VALU_DEP_2)
	v_cmpx_ne_u16_e32 0xff80, v8
	s_cbranch_execz .LBB4_1326
; %bb.1319:                             ;   in Loop: Header=BB4_357 Depth=4
	v_and_b32_e32 v4, 0x7c, v14
	v_and_b32_e32 v5, 3, v14
	s_delay_alu instid0(VALU_DEP_2) | instskip(SKIP_1) | instid1(SALU_CYCLE_1)
	v_cmp_ne_u32_e32 vcc_lo, 0x7c, v4
                                        ; implicit-def: $vgpr4
	s_and_saveexec_b32 s72, vcc_lo
	s_xor_b32 s72, exec_lo, s72
	s_cbranch_execz .LBB4_1323
; %bb.1320:                             ;   in Loop: Header=BB4_357 Depth=4
	v_bfe_u32 v4, v14, 2, 5
	s_mov_b32 s73, exec_lo
	s_delay_alu instid0(VALU_DEP_1)
	v_cmpx_eq_u32_e32 0, v4
; %bb.1321:                             ;   in Loop: Header=BB4_357 Depth=4
	v_clz_i32_u32_e32 v4, v5
	s_delay_alu instid0(VALU_DEP_1) | instskip(NEXT) | instid1(VALU_DEP_1)
	v_min_u32_e32 v4, 32, v4
	v_subrev_nc_u32_e32 v5, 29, v4
	v_sub_nc_u32_e32 v4, 30, v4
	s_delay_alu instid0(VALU_DEP_2) | instskip(NEXT) | instid1(VALU_DEP_1)
	v_lshlrev_b64_e32 v[8:9], v5, v[14:15]
	v_and_b32_e32 v5, 3, v8
; %bb.1322:                             ;   in Loop: Header=BB4_357 Depth=4
	s_or_b32 exec_lo, exec_lo, s73
	v_lshlrev_b32_e32 v8, 24, v14
	s_delay_alu instid0(VALU_DEP_1) | instskip(NEXT) | instid1(VALU_DEP_1)
	v_and_b32_e32 v8, 0x80000000, v8
	v_lshl_add_u32 v4, v4, 23, v8
                                        ; implicit-def: $vgpr8
	s_delay_alu instid0(VALU_DEP_1) | instskip(NEXT) | instid1(VALU_DEP_1)
	v_lshl_or_b32 v4, v5, 21, v4
                                        ; implicit-def: $vgpr5
	v_add_nc_u32_e32 v4, 0x38000000, v4
.LBB4_1323:                             ;   in Loop: Header=BB4_357 Depth=4
	s_and_not1_saveexec_b32 s72, s72
; %bb.1324:                             ;   in Loop: Header=BB4_357 Depth=4
	v_cmp_lt_i16_e32 vcc_lo, -1, v8
	v_cndmask_b32_e32 v4, 0xff800000, v112, vcc_lo
	v_cmp_eq_u32_e32 vcc_lo, 0, v5
	s_delay_alu instid0(VALU_DEP_2)
	v_cndmask_b32_e32 v4, 0x7f800001, v4, vcc_lo
; %bb.1325:                             ;   in Loop: Header=BB4_357 Depth=4
	s_or_b32 exec_lo, exec_lo, s72
.LBB4_1326:                             ;   in Loop: Header=BB4_357 Depth=4
	s_delay_alu instid0(SALU_CYCLE_1)
	s_or_b32 exec_lo, exec_lo, s63
.LBB4_1327:                             ;   in Loop: Header=BB4_357 Depth=4
	s_delay_alu instid0(SALU_CYCLE_1) | instskip(SKIP_2) | instid1(VALU_DEP_1)
	s_or_b32 exec_lo, exec_lo, s13
	v_and_b32_e32 v5, 0xff, v10
	s_mov_b32 s13, exec_lo
	v_cmpx_ne_u16_e32 0, v5
	s_cbranch_execz .LBB4_1337
; %bb.1328:                             ;   in Loop: Header=BB4_357 Depth=4
	v_bfe_i32 v8, v10, 0, 8
	v_bfrev_b32_e32 v2, 1
	s_mov_b32 s63, exec_lo
	s_delay_alu instid0(VALU_DEP_2)
	v_cmpx_ne_u16_e32 0xff80, v8
	s_cbranch_execz .LBB4_1336
; %bb.1329:                             ;   in Loop: Header=BB4_357 Depth=4
	v_and_b32_e32 v2, 0x7c, v10
	v_and_b32_e32 v5, 3, v10
	s_delay_alu instid0(VALU_DEP_2) | instskip(SKIP_1) | instid1(SALU_CYCLE_1)
	v_cmp_ne_u32_e32 vcc_lo, 0x7c, v2
                                        ; implicit-def: $vgpr2
	s_and_saveexec_b32 s72, vcc_lo
	s_xor_b32 s72, exec_lo, s72
	s_cbranch_execz .LBB4_1333
; %bb.1330:                             ;   in Loop: Header=BB4_357 Depth=4
	v_bfe_u32 v2, v10, 2, 5
	s_mov_b32 s73, exec_lo
	s_delay_alu instid0(VALU_DEP_1)
	v_cmpx_eq_u32_e32 0, v2
; %bb.1331:                             ;   in Loop: Header=BB4_357 Depth=4
	v_clz_i32_u32_e32 v2, v5
	s_delay_alu instid0(VALU_DEP_1) | instskip(NEXT) | instid1(VALU_DEP_1)
	v_min_u32_e32 v2, 32, v2
	v_subrev_nc_u32_e32 v5, 29, v2
	s_delay_alu instid0(VALU_DEP_1) | instskip(NEXT) | instid1(VALU_DEP_1)
	v_lshlrev_b64_e32 v[8:9], v5, v[10:11]
	v_dual_sub_nc_u32 v2, 30, v2 :: v_dual_bitop2_b32 v5, 3, v8 bitop3:0x40
; %bb.1332:                             ;   in Loop: Header=BB4_357 Depth=4
	s_or_b32 exec_lo, exec_lo, s73
	v_lshlrev_b32_e32 v8, 24, v10
	s_delay_alu instid0(VALU_DEP_1) | instskip(NEXT) | instid1(VALU_DEP_1)
	v_and_b32_e32 v8, 0x80000000, v8
	v_lshl_add_u32 v2, v2, 23, v8
                                        ; implicit-def: $vgpr8
	s_delay_alu instid0(VALU_DEP_1) | instskip(NEXT) | instid1(VALU_DEP_1)
	v_lshl_or_b32 v2, v5, 21, v2
                                        ; implicit-def: $vgpr5
	v_add_nc_u32_e32 v2, 0x38000000, v2
.LBB4_1333:                             ;   in Loop: Header=BB4_357 Depth=4
	s_and_not1_saveexec_b32 s72, s72
; %bb.1334:                             ;   in Loop: Header=BB4_357 Depth=4
	v_cmp_lt_i16_e32 vcc_lo, -1, v8
	v_cndmask_b32_e32 v2, 0xff800000, v112, vcc_lo
	v_cmp_eq_u32_e32 vcc_lo, 0, v5
	s_delay_alu instid0(VALU_DEP_2)
	v_cndmask_b32_e32 v2, 0x7f800001, v2, vcc_lo
; %bb.1335:                             ;   in Loop: Header=BB4_357 Depth=4
	s_or_b32 exec_lo, exec_lo, s72
.LBB4_1336:                             ;   in Loop: Header=BB4_357 Depth=4
	s_delay_alu instid0(SALU_CYCLE_1)
	s_or_b32 exec_lo, exec_lo, s63
.LBB4_1337:                             ;   in Loop: Header=BB4_357 Depth=4
	s_delay_alu instid0(SALU_CYCLE_1) | instskip(NEXT) | instid1(VALU_DEP_1)
	s_or_b32 exec_lo, exec_lo, s13
	v_dual_mul_f32 v4, v4, v2 :: v_dual_mov_b32 v9, v3
                                        ; implicit-def: $vgpr13
	s_mov_b32 s13, exec_lo
	s_delay_alu instid0(VALU_DEP_1) | instskip(SKIP_2) | instid1(VALU_DEP_3)
	v_and_b32_e32 v8, 0x7f800000, v4
	v_and_b32_e32 v2, 0x7fffff, v4
	v_lshrrev_b32_e32 v5, 24, v4
	v_cmpx_ne_u64_e32 0x7f800000, v[8:9]
	s_xor_b32 s63, exec_lo, s13
	s_cbranch_execz .LBB4_1351
; %bb.1338:                             ;   in Loop: Header=BB4_357 Depth=4
	v_and_b32_e32 v8, 0x7fffffff, v4
	v_mov_b32_e32 v9, v3
	v_and_b32_e32 v17, 0x80, v5
                                        ; implicit-def: $vgpr13
	s_mov_b32 s13, exec_lo
	s_delay_alu instid0(VALU_DEP_2)
	v_cmpx_gt_u64_e32 0x47600001, v[8:9]
	s_xor_b32 s72, exec_lo, s13
	s_cbranch_execz .LBB4_1348
; %bb.1339:                             ;   in Loop: Header=BB4_357 Depth=4
	v_mov_b32_e32 v13, 0
	s_mov_b32 s73, exec_lo
	v_cmpx_ne_u32_e32 0, v4
	s_cbranch_execz .LBB4_1347
; %bb.1340:                             ;   in Loop: Header=BB4_357 Depth=4
	v_bfe_u32 v13, v4, 23, 8
	v_or_b32_e32 v8, 0x800000, v2
	s_delay_alu instid0(VALU_DEP_2) | instskip(SKIP_1) | instid1(VALU_DEP_2)
	v_sub_nc_u32_e32 v4, 0x71, v13
	v_cmp_gt_u32_e32 vcc_lo, 0x72, v13
	v_cndmask_b32_e32 v4, 0, v4, vcc_lo
	v_cmp_eq_u32_e32 vcc_lo, 0, v13
	s_delay_alu instid0(VALU_DEP_2) | instskip(NEXT) | instid1(VALU_DEP_1)
	v_cndmask_b32_e64 v103, v4, 0x70, vcc_lo
	v_dual_cndmask_b32 v2, v8, v2, vcc_lo :: v_dual_add_nc_u32 v4, 21, v103
	v_add_nc_u32_e32 v9, 20, v103
	s_delay_alu instid0(VALU_DEP_2) | instskip(NEXT) | instid1(VALU_DEP_2)
	v_lshlrev_b64_e64 v[4:5], v4, -1
	v_lshlrev_b64_e64 v[8:9], v9, 1
	s_delay_alu instid0(VALU_DEP_2) | instskip(NEXT) | instid1(VALU_DEP_3)
	v_bfi_b32 v73, v5, 0, 0
	v_bfi_b32 v72, v4, 0, v2
	v_lshrrev_b64 v[4:5], v103, v[2:3]
	s_delay_alu instid0(VALU_DEP_2) | instskip(NEXT) | instid1(VALU_DEP_2)
	v_cmp_eq_u64_e64 s13, v[72:73], v[8:9]
	v_mov_b64_e32 v[8:9], v[4:5]
	s_and_saveexec_b32 s74, s13
; %bb.1341:                             ;   in Loop: Header=BB4_357 Depth=4
	v_bfe_u32 v2, v4, 21, 1
	s_delay_alu instid0(VALU_DEP_1) | instskip(NEXT) | instid1(VALU_DEP_1)
	v_add_nc_u64_e32 v[8:9], v[4:5], v[2:3]
	v_add_nc_u64_e32 v[8:9], -1, v[8:9]
; %bb.1342:                             ;   in Loop: Header=BB4_357 Depth=4
	s_or_b32 exec_lo, exec_lo, s74
	v_add_nc_u32_e32 v2, 0xffffff81, v13
	v_lshrrev_b32_e32 v5, 23, v4
	s_mov_b32 s13, exec_lo
	s_delay_alu instid0(VALU_DEP_2) | instskip(NEXT) | instid1(VALU_DEP_1)
	v_cndmask_b32_e64 v2, v2, 0xffffff82, vcc_lo
	v_add3_u32 v9, v103, v2, v5
	v_and_b32_e32 v2, 0x1fffff, v8
                                        ; implicit-def: $vgpr8
	s_delay_alu instid0(VALU_DEP_1) | instskip(NEXT) | instid1(VALU_DEP_1)
	v_dual_add_nc_u32 v13, 14, v9 :: v_dual_add_nc_u32 v2, v2, v4
                                        ; implicit-def: $vgpr4_vgpr5
	v_cmpx_ne_u32_e32 0, v13
	s_xor_b32 s13, exec_lo, s13
; %bb.1343:                             ;   in Loop: Header=BB4_357 Depth=4
	s_delay_alu instid0(VALU_DEP_2) | instskip(SKIP_1) | instid1(VALU_DEP_1)
	v_cmp_lt_u64_e32 vcc_lo, 0xffffff, v[2:3]
	v_add_nc_u32_e32 v4, 15, v9
	v_cndmask_b32_e32 v8, v13, v4, vcc_lo
	v_cndmask_b32_e64 v4, 0, 1, vcc_lo
	s_delay_alu instid0(VALU_DEP_1)
	v_lshrrev_b64 v[4:5], v4, v[2:3]
; %bb.1344:                             ;   in Loop: Header=BB4_357 Depth=4
	s_and_not1_saveexec_b32 s13, s13
; %bb.1345:                             ;   in Loop: Header=BB4_357 Depth=4
	v_mov_b64_e32 v[4:5], v[2:3]
	v_bfe_u32 v8, v2, 23, 1
; %bb.1346:                             ;   in Loop: Header=BB4_357 Depth=4
	s_or_b32 exec_lo, exec_lo, s13
	s_delay_alu instid0(VALU_DEP_2) | instskip(NEXT) | instid1(VALU_DEP_2)
	v_lshrrev_b64 v[4:5], 21, v[4:5]
	v_cmp_gt_i32_e32 vcc_lo, 32, v8
	v_min_i32_e32 v2, 31, v8
	v_cmp_eq_u32_e64 s13, 0, v8
	s_delay_alu instid0(VALU_DEP_2) | instskip(SKIP_1) | instid1(VALU_DEP_2)
	v_dual_cndmask_b32 v5, 0, v5 :: v_dual_lshlrev_b32 v2, 2, v2
	v_cndmask_b32_e32 v4, 3, v4, vcc_lo
	v_and_b32_e32 v2, 0xfc, v2
	s_delay_alu instid0(VALU_DEP_2) | instskip(NEXT) | instid1(VALU_DEP_2)
	v_cmp_eq_u64_e32 vcc_lo, 0, v[4:5]
	v_and_or_b32 v2, v4, 3, v2
	s_and_b32 s13, s13, vcc_lo
	s_delay_alu instid0(VALU_DEP_1) | instid1(SALU_CYCLE_1)
	v_cndmask_b32_e64 v2, v2, 0, s13
	s_delay_alu instid0(VALU_DEP_1)
	v_or_b32_e32 v13, v2, v17
.LBB4_1347:                             ;   in Loop: Header=BB4_357 Depth=4
	s_or_b32 exec_lo, exec_lo, s73
                                        ; implicit-def: $vgpr17
.LBB4_1348:                             ;   in Loop: Header=BB4_357 Depth=4
	s_and_not1_saveexec_b32 s13, s72
; %bb.1349:                             ;   in Loop: Header=BB4_357 Depth=4
	v_or_b32_e32 v13, 0x7b, v17
; %bb.1350:                             ;   in Loop: Header=BB4_357 Depth=4
	s_or_b32 exec_lo, exec_lo, s13
                                        ; implicit-def: $vgpr4
                                        ; implicit-def: $vgpr5
.LBB4_1351:                             ;   in Loop: Header=BB4_357 Depth=4
	s_and_not1_saveexec_b32 s13, s63
	s_cbranch_execz .LBB4_1357
; %bb.1352:                             ;   in Loop: Header=BB4_357 Depth=4
	s_mov_b32 s63, exec_lo
                                        ; implicit-def: $vgpr13
	v_cmpx_ne_u64_e32 0, v[2:3]
	s_xor_b32 s63, exec_lo, s63
; %bb.1353:                             ;   in Loop: Header=BB4_357 Depth=4
	v_or_b32_e32 v13, 0x7f, v5
                                        ; implicit-def: $vgpr4
; %bb.1354:                             ;   in Loop: Header=BB4_357 Depth=4
	s_and_not1_saveexec_b32 s63, s63
; %bb.1355:                             ;   in Loop: Header=BB4_357 Depth=4
	v_cmp_lt_i32_e32 vcc_lo, -1, v4
	v_cndmask_b32_e32 v13, 0xfc, v113, vcc_lo
; %bb.1356:                             ;   in Loop: Header=BB4_357 Depth=4
	s_or_b32 exec_lo, exec_lo, s63
.LBB4_1357:                             ;   in Loop: Header=BB4_357 Depth=4
	s_delay_alu instid0(SALU_CYCLE_1) | instskip(SKIP_3) | instid1(VALU_DEP_2)
	s_or_b32 exec_lo, exec_lo, s13
	v_lshrrev_b16 v2, 8, v14
	v_dual_mov_b32 v4, 0 :: v_dual_mov_b32 v5, 0
	s_mov_b32 s13, exec_lo
	v_cmpx_ne_u16_e32 0, v2
	s_cbranch_execz .LBB4_1367
; %bb.1358:                             ;   in Loop: Header=BB4_357 Depth=4
	v_bfrev_b32_e32 v5, 1
	s_mov_b32 s63, exec_lo
	v_cmpx_ne_u16_e32 0x80, v2
	s_cbranch_execz .LBB4_1366
; %bb.1359:                             ;   in Loop: Header=BB4_357 Depth=4
	v_and_b32_e32 v9, 0xffff, v2
	s_delay_alu instid0(VALU_DEP_1) | instskip(SKIP_1) | instid1(VALU_DEP_2)
	v_and_b32_e32 v5, 0x7c, v9
	v_and_b32_e32 v8, 3, v9
	v_cmp_ne_u32_e32 vcc_lo, 0x7c, v5
                                        ; implicit-def: $vgpr5
	s_and_saveexec_b32 s72, vcc_lo
	s_delay_alu instid0(SALU_CYCLE_1)
	s_xor_b32 s72, exec_lo, s72
	s_cbranch_execz .LBB4_1363
; %bb.1360:                             ;   in Loop: Header=BB4_357 Depth=4
	v_bfe_u32 v5, v9, 2, 5
	s_mov_b32 s73, exec_lo
	s_delay_alu instid0(VALU_DEP_1)
	v_cmpx_eq_u32_e32 0, v5
; %bb.1361:                             ;   in Loop: Header=BB4_357 Depth=4
	v_clz_i32_u32_e32 v5, v8
	s_delay_alu instid0(VALU_DEP_1) | instskip(NEXT) | instid1(VALU_DEP_1)
	v_min_u32_e32 v5, 32, v5
	v_subrev_nc_u32_e32 v8, 29, v5
	s_delay_alu instid0(VALU_DEP_1) | instskip(NEXT) | instid1(VALU_DEP_1)
	v_lshlrev_b64_e32 v[8:9], v8, v[2:3]
	v_dual_sub_nc_u32 v5, 30, v5 :: v_dual_bitop2_b32 v8, 3, v8 bitop3:0x40
; %bb.1362:                             ;   in Loop: Header=BB4_357 Depth=4
	s_or_b32 exec_lo, exec_lo, s73
	v_lshlrev_b32_e32 v2, 16, v14
	s_delay_alu instid0(VALU_DEP_1) | instskip(NEXT) | instid1(VALU_DEP_1)
	v_and_b32_e32 v2, 0x80000000, v2
	v_lshl_add_u32 v2, v5, 23, v2
	s_delay_alu instid0(VALU_DEP_1) | instskip(NEXT) | instid1(VALU_DEP_1)
	v_lshl_or_b32 v2, v8, 21, v2
                                        ; implicit-def: $vgpr8
	v_add_nc_u32_e32 v5, 0x38000000, v2
.LBB4_1363:                             ;   in Loop: Header=BB4_357 Depth=4
	s_and_not1_saveexec_b32 s72, s72
; %bb.1364:                             ;   in Loop: Header=BB4_357 Depth=4
	v_cmp_lt_i16_e32 vcc_lo, -1, v14
	v_cndmask_b32_e32 v2, 0xff800000, v112, vcc_lo
	v_cmp_eq_u32_e32 vcc_lo, 0, v8
	s_delay_alu instid0(VALU_DEP_2)
	v_cndmask_b32_e32 v5, 0x7f800001, v2, vcc_lo
; %bb.1365:                             ;   in Loop: Header=BB4_357 Depth=4
	s_or_b32 exec_lo, exec_lo, s72
.LBB4_1366:                             ;   in Loop: Header=BB4_357 Depth=4
	s_delay_alu instid0(SALU_CYCLE_1)
	s_or_b32 exec_lo, exec_lo, s63
.LBB4_1367:                             ;   in Loop: Header=BB4_357 Depth=4
	s_delay_alu instid0(SALU_CYCLE_1) | instskip(SKIP_2) | instid1(VALU_DEP_1)
	s_or_b32 exec_lo, exec_lo, s13
	v_lshrrev_b16 v2, 8, v10
	s_mov_b32 s13, exec_lo
	v_cmpx_ne_u16_e32 0, v2
	s_cbranch_execz .LBB4_1377
; %bb.1368:                             ;   in Loop: Header=BB4_357 Depth=4
	v_bfrev_b32_e32 v4, 1
	s_mov_b32 s63, exec_lo
	v_cmpx_ne_u16_e32 0x80, v2
	s_cbranch_execz .LBB4_1376
; %bb.1369:                             ;   in Loop: Header=BB4_357 Depth=4
	v_and_b32_e32 v9, 0xffff, v2
	s_delay_alu instid0(VALU_DEP_1) | instskip(SKIP_1) | instid1(VALU_DEP_2)
	v_and_b32_e32 v4, 0x7c, v9
	v_and_b32_e32 v8, 3, v9
	v_cmp_ne_u32_e32 vcc_lo, 0x7c, v4
                                        ; implicit-def: $vgpr4
	s_and_saveexec_b32 s72, vcc_lo
	s_delay_alu instid0(SALU_CYCLE_1)
	s_xor_b32 s72, exec_lo, s72
	s_cbranch_execz .LBB4_1373
; %bb.1370:                             ;   in Loop: Header=BB4_357 Depth=4
	v_bfe_u32 v4, v9, 2, 5
	s_mov_b32 s73, exec_lo
	s_delay_alu instid0(VALU_DEP_1)
	v_cmpx_eq_u32_e32 0, v4
; %bb.1371:                             ;   in Loop: Header=BB4_357 Depth=4
	v_clz_i32_u32_e32 v4, v8
	s_delay_alu instid0(VALU_DEP_1) | instskip(NEXT) | instid1(VALU_DEP_1)
	v_min_u32_e32 v4, 32, v4
	v_subrev_nc_u32_e32 v8, 29, v4
	v_sub_nc_u32_e32 v4, 30, v4
	s_delay_alu instid0(VALU_DEP_2) | instskip(NEXT) | instid1(VALU_DEP_1)
	v_lshlrev_b64_e32 v[8:9], v8, v[2:3]
	v_and_b32_e32 v8, 3, v8
; %bb.1372:                             ;   in Loop: Header=BB4_357 Depth=4
	s_or_b32 exec_lo, exec_lo, s73
	v_lshlrev_b32_e32 v2, 16, v10
	s_delay_alu instid0(VALU_DEP_1) | instskip(NEXT) | instid1(VALU_DEP_1)
	v_and_b32_e32 v2, 0x80000000, v2
	v_lshl_add_u32 v2, v4, 23, v2
	s_delay_alu instid0(VALU_DEP_1) | instskip(NEXT) | instid1(VALU_DEP_1)
	v_lshl_or_b32 v2, v8, 21, v2
                                        ; implicit-def: $vgpr8
	v_add_nc_u32_e32 v4, 0x38000000, v2
.LBB4_1373:                             ;   in Loop: Header=BB4_357 Depth=4
	s_and_not1_saveexec_b32 s72, s72
; %bb.1374:                             ;   in Loop: Header=BB4_357 Depth=4
	v_cmp_lt_i16_e32 vcc_lo, -1, v10
	v_cndmask_b32_e32 v2, 0xff800000, v112, vcc_lo
	v_cmp_eq_u32_e32 vcc_lo, 0, v8
	s_delay_alu instid0(VALU_DEP_2)
	v_cndmask_b32_e32 v4, 0x7f800001, v2, vcc_lo
; %bb.1375:                             ;   in Loop: Header=BB4_357 Depth=4
	s_or_b32 exec_lo, exec_lo, s72
.LBB4_1376:                             ;   in Loop: Header=BB4_357 Depth=4
	s_delay_alu instid0(SALU_CYCLE_1)
	s_or_b32 exec_lo, exec_lo, s63
.LBB4_1377:                             ;   in Loop: Header=BB4_357 Depth=4
	s_delay_alu instid0(SALU_CYCLE_1) | instskip(NEXT) | instid1(VALU_DEP_1)
	s_or_b32 exec_lo, exec_lo, s13
	v_dual_mul_f32 v4, v5, v4 :: v_dual_mov_b32 v9, v3
                                        ; implicit-def: $vgpr17
	s_mov_b32 s13, exec_lo
	s_delay_alu instid0(VALU_DEP_1) | instskip(SKIP_2) | instid1(VALU_DEP_3)
	v_and_b32_e32 v8, 0x7f800000, v4
	v_and_b32_e32 v2, 0x7fffff, v4
	v_lshrrev_b32_e32 v5, 24, v4
	v_cmpx_ne_u64_e32 0x7f800000, v[8:9]
	s_xor_b32 s63, exec_lo, s13
	s_cbranch_execz .LBB4_1391
; %bb.1378:                             ;   in Loop: Header=BB4_357 Depth=4
	v_and_b32_e32 v8, 0x7fffffff, v4
	v_mov_b32_e32 v9, v3
	v_and_b32_e32 v103, 0x80, v5
                                        ; implicit-def: $vgpr17
	s_mov_b32 s13, exec_lo
	s_delay_alu instid0(VALU_DEP_2)
	v_cmpx_gt_u64_e32 0x47600001, v[8:9]
	s_xor_b32 s72, exec_lo, s13
	s_cbranch_execz .LBB4_1388
; %bb.1379:                             ;   in Loop: Header=BB4_357 Depth=4
	v_mov_b32_e32 v17, 0
	s_mov_b32 s73, exec_lo
	v_cmpx_ne_u32_e32 0, v4
	s_cbranch_execz .LBB4_1387
; %bb.1380:                             ;   in Loop: Header=BB4_357 Depth=4
	v_bfe_u32 v17, v4, 23, 8
	v_or_b32_e32 v5, 0x800000, v2
	s_delay_alu instid0(VALU_DEP_2) | instskip(SKIP_2) | instid1(VALU_DEP_2)
	v_cmp_gt_u32_e64 s13, 0x72, v17
	v_sub_nc_u32_e32 v4, 0x71, v17
	v_cmp_eq_u32_e32 vcc_lo, 0, v17
	v_dual_cndmask_b32 v4, 0, v4, s13 :: v_dual_cndmask_b32 v2, v5, v2, vcc_lo
	s_delay_alu instid0(VALU_DEP_1) | instskip(NEXT) | instid1(VALU_DEP_1)
	v_cndmask_b32_e64 v72, v4, 0x70, vcc_lo
	v_dual_add_nc_u32 v4, 21, v72 :: v_dual_add_nc_u32 v8, 20, v72
	s_delay_alu instid0(VALU_DEP_1) | instskip(NEXT) | instid1(VALU_DEP_2)
	v_lshlrev_b64_e64 v[4:5], v4, -1
	v_lshlrev_b64_e64 v[8:9], v8, 1
	s_delay_alu instid0(VALU_DEP_2) | instskip(NEXT) | instid1(VALU_DEP_3)
	v_bfi_b32 v5, v5, 0, 0
	v_bfi_b32 v4, v4, 0, v2
	s_delay_alu instid0(VALU_DEP_1) | instskip(SKIP_1) | instid1(VALU_DEP_1)
	v_cmp_eq_u64_e64 s13, v[4:5], v[8:9]
	v_lshrrev_b64 v[4:5], v72, v[2:3]
	v_mov_b64_e32 v[8:9], v[4:5]
	s_and_saveexec_b32 s74, s13
; %bb.1381:                             ;   in Loop: Header=BB4_357 Depth=4
	v_bfe_u32 v2, v4, 21, 1
	s_delay_alu instid0(VALU_DEP_1) | instskip(NEXT) | instid1(VALU_DEP_1)
	v_add_nc_u64_e32 v[8:9], v[4:5], v[2:3]
	v_add_nc_u64_e32 v[8:9], -1, v[8:9]
; %bb.1382:                             ;   in Loop: Header=BB4_357 Depth=4
	s_or_b32 exec_lo, exec_lo, s74
	v_add_nc_u32_e32 v2, 0xffffff81, v17
	v_lshrrev_b32_e32 v5, 23, v4
	s_mov_b32 s13, exec_lo
	s_delay_alu instid0(VALU_DEP_2) | instskip(NEXT) | instid1(VALU_DEP_1)
	v_cndmask_b32_e64 v2, v2, 0xffffff82, vcc_lo
	v_add3_u32 v9, v72, v2, v5
	v_and_b32_e32 v2, 0x1fffff, v8
                                        ; implicit-def: $vgpr8
	s_delay_alu instid0(VALU_DEP_1) | instskip(NEXT) | instid1(VALU_DEP_1)
	v_dual_add_nc_u32 v17, 14, v9 :: v_dual_add_nc_u32 v2, v2, v4
                                        ; implicit-def: $vgpr4_vgpr5
	v_cmpx_ne_u32_e32 0, v17
	s_xor_b32 s13, exec_lo, s13
; %bb.1383:                             ;   in Loop: Header=BB4_357 Depth=4
	s_delay_alu instid0(VALU_DEP_2) | instskip(SKIP_1) | instid1(VALU_DEP_1)
	v_cmp_lt_u64_e32 vcc_lo, 0xffffff, v[2:3]
	v_add_nc_u32_e32 v4, 15, v9
	v_cndmask_b32_e32 v8, v17, v4, vcc_lo
	v_cndmask_b32_e64 v4, 0, 1, vcc_lo
	s_delay_alu instid0(VALU_DEP_1)
	v_lshrrev_b64 v[4:5], v4, v[2:3]
; %bb.1384:                             ;   in Loop: Header=BB4_357 Depth=4
	s_and_not1_saveexec_b32 s13, s13
; %bb.1385:                             ;   in Loop: Header=BB4_357 Depth=4
	v_mov_b64_e32 v[4:5], v[2:3]
	v_bfe_u32 v8, v2, 23, 1
; %bb.1386:                             ;   in Loop: Header=BB4_357 Depth=4
	s_or_b32 exec_lo, exec_lo, s13
	s_delay_alu instid0(VALU_DEP_2) | instskip(NEXT) | instid1(VALU_DEP_2)
	v_lshrrev_b64 v[4:5], 21, v[4:5]
	v_cmp_gt_i32_e32 vcc_lo, 32, v8
	v_min_i32_e32 v2, 31, v8
	v_cmp_eq_u32_e64 s13, 0, v8
	s_delay_alu instid0(VALU_DEP_2) | instskip(SKIP_1) | instid1(VALU_DEP_2)
	v_dual_cndmask_b32 v5, 0, v5 :: v_dual_lshlrev_b32 v2, 2, v2
	v_cndmask_b32_e32 v4, 3, v4, vcc_lo
	v_and_b32_e32 v2, 0xfc, v2
	s_delay_alu instid0(VALU_DEP_2) | instskip(NEXT) | instid1(VALU_DEP_2)
	v_cmp_eq_u64_e32 vcc_lo, 0, v[4:5]
	v_and_or_b32 v2, v4, 3, v2
	s_and_b32 s13, s13, vcc_lo
	s_delay_alu instid0(VALU_DEP_1) | instid1(SALU_CYCLE_1)
	v_cndmask_b32_e64 v2, v2, 0, s13
	s_delay_alu instid0(VALU_DEP_1)
	v_or_b32_e32 v17, v2, v103
.LBB4_1387:                             ;   in Loop: Header=BB4_357 Depth=4
	s_or_b32 exec_lo, exec_lo, s73
                                        ; implicit-def: $vgpr103
.LBB4_1388:                             ;   in Loop: Header=BB4_357 Depth=4
	s_and_not1_saveexec_b32 s13, s72
; %bb.1389:                             ;   in Loop: Header=BB4_357 Depth=4
	v_or_b32_e32 v17, 0x7b, v103
; %bb.1390:                             ;   in Loop: Header=BB4_357 Depth=4
	s_or_b32 exec_lo, exec_lo, s13
                                        ; implicit-def: $vgpr4
                                        ; implicit-def: $vgpr5
.LBB4_1391:                             ;   in Loop: Header=BB4_357 Depth=4
	s_and_not1_saveexec_b32 s13, s63
	s_cbranch_execz .LBB4_1397
; %bb.1392:                             ;   in Loop: Header=BB4_357 Depth=4
	s_mov_b32 s63, exec_lo
                                        ; implicit-def: $vgpr17
	v_cmpx_ne_u64_e32 0, v[2:3]
	s_xor_b32 s63, exec_lo, s63
; %bb.1393:                             ;   in Loop: Header=BB4_357 Depth=4
	v_or_b32_e32 v17, 0x7f, v5
                                        ; implicit-def: $vgpr4
; %bb.1394:                             ;   in Loop: Header=BB4_357 Depth=4
	s_and_not1_saveexec_b32 s63, s63
; %bb.1395:                             ;   in Loop: Header=BB4_357 Depth=4
	v_cmp_lt_i32_e32 vcc_lo, -1, v4
	v_cndmask_b32_e32 v17, 0xfc, v113, vcc_lo
; %bb.1396:                             ;   in Loop: Header=BB4_357 Depth=4
	s_or_b32 exec_lo, exec_lo, s63
.LBB4_1397:                             ;   in Loop: Header=BB4_357 Depth=4
	s_delay_alu instid0(SALU_CYCLE_1) | instskip(SKIP_3) | instid1(VALU_DEP_2)
	s_or_b32 exec_lo, exec_lo, s13
	v_dual_lshrrev_b32 v2, 16, v14 :: v_dual_mov_b32 v4, 0
	v_mov_b32_e32 v5, 0
	s_mov_b32 s13, exec_lo
	v_and_b32_e32 v8, 0xff, v2
	s_delay_alu instid0(VALU_DEP_1)
	v_cmpx_ne_u16_e32 0, v8
	s_cbranch_execz .LBB4_1407
; %bb.1398:                             ;   in Loop: Header=BB4_357 Depth=4
	v_bfrev_b32_e32 v5, 1
	s_mov_b32 s63, exec_lo
	v_cmpx_ne_u16_e32 0x80, v8
	s_cbranch_execz .LBB4_1406
; %bb.1399:                             ;   in Loop: Header=BB4_357 Depth=4
	v_and_b32_e32 v5, 0x7c0000, v14
	v_bfe_u32 v8, v14, 16, 2
	s_delay_alu instid0(VALU_DEP_2) | instskip(SKIP_1) | instid1(SALU_CYCLE_1)
	v_cmp_ne_u32_e32 vcc_lo, 0x7c0000, v5
                                        ; implicit-def: $vgpr5
	s_and_saveexec_b32 s72, vcc_lo
	s_xor_b32 s72, exec_lo, s72
	s_cbranch_execz .LBB4_1403
; %bb.1400:                             ;   in Loop: Header=BB4_357 Depth=4
	v_bfe_u32 v5, v14, 18, 5
	s_mov_b32 s73, exec_lo
	s_delay_alu instid0(VALU_DEP_1)
	v_cmpx_eq_u32_e32 0, v5
; %bb.1401:                             ;   in Loop: Header=BB4_357 Depth=4
	v_clz_i32_u32_e32 v5, v8
	s_delay_alu instid0(VALU_DEP_1) | instskip(NEXT) | instid1(VALU_DEP_1)
	v_min_u32_e32 v5, 32, v5
	v_subrev_nc_u32_e32 v8, 29, v5
	s_delay_alu instid0(VALU_DEP_1) | instskip(NEXT) | instid1(VALU_DEP_1)
	v_lshlrev_b64_e32 v[8:9], v8, v[2:3]
	v_dual_sub_nc_u32 v5, 30, v5 :: v_dual_bitop2_b32 v8, 3, v8 bitop3:0x40
; %bb.1402:                             ;   in Loop: Header=BB4_357 Depth=4
	s_or_b32 exec_lo, exec_lo, s73
	v_lshlrev_b32_e32 v2, 24, v2
	s_delay_alu instid0(VALU_DEP_1) | instskip(NEXT) | instid1(VALU_DEP_1)
	v_and_b32_e32 v2, 0x80000000, v2
	v_lshl_add_u32 v2, v5, 23, v2
	s_delay_alu instid0(VALU_DEP_1) | instskip(NEXT) | instid1(VALU_DEP_1)
	v_lshl_or_b32 v2, v8, 21, v2
                                        ; implicit-def: $vgpr8
	v_add_nc_u32_e32 v5, 0x38000000, v2
                                        ; implicit-def: $vgpr2
.LBB4_1403:                             ;   in Loop: Header=BB4_357 Depth=4
	s_and_not1_saveexec_b32 s72, s72
; %bb.1404:                             ;   in Loop: Header=BB4_357 Depth=4
	v_bfe_i32 v2, v2, 0, 8
	s_delay_alu instid0(VALU_DEP_1) | instskip(SKIP_2) | instid1(VALU_DEP_2)
	v_cmp_lt_i16_e32 vcc_lo, -1, v2
	v_cndmask_b32_e32 v2, 0xff800000, v112, vcc_lo
	v_cmp_eq_u32_e32 vcc_lo, 0, v8
	v_cndmask_b32_e32 v5, 0x7f800001, v2, vcc_lo
; %bb.1405:                             ;   in Loop: Header=BB4_357 Depth=4
	s_or_b32 exec_lo, exec_lo, s72
.LBB4_1406:                             ;   in Loop: Header=BB4_357 Depth=4
	s_delay_alu instid0(SALU_CYCLE_1)
	s_or_b32 exec_lo, exec_lo, s63
.LBB4_1407:                             ;   in Loop: Header=BB4_357 Depth=4
	s_delay_alu instid0(SALU_CYCLE_1) | instskip(SKIP_2) | instid1(VALU_DEP_1)
	s_or_b32 exec_lo, exec_lo, s13
	v_lshrrev_b32_e32 v2, 16, v10
	s_mov_b32 s13, exec_lo
	v_and_b32_e32 v8, 0xff, v2
	s_delay_alu instid0(VALU_DEP_1)
	v_cmpx_ne_u16_e32 0, v8
	s_cbranch_execz .LBB4_1417
; %bb.1408:                             ;   in Loop: Header=BB4_357 Depth=4
	v_bfrev_b32_e32 v4, 1
	s_mov_b32 s63, exec_lo
	v_cmpx_ne_u16_e32 0x80, v8
	s_cbranch_execz .LBB4_1416
; %bb.1409:                             ;   in Loop: Header=BB4_357 Depth=4
	v_and_b32_e32 v4, 0x7c0000, v10
	v_bfe_u32 v8, v10, 16, 2
	s_delay_alu instid0(VALU_DEP_2) | instskip(SKIP_1) | instid1(SALU_CYCLE_1)
	v_cmp_ne_u32_e32 vcc_lo, 0x7c0000, v4
                                        ; implicit-def: $vgpr4
	s_and_saveexec_b32 s72, vcc_lo
	s_xor_b32 s72, exec_lo, s72
	s_cbranch_execz .LBB4_1413
; %bb.1410:                             ;   in Loop: Header=BB4_357 Depth=4
	v_bfe_u32 v4, v10, 18, 5
	s_mov_b32 s73, exec_lo
	s_delay_alu instid0(VALU_DEP_1)
	v_cmpx_eq_u32_e32 0, v4
; %bb.1411:                             ;   in Loop: Header=BB4_357 Depth=4
	v_clz_i32_u32_e32 v4, v8
	s_delay_alu instid0(VALU_DEP_1) | instskip(NEXT) | instid1(VALU_DEP_1)
	v_min_u32_e32 v4, 32, v4
	v_subrev_nc_u32_e32 v8, 29, v4
	v_sub_nc_u32_e32 v4, 30, v4
	s_delay_alu instid0(VALU_DEP_2) | instskip(NEXT) | instid1(VALU_DEP_1)
	v_lshlrev_b64_e32 v[8:9], v8, v[2:3]
	v_and_b32_e32 v8, 3, v8
; %bb.1412:                             ;   in Loop: Header=BB4_357 Depth=4
	s_or_b32 exec_lo, exec_lo, s73
	v_lshlrev_b32_e32 v2, 24, v2
	s_delay_alu instid0(VALU_DEP_1) | instskip(NEXT) | instid1(VALU_DEP_1)
	v_and_b32_e32 v2, 0x80000000, v2
	v_lshl_add_u32 v2, v4, 23, v2
	s_delay_alu instid0(VALU_DEP_1) | instskip(NEXT) | instid1(VALU_DEP_1)
	v_lshl_or_b32 v2, v8, 21, v2
                                        ; implicit-def: $vgpr8
	v_add_nc_u32_e32 v4, 0x38000000, v2
                                        ; implicit-def: $vgpr2
.LBB4_1413:                             ;   in Loop: Header=BB4_357 Depth=4
	s_and_not1_saveexec_b32 s72, s72
; %bb.1414:                             ;   in Loop: Header=BB4_357 Depth=4
	v_bfe_i32 v2, v2, 0, 8
	s_delay_alu instid0(VALU_DEP_1) | instskip(SKIP_2) | instid1(VALU_DEP_2)
	v_cmp_lt_i16_e32 vcc_lo, -1, v2
	v_cndmask_b32_e32 v2, 0xff800000, v112, vcc_lo
	v_cmp_eq_u32_e32 vcc_lo, 0, v8
	v_cndmask_b32_e32 v4, 0x7f800001, v2, vcc_lo
; %bb.1415:                             ;   in Loop: Header=BB4_357 Depth=4
	s_or_b32 exec_lo, exec_lo, s72
.LBB4_1416:                             ;   in Loop: Header=BB4_357 Depth=4
	s_delay_alu instid0(SALU_CYCLE_1)
	s_or_b32 exec_lo, exec_lo, s63
.LBB4_1417:                             ;   in Loop: Header=BB4_357 Depth=4
	s_delay_alu instid0(SALU_CYCLE_1) | instskip(NEXT) | instid1(VALU_DEP_1)
	s_or_b32 exec_lo, exec_lo, s13
	v_dual_mul_f32 v4, v5, v4 :: v_dual_mov_b32 v9, v3
                                        ; implicit-def: $vgpr103
	s_mov_b32 s13, exec_lo
	s_delay_alu instid0(VALU_DEP_1) | instskip(SKIP_2) | instid1(VALU_DEP_3)
	v_and_b32_e32 v8, 0x7f800000, v4
	v_and_b32_e32 v2, 0x7fffff, v4
	v_lshrrev_b32_e32 v5, 24, v4
	v_cmpx_ne_u64_e32 0x7f800000, v[8:9]
	s_xor_b32 s63, exec_lo, s13
	s_cbranch_execz .LBB4_1431
; %bb.1418:                             ;   in Loop: Header=BB4_357 Depth=4
	v_and_b32_e32 v8, 0x7fffffff, v4
	v_mov_b32_e32 v9, v3
	v_and_b32_e32 v72, 0x80, v5
                                        ; implicit-def: $vgpr103
	s_mov_b32 s13, exec_lo
	s_delay_alu instid0(VALU_DEP_2)
	v_cmpx_gt_u64_e32 0x47600001, v[8:9]
	s_xor_b32 s72, exec_lo, s13
	s_cbranch_execz .LBB4_1428
; %bb.1419:                             ;   in Loop: Header=BB4_357 Depth=4
	v_mov_b32_e32 v103, 0
	s_mov_b32 s73, exec_lo
	v_cmpx_ne_u32_e32 0, v4
	s_cbranch_execz .LBB4_1427
; %bb.1420:                             ;   in Loop: Header=BB4_357 Depth=4
	v_bfe_u32 v103, v4, 23, 8
	v_or_b32_e32 v5, 0x800000, v2
	s_delay_alu instid0(VALU_DEP_2) | instskip(SKIP_2) | instid1(VALU_DEP_2)
	v_cmp_gt_u32_e64 s13, 0x72, v103
	v_sub_nc_u32_e32 v4, 0x71, v103
	v_cmp_eq_u32_e32 vcc_lo, 0, v103
	v_dual_cndmask_b32 v4, 0, v4, s13 :: v_dual_cndmask_b32 v2, v5, v2, vcc_lo
	s_delay_alu instid0(VALU_DEP_1) | instskip(NEXT) | instid1(VALU_DEP_1)
	v_cndmask_b32_e64 v73, v4, 0x70, vcc_lo
	v_dual_add_nc_u32 v4, 21, v73 :: v_dual_add_nc_u32 v8, 20, v73
	s_delay_alu instid0(VALU_DEP_1) | instskip(NEXT) | instid1(VALU_DEP_2)
	v_lshlrev_b64_e64 v[4:5], v4, -1
	v_lshlrev_b64_e64 v[8:9], v8, 1
	s_delay_alu instid0(VALU_DEP_2) | instskip(NEXT) | instid1(VALU_DEP_3)
	v_bfi_b32 v5, v5, 0, 0
	v_bfi_b32 v4, v4, 0, v2
	s_delay_alu instid0(VALU_DEP_1) | instskip(SKIP_1) | instid1(VALU_DEP_1)
	v_cmp_eq_u64_e64 s13, v[4:5], v[8:9]
	v_lshrrev_b64 v[4:5], v73, v[2:3]
	v_mov_b64_e32 v[8:9], v[4:5]
	s_and_saveexec_b32 s74, s13
; %bb.1421:                             ;   in Loop: Header=BB4_357 Depth=4
	v_bfe_u32 v2, v4, 21, 1
	s_delay_alu instid0(VALU_DEP_1) | instskip(NEXT) | instid1(VALU_DEP_1)
	v_add_nc_u64_e32 v[8:9], v[4:5], v[2:3]
	v_add_nc_u64_e32 v[8:9], -1, v[8:9]
; %bb.1422:                             ;   in Loop: Header=BB4_357 Depth=4
	s_or_b32 exec_lo, exec_lo, s74
	v_add_nc_u32_e32 v2, 0xffffff81, v103
	v_lshrrev_b32_e32 v5, 23, v4
	s_mov_b32 s13, exec_lo
	s_delay_alu instid0(VALU_DEP_2) | instskip(NEXT) | instid1(VALU_DEP_1)
	v_cndmask_b32_e64 v2, v2, 0xffffff82, vcc_lo
	v_add3_u32 v9, v73, v2, v5
	v_and_b32_e32 v2, 0x1fffff, v8
                                        ; implicit-def: $vgpr8
	s_delay_alu instid0(VALU_DEP_1) | instskip(NEXT) | instid1(VALU_DEP_1)
	v_dual_add_nc_u32 v103, 14, v9 :: v_dual_add_nc_u32 v2, v2, v4
                                        ; implicit-def: $vgpr4_vgpr5
	v_cmpx_ne_u32_e32 0, v103
	s_xor_b32 s13, exec_lo, s13
; %bb.1423:                             ;   in Loop: Header=BB4_357 Depth=4
	s_delay_alu instid0(VALU_DEP_2) | instskip(SKIP_1) | instid1(VALU_DEP_1)
	v_cmp_lt_u64_e32 vcc_lo, 0xffffff, v[2:3]
	v_add_nc_u32_e32 v4, 15, v9
	v_cndmask_b32_e32 v8, v103, v4, vcc_lo
	v_cndmask_b32_e64 v4, 0, 1, vcc_lo
	s_delay_alu instid0(VALU_DEP_1)
	v_lshrrev_b64 v[4:5], v4, v[2:3]
; %bb.1424:                             ;   in Loop: Header=BB4_357 Depth=4
	s_and_not1_saveexec_b32 s13, s13
; %bb.1425:                             ;   in Loop: Header=BB4_357 Depth=4
	v_mov_b64_e32 v[4:5], v[2:3]
	v_bfe_u32 v8, v2, 23, 1
; %bb.1426:                             ;   in Loop: Header=BB4_357 Depth=4
	s_or_b32 exec_lo, exec_lo, s13
	s_delay_alu instid0(VALU_DEP_2) | instskip(NEXT) | instid1(VALU_DEP_2)
	v_lshrrev_b64 v[4:5], 21, v[4:5]
	v_cmp_gt_i32_e32 vcc_lo, 32, v8
	v_min_i32_e32 v2, 31, v8
	v_cmp_eq_u32_e64 s13, 0, v8
	s_delay_alu instid0(VALU_DEP_2) | instskip(SKIP_1) | instid1(VALU_DEP_2)
	v_dual_cndmask_b32 v5, 0, v5 :: v_dual_lshlrev_b32 v2, 2, v2
	v_cndmask_b32_e32 v4, 3, v4, vcc_lo
	v_and_b32_e32 v2, 0xfc, v2
	s_delay_alu instid0(VALU_DEP_2) | instskip(NEXT) | instid1(VALU_DEP_2)
	v_cmp_eq_u64_e32 vcc_lo, 0, v[4:5]
	v_and_or_b32 v2, v4, 3, v2
	s_and_b32 s13, s13, vcc_lo
	s_delay_alu instid0(VALU_DEP_1) | instid1(SALU_CYCLE_1)
	v_cndmask_b32_e64 v2, v2, 0, s13
	s_delay_alu instid0(VALU_DEP_1)
	v_or_b32_e32 v103, v2, v72
.LBB4_1427:                             ;   in Loop: Header=BB4_357 Depth=4
	s_or_b32 exec_lo, exec_lo, s73
                                        ; implicit-def: $vgpr72
.LBB4_1428:                             ;   in Loop: Header=BB4_357 Depth=4
	s_and_not1_saveexec_b32 s13, s72
; %bb.1429:                             ;   in Loop: Header=BB4_357 Depth=4
	v_or_b32_e32 v103, 0x7b, v72
; %bb.1430:                             ;   in Loop: Header=BB4_357 Depth=4
	s_or_b32 exec_lo, exec_lo, s13
                                        ; implicit-def: $vgpr4
                                        ; implicit-def: $vgpr5
.LBB4_1431:                             ;   in Loop: Header=BB4_357 Depth=4
	s_and_not1_saveexec_b32 s13, s63
	s_cbranch_execz .LBB4_1437
; %bb.1432:                             ;   in Loop: Header=BB4_357 Depth=4
	s_mov_b32 s63, exec_lo
                                        ; implicit-def: $vgpr103
	v_cmpx_ne_u64_e32 0, v[2:3]
	s_xor_b32 s63, exec_lo, s63
; %bb.1433:                             ;   in Loop: Header=BB4_357 Depth=4
	v_or_b32_e32 v103, 0x7f, v5
                                        ; implicit-def: $vgpr4
; %bb.1434:                             ;   in Loop: Header=BB4_357 Depth=4
	s_and_not1_saveexec_b32 s63, s63
; %bb.1435:                             ;   in Loop: Header=BB4_357 Depth=4
	v_cmp_lt_i32_e32 vcc_lo, -1, v4
	v_cndmask_b32_e32 v103, 0xfc, v113, vcc_lo
; %bb.1436:                             ;   in Loop: Header=BB4_357 Depth=4
	s_or_b32 exec_lo, exec_lo, s63
.LBB4_1437:                             ;   in Loop: Header=BB4_357 Depth=4
	s_delay_alu instid0(SALU_CYCLE_1)
	s_or_b32 exec_lo, exec_lo, s13
	v_dual_mov_b32 v4, 0 :: v_dual_mov_b32 v5, 0
	s_mov_b32 s13, exec_lo
	v_cmpx_lt_u32_e32 0xffffff, v14
	s_cbranch_execz .LBB4_1447
; %bb.1438:                             ;   in Loop: Header=BB4_357 Depth=4
	v_lshrrev_b32_e32 v2, 24, v14
	v_bfrev_b32_e32 v5, 1
	s_mov_b32 s63, exec_lo
	s_delay_alu instid0(VALU_DEP_2)
	v_cmpx_ne_u32_e32 0x80, v2
	s_cbranch_execz .LBB4_1446
; %bb.1439:                             ;   in Loop: Header=BB4_357 Depth=4
	v_and_b32_e32 v5, 0x7c000000, v14
	v_bfe_u32 v8, v14, 24, 2
	s_delay_alu instid0(VALU_DEP_2) | instskip(SKIP_1) | instid1(SALU_CYCLE_1)
	v_cmp_ne_u32_e32 vcc_lo, 0x7c000000, v5
                                        ; implicit-def: $vgpr5
	s_and_saveexec_b32 s72, vcc_lo
	s_xor_b32 s72, exec_lo, s72
	s_cbranch_execz .LBB4_1443
; %bb.1440:                             ;   in Loop: Header=BB4_357 Depth=4
	v_bfe_u32 v5, v14, 26, 5
	s_mov_b32 s73, exec_lo
	s_delay_alu instid0(VALU_DEP_1)
	v_cmpx_eq_u32_e32 0, v5
; %bb.1441:                             ;   in Loop: Header=BB4_357 Depth=4
	v_clz_i32_u32_e32 v5, v8
	s_delay_alu instid0(VALU_DEP_1) | instskip(NEXT) | instid1(VALU_DEP_1)
	v_min_u32_e32 v5, 32, v5
	v_subrev_nc_u32_e32 v8, 29, v5
	s_delay_alu instid0(VALU_DEP_1) | instskip(NEXT) | instid1(VALU_DEP_1)
	v_lshlrev_b64_e32 v[8:9], v8, v[2:3]
	v_dual_sub_nc_u32 v5, 30, v5 :: v_dual_bitop2_b32 v8, 3, v8 bitop3:0x40
; %bb.1442:                             ;   in Loop: Header=BB4_357 Depth=4
	s_or_b32 exec_lo, exec_lo, s73
	v_and_b32_e32 v2, 0x80000000, v14
	s_delay_alu instid0(VALU_DEP_1) | instskip(NEXT) | instid1(VALU_DEP_1)
	v_lshl_add_u32 v2, v5, 23, v2
	v_lshl_or_b32 v2, v8, 21, v2
                                        ; implicit-def: $vgpr8
	s_delay_alu instid0(VALU_DEP_1)
	v_add_nc_u32_e32 v5, 0x38000000, v2
.LBB4_1443:                             ;   in Loop: Header=BB4_357 Depth=4
	s_and_not1_saveexec_b32 s72, s72
; %bb.1444:                             ;   in Loop: Header=BB4_357 Depth=4
	v_cmp_lt_i32_e32 vcc_lo, -1, v14
	v_cndmask_b32_e32 v2, 0xff800000, v112, vcc_lo
	v_cmp_eq_u32_e32 vcc_lo, 0, v8
	s_delay_alu instid0(VALU_DEP_2)
	v_cndmask_b32_e32 v5, 0x7f800001, v2, vcc_lo
; %bb.1445:                             ;   in Loop: Header=BB4_357 Depth=4
	s_or_b32 exec_lo, exec_lo, s72
.LBB4_1446:                             ;   in Loop: Header=BB4_357 Depth=4
	s_delay_alu instid0(SALU_CYCLE_1)
	s_or_b32 exec_lo, exec_lo, s63
.LBB4_1447:                             ;   in Loop: Header=BB4_357 Depth=4
	s_delay_alu instid0(SALU_CYCLE_1) | instskip(NEXT) | instid1(SALU_CYCLE_1)
	s_or_b32 exec_lo, exec_lo, s13
	s_mov_b32 s13, exec_lo
	v_cmpx_lt_u32_e32 0xffffff, v10
	s_cbranch_execz .LBB4_1457
; %bb.1448:                             ;   in Loop: Header=BB4_357 Depth=4
	v_lshrrev_b32_e32 v2, 24, v10
	v_bfrev_b32_e32 v4, 1
	s_mov_b32 s63, exec_lo
	s_delay_alu instid0(VALU_DEP_2)
	v_cmpx_ne_u32_e32 0x80, v2
	s_cbranch_execz .LBB4_1456
; %bb.1449:                             ;   in Loop: Header=BB4_357 Depth=4
	v_and_b32_e32 v4, 0x7c000000, v10
	v_bfe_u32 v8, v10, 24, 2
	s_delay_alu instid0(VALU_DEP_2) | instskip(SKIP_1) | instid1(SALU_CYCLE_1)
	v_cmp_ne_u32_e32 vcc_lo, 0x7c000000, v4
                                        ; implicit-def: $vgpr4
	s_and_saveexec_b32 s72, vcc_lo
	s_xor_b32 s72, exec_lo, s72
	s_cbranch_execz .LBB4_1453
; %bb.1450:                             ;   in Loop: Header=BB4_357 Depth=4
	v_bfe_u32 v4, v10, 26, 5
	s_mov_b32 s73, exec_lo
	s_delay_alu instid0(VALU_DEP_1)
	v_cmpx_eq_u32_e32 0, v4
; %bb.1451:                             ;   in Loop: Header=BB4_357 Depth=4
	v_clz_i32_u32_e32 v4, v8
	s_delay_alu instid0(VALU_DEP_1) | instskip(NEXT) | instid1(VALU_DEP_1)
	v_min_u32_e32 v4, 32, v4
	v_subrev_nc_u32_e32 v8, 29, v4
	v_sub_nc_u32_e32 v4, 30, v4
	s_delay_alu instid0(VALU_DEP_2) | instskip(NEXT) | instid1(VALU_DEP_1)
	v_lshlrev_b64_e32 v[8:9], v8, v[2:3]
	v_and_b32_e32 v8, 3, v8
; %bb.1452:                             ;   in Loop: Header=BB4_357 Depth=4
	s_or_b32 exec_lo, exec_lo, s73
	v_and_b32_e32 v2, 0x80000000, v10
	s_delay_alu instid0(VALU_DEP_1) | instskip(NEXT) | instid1(VALU_DEP_1)
	v_lshl_add_u32 v2, v4, 23, v2
	v_lshl_or_b32 v2, v8, 21, v2
                                        ; implicit-def: $vgpr8
	s_delay_alu instid0(VALU_DEP_1)
	v_add_nc_u32_e32 v4, 0x38000000, v2
.LBB4_1453:                             ;   in Loop: Header=BB4_357 Depth=4
	s_and_not1_saveexec_b32 s72, s72
; %bb.1454:                             ;   in Loop: Header=BB4_357 Depth=4
	v_cmp_lt_i32_e32 vcc_lo, -1, v10
	v_cndmask_b32_e32 v2, 0xff800000, v112, vcc_lo
	v_cmp_eq_u32_e32 vcc_lo, 0, v8
	s_delay_alu instid0(VALU_DEP_2)
	v_cndmask_b32_e32 v4, 0x7f800001, v2, vcc_lo
; %bb.1455:                             ;   in Loop: Header=BB4_357 Depth=4
	s_or_b32 exec_lo, exec_lo, s72
.LBB4_1456:                             ;   in Loop: Header=BB4_357 Depth=4
	s_delay_alu instid0(SALU_CYCLE_1)
	s_or_b32 exec_lo, exec_lo, s63
.LBB4_1457:                             ;   in Loop: Header=BB4_357 Depth=4
	s_delay_alu instid0(SALU_CYCLE_1) | instskip(NEXT) | instid1(VALU_DEP_1)
	s_or_b32 exec_lo, exec_lo, s13
	v_dual_mul_f32 v4, v5, v4 :: v_dual_mov_b32 v9, v3
                                        ; implicit-def: $vgpr72
	s_mov_b32 s13, exec_lo
	s_delay_alu instid0(VALU_DEP_1) | instskip(SKIP_2) | instid1(VALU_DEP_3)
	v_and_b32_e32 v8, 0x7f800000, v4
	v_and_b32_e32 v2, 0x7fffff, v4
	v_lshrrev_b32_e32 v5, 24, v4
	v_cmpx_ne_u64_e32 0x7f800000, v[8:9]
	s_xor_b32 s63, exec_lo, s13
	s_cbranch_execz .LBB4_1471
; %bb.1458:                             ;   in Loop: Header=BB4_357 Depth=4
	v_and_b32_e32 v8, 0x7fffffff, v4
	v_mov_b32_e32 v9, v3
	v_and_b32_e32 v73, 0x80, v5
                                        ; implicit-def: $vgpr72
	s_mov_b32 s13, exec_lo
	s_delay_alu instid0(VALU_DEP_2)
	v_cmpx_gt_u64_e32 0x47600001, v[8:9]
	s_xor_b32 s72, exec_lo, s13
	s_cbranch_execz .LBB4_1468
; %bb.1459:                             ;   in Loop: Header=BB4_357 Depth=4
	v_mov_b32_e32 v72, 0
	s_mov_b32 s73, exec_lo
	v_cmpx_ne_u32_e32 0, v4
	s_cbranch_execz .LBB4_1467
; %bb.1460:                             ;   in Loop: Header=BB4_357 Depth=4
	v_bfe_u32 v72, v4, 23, 8
	v_or_b32_e32 v5, 0x800000, v2
	s_delay_alu instid0(VALU_DEP_2) | instskip(SKIP_2) | instid1(VALU_DEP_2)
	v_cmp_gt_u32_e64 s13, 0x72, v72
	v_sub_nc_u32_e32 v4, 0x71, v72
	v_cmp_eq_u32_e32 vcc_lo, 0, v72
	v_dual_cndmask_b32 v4, 0, v4, s13 :: v_dual_cndmask_b32 v2, v5, v2, vcc_lo
	s_delay_alu instid0(VALU_DEP_1) | instskip(NEXT) | instid1(VALU_DEP_1)
	v_cndmask_b32_e64 v74, v4, 0x70, vcc_lo
	v_dual_add_nc_u32 v4, 21, v74 :: v_dual_add_nc_u32 v8, 20, v74
	s_delay_alu instid0(VALU_DEP_1) | instskip(NEXT) | instid1(VALU_DEP_2)
	v_lshlrev_b64_e64 v[4:5], v4, -1
	v_lshlrev_b64_e64 v[8:9], v8, 1
	s_delay_alu instid0(VALU_DEP_2) | instskip(NEXT) | instid1(VALU_DEP_3)
	v_bfi_b32 v5, v5, 0, 0
	v_bfi_b32 v4, v4, 0, v2
	s_delay_alu instid0(VALU_DEP_1) | instskip(SKIP_1) | instid1(VALU_DEP_1)
	v_cmp_eq_u64_e64 s13, v[4:5], v[8:9]
	v_lshrrev_b64 v[4:5], v74, v[2:3]
	v_mov_b64_e32 v[8:9], v[4:5]
	s_and_saveexec_b32 s74, s13
; %bb.1461:                             ;   in Loop: Header=BB4_357 Depth=4
	v_bfe_u32 v2, v4, 21, 1
	s_delay_alu instid0(VALU_DEP_1) | instskip(NEXT) | instid1(VALU_DEP_1)
	v_add_nc_u64_e32 v[8:9], v[4:5], v[2:3]
	v_add_nc_u64_e32 v[8:9], -1, v[8:9]
; %bb.1462:                             ;   in Loop: Header=BB4_357 Depth=4
	s_or_b32 exec_lo, exec_lo, s74
	v_add_nc_u32_e32 v2, 0xffffff81, v72
	v_lshrrev_b32_e32 v5, 23, v4
	s_mov_b32 s13, exec_lo
	s_delay_alu instid0(VALU_DEP_2) | instskip(NEXT) | instid1(VALU_DEP_1)
	v_cndmask_b32_e64 v2, v2, 0xffffff82, vcc_lo
	v_add3_u32 v9, v74, v2, v5
	v_and_b32_e32 v2, 0x1fffff, v8
                                        ; implicit-def: $vgpr8
	s_delay_alu instid0(VALU_DEP_1) | instskip(NEXT) | instid1(VALU_DEP_1)
	v_dual_add_nc_u32 v72, 14, v9 :: v_dual_add_nc_u32 v2, v2, v4
                                        ; implicit-def: $vgpr4_vgpr5
	v_cmpx_ne_u32_e32 0, v72
	s_xor_b32 s13, exec_lo, s13
; %bb.1463:                             ;   in Loop: Header=BB4_357 Depth=4
	s_delay_alu instid0(VALU_DEP_2) | instskip(SKIP_1) | instid1(VALU_DEP_1)
	v_cmp_lt_u64_e32 vcc_lo, 0xffffff, v[2:3]
	v_add_nc_u32_e32 v4, 15, v9
	v_cndmask_b32_e32 v8, v72, v4, vcc_lo
	v_cndmask_b32_e64 v4, 0, 1, vcc_lo
	s_delay_alu instid0(VALU_DEP_1)
	v_lshrrev_b64 v[4:5], v4, v[2:3]
; %bb.1464:                             ;   in Loop: Header=BB4_357 Depth=4
	s_and_not1_saveexec_b32 s13, s13
; %bb.1465:                             ;   in Loop: Header=BB4_357 Depth=4
	v_mov_b64_e32 v[4:5], v[2:3]
	v_bfe_u32 v8, v2, 23, 1
; %bb.1466:                             ;   in Loop: Header=BB4_357 Depth=4
	s_or_b32 exec_lo, exec_lo, s13
	s_delay_alu instid0(VALU_DEP_2) | instskip(NEXT) | instid1(VALU_DEP_2)
	v_lshrrev_b64 v[4:5], 21, v[4:5]
	v_cmp_gt_i32_e32 vcc_lo, 32, v8
	v_min_i32_e32 v2, 31, v8
	v_cmp_eq_u32_e64 s13, 0, v8
	s_delay_alu instid0(VALU_DEP_2) | instskip(SKIP_1) | instid1(VALU_DEP_2)
	v_dual_cndmask_b32 v5, 0, v5 :: v_dual_lshlrev_b32 v2, 2, v2
	v_cndmask_b32_e32 v4, 3, v4, vcc_lo
	v_and_b32_e32 v2, 0xfc, v2
	s_delay_alu instid0(VALU_DEP_2) | instskip(NEXT) | instid1(VALU_DEP_2)
	v_cmp_eq_u64_e32 vcc_lo, 0, v[4:5]
	v_and_or_b32 v2, v4, 3, v2
	s_and_b32 s13, s13, vcc_lo
	s_delay_alu instid0(VALU_DEP_1) | instid1(SALU_CYCLE_1)
	v_cndmask_b32_e64 v2, v2, 0, s13
	s_delay_alu instid0(VALU_DEP_1)
	v_or_b32_e32 v72, v2, v73
.LBB4_1467:                             ;   in Loop: Header=BB4_357 Depth=4
	s_or_b32 exec_lo, exec_lo, s73
                                        ; implicit-def: $vgpr73
.LBB4_1468:                             ;   in Loop: Header=BB4_357 Depth=4
	s_and_not1_saveexec_b32 s13, s72
; %bb.1469:                             ;   in Loop: Header=BB4_357 Depth=4
	v_or_b32_e32 v72, 0x7b, v73
; %bb.1470:                             ;   in Loop: Header=BB4_357 Depth=4
	s_or_b32 exec_lo, exec_lo, s13
                                        ; implicit-def: $vgpr4
                                        ; implicit-def: $vgpr5
.LBB4_1471:                             ;   in Loop: Header=BB4_357 Depth=4
	s_and_not1_saveexec_b32 s13, s63
	s_cbranch_execz .LBB4_1477
; %bb.1472:                             ;   in Loop: Header=BB4_357 Depth=4
	s_mov_b32 s63, exec_lo
                                        ; implicit-def: $vgpr72
	v_cmpx_ne_u64_e32 0, v[2:3]
	s_xor_b32 s63, exec_lo, s63
; %bb.1473:                             ;   in Loop: Header=BB4_357 Depth=4
	v_or_b32_e32 v72, 0x7f, v5
                                        ; implicit-def: $vgpr4
; %bb.1474:                             ;   in Loop: Header=BB4_357 Depth=4
	s_and_not1_saveexec_b32 s63, s63
; %bb.1475:                             ;   in Loop: Header=BB4_357 Depth=4
	v_cmp_lt_i32_e32 vcc_lo, -1, v4
	v_cndmask_b32_e32 v72, 0xfc, v113, vcc_lo
; %bb.1476:                             ;   in Loop: Header=BB4_357 Depth=4
	s_or_b32 exec_lo, exec_lo, s63
.LBB4_1477:                             ;   in Loop: Header=BB4_357 Depth=4
	s_delay_alu instid0(SALU_CYCLE_1) | instskip(SKIP_4) | instid1(VALU_DEP_3)
	s_or_b32 exec_lo, exec_lo, s13
	v_and_b32_e32 v8, 0xff, v15
	v_dual_mov_b32 v2, v15 :: v_dual_mov_b32 v5, 0
	v_mov_b32_e32 v4, 0
	s_mov_b32 s13, exec_lo
	v_cmpx_ne_u16_e32 0, v8
	s_cbranch_execz .LBB4_1487
; %bb.1478:                             ;   in Loop: Header=BB4_357 Depth=4
	v_bfrev_b32_e32 v4, 1
	s_mov_b32 s63, exec_lo
	v_cmpx_ne_u16_e32 0x80, v8
	s_cbranch_execz .LBB4_1486
; %bb.1479:                             ;   in Loop: Header=BB4_357 Depth=4
	v_and_b32_e32 v4, 0x7c, v15
	v_and_b32_e32 v8, 3, v15
	s_delay_alu instid0(VALU_DEP_2) | instskip(SKIP_1) | instid1(SALU_CYCLE_1)
	v_cmp_ne_u32_e32 vcc_lo, 0x7c, v4
                                        ; implicit-def: $vgpr4
	s_and_saveexec_b32 s72, vcc_lo
	s_xor_b32 s72, exec_lo, s72
	s_cbranch_execz .LBB4_1483
; %bb.1480:                             ;   in Loop: Header=BB4_357 Depth=4
	v_bfe_u32 v4, v15, 2, 5
	s_mov_b32 s73, exec_lo
	s_delay_alu instid0(VALU_DEP_1)
	v_cmpx_eq_u32_e32 0, v4
; %bb.1481:                             ;   in Loop: Header=BB4_357 Depth=4
	v_clz_i32_u32_e32 v4, v8
	s_delay_alu instid0(VALU_DEP_1) | instskip(NEXT) | instid1(VALU_DEP_1)
	v_min_u32_e32 v4, 32, v4
	v_subrev_nc_u32_e32 v8, 29, v4
	v_sub_nc_u32_e32 v4, 30, v4
	s_delay_alu instid0(VALU_DEP_2) | instskip(NEXT) | instid1(VALU_DEP_1)
	v_lshlrev_b64_e32 v[8:9], v8, v[2:3]
	v_and_b32_e32 v8, 3, v8
; %bb.1482:                             ;   in Loop: Header=BB4_357 Depth=4
	s_or_b32 exec_lo, exec_lo, s73
	v_lshlrev_b32_e32 v9, 24, v15
	s_delay_alu instid0(VALU_DEP_1) | instskip(NEXT) | instid1(VALU_DEP_1)
	v_and_b32_e32 v9, 0x80000000, v9
	v_lshl_add_u32 v4, v4, 23, v9
	s_delay_alu instid0(VALU_DEP_1) | instskip(NEXT) | instid1(VALU_DEP_1)
	v_lshl_or_b32 v4, v8, 21, v4
                                        ; implicit-def: $vgpr8
	v_add_nc_u32_e32 v4, 0x38000000, v4
.LBB4_1483:                             ;   in Loop: Header=BB4_357 Depth=4
	s_and_not1_saveexec_b32 s72, s72
; %bb.1484:                             ;   in Loop: Header=BB4_357 Depth=4
	v_bfe_i32 v4, v15, 0, 8
	s_delay_alu instid0(VALU_DEP_1) | instskip(SKIP_2) | instid1(VALU_DEP_2)
	v_cmp_lt_i16_e32 vcc_lo, -1, v4
	v_cndmask_b32_e32 v4, 0xff800000, v112, vcc_lo
	v_cmp_eq_u32_e32 vcc_lo, 0, v8
	v_cndmask_b32_e32 v4, 0x7f800001, v4, vcc_lo
; %bb.1485:                             ;   in Loop: Header=BB4_357 Depth=4
	s_or_b32 exec_lo, exec_lo, s72
.LBB4_1486:                             ;   in Loop: Header=BB4_357 Depth=4
	s_delay_alu instid0(SALU_CYCLE_1)
	s_or_b32 exec_lo, exec_lo, s63
.LBB4_1487:                             ;   in Loop: Header=BB4_357 Depth=4
	s_delay_alu instid0(SALU_CYCLE_1) | instskip(SKIP_2) | instid1(VALU_DEP_1)
	s_or_b32 exec_lo, exec_lo, s13
	v_and_b32_e32 v8, 0xff, v11
	s_mov_b32 s13, exec_lo
	v_cmpx_ne_u16_e32 0, v8
	s_cbranch_execz .LBB4_1497
; %bb.1488:                             ;   in Loop: Header=BB4_357 Depth=4
	v_bfrev_b32_e32 v5, 1
	s_mov_b32 s63, exec_lo
	v_cmpx_ne_u16_e32 0x80, v8
	s_cbranch_execz .LBB4_1496
; %bb.1489:                             ;   in Loop: Header=BB4_357 Depth=4
	v_and_b32_e32 v5, 0x7c, v11
	v_and_b32_e32 v8, 3, v11
	s_delay_alu instid0(VALU_DEP_2) | instskip(SKIP_1) | instid1(SALU_CYCLE_1)
	v_cmp_ne_u32_e32 vcc_lo, 0x7c, v5
                                        ; implicit-def: $vgpr5
	s_and_saveexec_b32 s72, vcc_lo
	s_xor_b32 s72, exec_lo, s72
	s_cbranch_execz .LBB4_1493
; %bb.1490:                             ;   in Loop: Header=BB4_357 Depth=4
	v_bfe_u32 v5, v11, 2, 5
	s_mov_b32 s73, exec_lo
	s_delay_alu instid0(VALU_DEP_1)
	v_cmpx_eq_u32_e32 0, v5
; %bb.1491:                             ;   in Loop: Header=BB4_357 Depth=4
	v_clz_i32_u32_e32 v5, v8
	v_dual_mov_b32 v8, v11 :: v_dual_mov_b32 v9, v3
	s_delay_alu instid0(VALU_DEP_2) | instskip(NEXT) | instid1(VALU_DEP_1)
	v_min_u32_e32 v5, 32, v5
	v_subrev_nc_u32_e32 v73, 29, v5
	s_delay_alu instid0(VALU_DEP_1) | instskip(NEXT) | instid1(VALU_DEP_1)
	v_lshlrev_b64_e32 v[8:9], v73, v[8:9]
	v_dual_sub_nc_u32 v5, 30, v5 :: v_dual_bitop2_b32 v8, 3, v8 bitop3:0x40
; %bb.1492:                             ;   in Loop: Header=BB4_357 Depth=4
	s_or_b32 exec_lo, exec_lo, s73
	v_lshlrev_b32_e32 v9, 24, v11
	s_delay_alu instid0(VALU_DEP_1) | instskip(NEXT) | instid1(VALU_DEP_1)
	v_and_b32_e32 v9, 0x80000000, v9
	v_lshl_add_u32 v5, v5, 23, v9
	s_delay_alu instid0(VALU_DEP_1) | instskip(NEXT) | instid1(VALU_DEP_1)
	v_lshl_or_b32 v5, v8, 21, v5
                                        ; implicit-def: $vgpr8
	v_add_nc_u32_e32 v5, 0x38000000, v5
.LBB4_1493:                             ;   in Loop: Header=BB4_357 Depth=4
	s_and_not1_saveexec_b32 s72, s72
; %bb.1494:                             ;   in Loop: Header=BB4_357 Depth=4
	v_bfe_i32 v5, v11, 0, 8
	s_delay_alu instid0(VALU_DEP_1) | instskip(SKIP_2) | instid1(VALU_DEP_2)
	v_cmp_lt_i16_e32 vcc_lo, -1, v5
	v_cndmask_b32_e32 v5, 0xff800000, v112, vcc_lo
	v_cmp_eq_u32_e32 vcc_lo, 0, v8
	v_cndmask_b32_e32 v5, 0x7f800001, v5, vcc_lo
; %bb.1495:                             ;   in Loop: Header=BB4_357 Depth=4
	s_or_b32 exec_lo, exec_lo, s72
.LBB4_1496:                             ;   in Loop: Header=BB4_357 Depth=4
	s_delay_alu instid0(SALU_CYCLE_1)
	s_or_b32 exec_lo, exec_lo, s63
.LBB4_1497:                             ;   in Loop: Header=BB4_357 Depth=4
	s_delay_alu instid0(SALU_CYCLE_1) | instskip(NEXT) | instid1(VALU_DEP_1)
	s_or_b32 exec_lo, exec_lo, s13
	v_dual_mul_f32 v8, v4, v5 :: v_dual_mov_b32 v75, v3
	v_mov_b32_e32 v5, v3
                                        ; implicit-def: $vgpr73
	s_mov_b32 s13, exec_lo
	s_delay_alu instid0(VALU_DEP_2) | instskip(SKIP_2) | instid1(VALU_DEP_3)
	v_and_b32_e32 v74, 0x7f800000, v8
	v_and_b32_e32 v4, 0x7fffff, v8
	v_lshrrev_b32_e32 v9, 24, v8
	v_cmpx_ne_u64_e32 0x7f800000, v[74:75]
	s_xor_b32 s63, exec_lo, s13
	s_cbranch_execz .LBB4_1511
; %bb.1498:                             ;   in Loop: Header=BB4_357 Depth=4
	v_and_b32_e32 v74, 0x7fffffff, v8
	v_mov_b32_e32 v75, v3
                                        ; implicit-def: $vgpr73
	s_delay_alu instid0(VALU_DEP_1) | instskip(SKIP_2) | instid1(SALU_CYCLE_1)
	v_cmp_gt_u64_e32 vcc_lo, 0x47600001, v[74:75]
	v_and_b32_e32 v74, 0x80, v9
	s_and_saveexec_b32 s13, vcc_lo
	s_xor_b32 s72, exec_lo, s13
	s_cbranch_execz .LBB4_1508
; %bb.1499:                             ;   in Loop: Header=BB4_357 Depth=4
	v_mov_b32_e32 v73, 0
	s_mov_b32 s73, exec_lo
	v_cmpx_ne_u32_e32 0, v8
	s_cbranch_execz .LBB4_1507
; %bb.1500:                             ;   in Loop: Header=BB4_357 Depth=4
	v_bfe_u32 v73, v8, 23, 8
	v_or_b32_e32 v9, 0x800000, v4
	s_delay_alu instid0(VALU_DEP_2) | instskip(SKIP_2) | instid1(VALU_DEP_2)
	v_cmp_gt_u32_e64 s13, 0x72, v73
	v_sub_nc_u32_e32 v8, 0x71, v73
	v_cmp_eq_u32_e32 vcc_lo, 0, v73
	v_cndmask_b32_e64 v8, 0, v8, s13
	s_delay_alu instid0(VALU_DEP_1) | instskip(NEXT) | instid1(VALU_DEP_1)
	v_cndmask_b32_e64 v75, v8, 0x70, vcc_lo
	v_dual_cndmask_b32 v4, v9, v4, vcc_lo :: v_dual_add_nc_u32 v8, 21, v75
	v_add_nc_u32_e32 v76, 20, v75
	s_delay_alu instid0(VALU_DEP_2) | instskip(NEXT) | instid1(VALU_DEP_2)
	v_lshlrev_b64_e64 v[8:9], v8, -1
	v_lshlrev_b64_e64 v[76:77], v76, 1
	s_delay_alu instid0(VALU_DEP_2) | instskip(SKIP_1) | instid1(VALU_DEP_4)
	v_bfi_b32 v8, v8, 0, v4
	v_lshrrev_b64 v[4:5], v75, v[4:5]
	v_bfi_b32 v9, v9, 0, 0
	s_delay_alu instid0(VALU_DEP_1) | instskip(NEXT) | instid1(VALU_DEP_3)
	v_cmp_eq_u64_e64 s13, v[8:9], v[76:77]
	v_mov_b64_e32 v[8:9], v[4:5]
	s_and_saveexec_b32 s74, s13
; %bb.1501:                             ;   in Loop: Header=BB4_357 Depth=4
	v_bfe_u32 v8, v4, 21, 1
	v_mov_b32_e32 v9, v3
	s_delay_alu instid0(VALU_DEP_1) | instskip(NEXT) | instid1(VALU_DEP_1)
	v_add_nc_u64_e32 v[8:9], v[4:5], v[8:9]
	v_add_nc_u64_e32 v[8:9], -1, v[8:9]
; %bb.1502:                             ;   in Loop: Header=BB4_357 Depth=4
	s_or_b32 exec_lo, exec_lo, s74
	v_add_nc_u32_e32 v5, 0xffffff81, v73
	v_lshrrev_b32_e32 v9, 23, v4
	s_mov_b32 s13, exec_lo
	s_delay_alu instid0(VALU_DEP_2) | instskip(NEXT) | instid1(VALU_DEP_1)
	v_cndmask_b32_e64 v5, v5, 0xffffff82, vcc_lo
	v_add3_u32 v73, v75, v5, v9
	v_and_b32_e32 v5, 0x1fffff, v8
                                        ; implicit-def: $vgpr8
	s_delay_alu instid0(VALU_DEP_1) | instskip(SKIP_1) | instid1(VALU_DEP_2)
	v_dual_add_nc_u32 v9, 14, v73 :: v_dual_add_nc_u32 v4, v5, v4
	v_mov_b32_e32 v5, v3
	v_cmpx_ne_u32_e32 0, v9
	s_xor_b32 s13, exec_lo, s13
; %bb.1503:                             ;   in Loop: Header=BB4_357 Depth=4
	s_delay_alu instid0(VALU_DEP_2) | instskip(SKIP_1) | instid1(VALU_DEP_1)
	v_cmp_lt_u64_e32 vcc_lo, 0xffffff, v[4:5]
	v_add_nc_u32_e32 v8, 15, v73
	v_cndmask_b32_e32 v8, v9, v8, vcc_lo
	v_cndmask_b32_e64 v9, 0, 1, vcc_lo
	s_delay_alu instid0(VALU_DEP_1)
	v_lshrrev_b64 v[4:5], v9, v[4:5]
; %bb.1504:                             ;   in Loop: Header=BB4_357 Depth=4
	s_and_not1_saveexec_b32 s13, s13
; %bb.1505:                             ;   in Loop: Header=BB4_357 Depth=4
	s_delay_alu instid0(VALU_DEP_1)
	v_bfe_u32 v8, v4, 23, 1
; %bb.1506:                             ;   in Loop: Header=BB4_357 Depth=4
	s_or_b32 exec_lo, exec_lo, s13
	s_delay_alu instid0(VALU_DEP_2) | instskip(NEXT) | instid1(VALU_DEP_2)
	v_lshrrev_b64 v[4:5], 21, v[4:5]
	v_cmp_gt_i32_e32 vcc_lo, 32, v8
	v_min_i32_e32 v9, 31, v8
	v_cmp_eq_u32_e64 s13, 0, v8
	s_delay_alu instid0(VALU_DEP_4) | instskip(NEXT) | instid1(VALU_DEP_3)
	v_cndmask_b32_e32 v5, 0, v5, vcc_lo
	v_dual_cndmask_b32 v4, 3, v4 :: v_dual_lshlrev_b32 v9, 2, v9
	s_delay_alu instid0(VALU_DEP_1) | instskip(NEXT) | instid1(VALU_DEP_2)
	v_and_b32_e32 v9, 0xfc, v9
	v_cmp_eq_u64_e32 vcc_lo, 0, v[4:5]
	s_delay_alu instid0(VALU_DEP_2)
	v_and_or_b32 v4, v4, 3, v9
	s_and_b32 s13, s13, vcc_lo
	s_delay_alu instid0(VALU_DEP_1) | instid1(SALU_CYCLE_1)
	v_cndmask_b32_e64 v4, v4, 0, s13
	s_delay_alu instid0(VALU_DEP_1)
	v_or_b32_e32 v73, v4, v74
.LBB4_1507:                             ;   in Loop: Header=BB4_357 Depth=4
	s_or_b32 exec_lo, exec_lo, s73
                                        ; implicit-def: $vgpr74
.LBB4_1508:                             ;   in Loop: Header=BB4_357 Depth=4
	s_and_not1_saveexec_b32 s13, s72
; %bb.1509:                             ;   in Loop: Header=BB4_357 Depth=4
	v_or_b32_e32 v73, 0x7b, v74
; %bb.1510:                             ;   in Loop: Header=BB4_357 Depth=4
	s_or_b32 exec_lo, exec_lo, s13
                                        ; implicit-def: $vgpr8
                                        ; implicit-def: $vgpr4_vgpr5
                                        ; implicit-def: $vgpr9
.LBB4_1511:                             ;   in Loop: Header=BB4_357 Depth=4
	s_and_not1_saveexec_b32 s13, s63
	s_cbranch_execz .LBB4_1517
; %bb.1512:                             ;   in Loop: Header=BB4_357 Depth=4
	s_mov_b32 s63, exec_lo
                                        ; implicit-def: $vgpr73
	v_cmpx_ne_u64_e32 0, v[4:5]
	s_xor_b32 s63, exec_lo, s63
; %bb.1513:                             ;   in Loop: Header=BB4_357 Depth=4
	v_or_b32_e32 v73, 0x7f, v9
                                        ; implicit-def: $vgpr8
; %bb.1514:                             ;   in Loop: Header=BB4_357 Depth=4
	s_and_not1_saveexec_b32 s63, s63
; %bb.1515:                             ;   in Loop: Header=BB4_357 Depth=4
	v_cmp_lt_i32_e32 vcc_lo, -1, v8
	v_cndmask_b32_e32 v73, 0xfc, v113, vcc_lo
; %bb.1516:                             ;   in Loop: Header=BB4_357 Depth=4
	s_or_b32 exec_lo, exec_lo, s63
.LBB4_1517:                             ;   in Loop: Header=BB4_357 Depth=4
	s_delay_alu instid0(SALU_CYCLE_1) | instskip(SKIP_3) | instid1(VALU_DEP_2)
	s_or_b32 exec_lo, exec_lo, s13
	v_lshrrev_b16 v4, 8, v2
	v_dual_mov_b32 v8, 0 :: v_dual_mov_b32 v5, 0
	s_mov_b32 s13, exec_lo
	v_cmpx_ne_u16_e32 0, v4
	s_cbranch_execz .LBB4_1527
; %bb.1518:                             ;   in Loop: Header=BB4_357 Depth=4
	v_bfrev_b32_e32 v5, 1
	s_mov_b32 s63, exec_lo
	v_cmpx_ne_u16_e32 0x80, v4
	s_cbranch_execz .LBB4_1526
; %bb.1519:                             ;   in Loop: Header=BB4_357 Depth=4
	v_and_b32_e32 v74, 0xffff, v4
	s_delay_alu instid0(VALU_DEP_1) | instskip(SKIP_1) | instid1(VALU_DEP_2)
	v_and_b32_e32 v5, 0x7c, v74
	v_and_b32_e32 v9, 3, v74
	v_cmp_ne_u32_e32 vcc_lo, 0x7c, v5
                                        ; implicit-def: $vgpr5
	s_and_saveexec_b32 s72, vcc_lo
	s_delay_alu instid0(SALU_CYCLE_1)
	s_xor_b32 s72, exec_lo, s72
	s_cbranch_execz .LBB4_1523
; %bb.1520:                             ;   in Loop: Header=BB4_357 Depth=4
	v_bfe_u32 v5, v74, 2, 5
	s_mov_b32 s73, exec_lo
	s_delay_alu instid0(VALU_DEP_1)
	v_cmpx_eq_u32_e32 0, v5
; %bb.1521:                             ;   in Loop: Header=BB4_357 Depth=4
	v_clz_i32_u32_e32 v5, v9
	s_delay_alu instid0(VALU_DEP_1) | instskip(SKIP_1) | instid1(VALU_DEP_2)
	v_min_u32_e32 v9, 32, v5
	v_mov_b32_e32 v5, v3
	v_subrev_nc_u32_e32 v74, 29, v9
	s_delay_alu instid0(VALU_DEP_1) | instskip(NEXT) | instid1(VALU_DEP_1)
	v_lshlrev_b64_e32 v[4:5], v74, v[4:5]
	v_dual_sub_nc_u32 v5, 30, v9 :: v_dual_bitop2_b32 v9, 3, v4 bitop3:0x40
; %bb.1522:                             ;   in Loop: Header=BB4_357 Depth=4
	s_or_b32 exec_lo, exec_lo, s73
	v_lshlrev_b32_e32 v2, 16, v2
	s_delay_alu instid0(VALU_DEP_1) | instskip(NEXT) | instid1(VALU_DEP_1)
	v_and_b32_e32 v2, 0x80000000, v2
	v_lshl_add_u32 v2, v5, 23, v2
	s_delay_alu instid0(VALU_DEP_1) | instskip(NEXT) | instid1(VALU_DEP_1)
	v_lshl_or_b32 v2, v9, 21, v2
                                        ; implicit-def: $vgpr9
	v_add_nc_u32_e32 v5, 0x38000000, v2
.LBB4_1523:                             ;   in Loop: Header=BB4_357 Depth=4
	s_and_not1_saveexec_b32 s72, s72
; %bb.1524:                             ;   in Loop: Header=BB4_357 Depth=4
	v_cmp_lt_i16_e32 vcc_lo, -1, v2
	v_cndmask_b32_e32 v2, 0xff800000, v112, vcc_lo
	v_cmp_eq_u32_e32 vcc_lo, 0, v9
	s_delay_alu instid0(VALU_DEP_2)
	v_cndmask_b32_e32 v5, 0x7f800001, v2, vcc_lo
; %bb.1525:                             ;   in Loop: Header=BB4_357 Depth=4
	s_or_b32 exec_lo, exec_lo, s72
.LBB4_1526:                             ;   in Loop: Header=BB4_357 Depth=4
	s_delay_alu instid0(SALU_CYCLE_1)
	s_or_b32 exec_lo, exec_lo, s63
.LBB4_1527:                             ;   in Loop: Header=BB4_357 Depth=4
	s_delay_alu instid0(SALU_CYCLE_1) | instskip(SKIP_2) | instid1(VALU_DEP_1)
	s_or_b32 exec_lo, exec_lo, s13
	v_lshrrev_b16 v2, 8, v11
	s_mov_b32 s13, exec_lo
	v_cmpx_ne_u16_e32 0, v2
	s_cbranch_execz .LBB4_1537
; %bb.1528:                             ;   in Loop: Header=BB4_357 Depth=4
	v_bfrev_b32_e32 v8, 1
	s_mov_b32 s63, exec_lo
	v_cmpx_ne_u16_e32 0x80, v2
	s_cbranch_execz .LBB4_1536
; %bb.1529:                             ;   in Loop: Header=BB4_357 Depth=4
	v_and_b32_e32 v9, 0xffff, v2
	s_delay_alu instid0(VALU_DEP_1) | instskip(SKIP_1) | instid1(VALU_DEP_2)
	v_and_b32_e32 v8, 0x7c, v9
	v_and_b32_e32 v4, 3, v9
	v_cmp_ne_u32_e32 vcc_lo, 0x7c, v8
                                        ; implicit-def: $vgpr8
	s_and_saveexec_b32 s72, vcc_lo
	s_delay_alu instid0(SALU_CYCLE_1)
	s_xor_b32 s72, exec_lo, s72
	s_cbranch_execz .LBB4_1533
; %bb.1530:                             ;   in Loop: Header=BB4_357 Depth=4
	v_bfe_u32 v8, v9, 2, 5
	s_mov_b32 s73, exec_lo
	s_delay_alu instid0(VALU_DEP_1)
	v_cmpx_eq_u32_e32 0, v8
; %bb.1531:                             ;   in Loop: Header=BB4_357 Depth=4
	v_clz_i32_u32_e32 v4, v4
	s_delay_alu instid0(VALU_DEP_1) | instskip(NEXT) | instid1(VALU_DEP_1)
	v_min_u32_e32 v4, 32, v4
	v_subrev_nc_u32_e32 v8, 29, v4
	s_delay_alu instid0(VALU_DEP_1) | instskip(NEXT) | instid1(VALU_DEP_1)
	v_lshlrev_b64_e32 v[74:75], v8, v[2:3]
	v_dual_sub_nc_u32 v8, 30, v4 :: v_dual_bitop2_b32 v4, 3, v74 bitop3:0x40
; %bb.1532:                             ;   in Loop: Header=BB4_357 Depth=4
	s_or_b32 exec_lo, exec_lo, s73
	v_lshlrev_b32_e32 v2, 16, v11
	s_delay_alu instid0(VALU_DEP_1) | instskip(NEXT) | instid1(VALU_DEP_1)
	v_and_b32_e32 v2, 0x80000000, v2
	v_lshl_add_u32 v2, v8, 23, v2
	s_delay_alu instid0(VALU_DEP_1) | instskip(NEXT) | instid1(VALU_DEP_1)
	v_lshl_or_b32 v2, v4, 21, v2
                                        ; implicit-def: $vgpr4
	v_add_nc_u32_e32 v8, 0x38000000, v2
.LBB4_1533:                             ;   in Loop: Header=BB4_357 Depth=4
	s_and_not1_saveexec_b32 s72, s72
; %bb.1534:                             ;   in Loop: Header=BB4_357 Depth=4
	v_cmp_lt_i16_e32 vcc_lo, -1, v11
	v_cndmask_b32_e32 v2, 0xff800000, v112, vcc_lo
	v_cmp_eq_u32_e32 vcc_lo, 0, v4
	s_delay_alu instid0(VALU_DEP_2)
	v_cndmask_b32_e32 v8, 0x7f800001, v2, vcc_lo
; %bb.1535:                             ;   in Loop: Header=BB4_357 Depth=4
	s_or_b32 exec_lo, exec_lo, s72
.LBB4_1536:                             ;   in Loop: Header=BB4_357 Depth=4
	s_delay_alu instid0(SALU_CYCLE_1)
	s_or_b32 exec_lo, exec_lo, s63
.LBB4_1537:                             ;   in Loop: Header=BB4_357 Depth=4
	s_delay_alu instid0(SALU_CYCLE_1) | instskip(NEXT) | instid1(VALU_DEP_1)
	s_or_b32 exec_lo, exec_lo, s13
	v_dual_mul_f32 v4, v5, v8 :: v_dual_mov_b32 v9, v3
                                        ; implicit-def: $vgpr74
	s_mov_b32 s13, exec_lo
	s_delay_alu instid0(VALU_DEP_1) | instskip(SKIP_2) | instid1(VALU_DEP_3)
	v_and_b32_e32 v8, 0x7f800000, v4
	v_and_b32_e32 v2, 0x7fffff, v4
	v_lshrrev_b32_e32 v5, 24, v4
	v_cmpx_ne_u64_e32 0x7f800000, v[8:9]
	s_xor_b32 s63, exec_lo, s13
	s_cbranch_execz .LBB4_1551
; %bb.1538:                             ;   in Loop: Header=BB4_357 Depth=4
	v_and_b32_e32 v8, 0x7fffffff, v4
	v_mov_b32_e32 v9, v3
	v_and_b32_e32 v75, 0x80, v5
                                        ; implicit-def: $vgpr74
	s_mov_b32 s13, exec_lo
	s_delay_alu instid0(VALU_DEP_2)
	v_cmpx_gt_u64_e32 0x47600001, v[8:9]
	s_xor_b32 s72, exec_lo, s13
	s_cbranch_execz .LBB4_1548
; %bb.1539:                             ;   in Loop: Header=BB4_357 Depth=4
	v_mov_b32_e32 v74, 0
	s_mov_b32 s73, exec_lo
	v_cmpx_ne_u32_e32 0, v4
	s_cbranch_execz .LBB4_1547
; %bb.1540:                             ;   in Loop: Header=BB4_357 Depth=4
	v_bfe_u32 v74, v4, 23, 8
	v_or_b32_e32 v5, 0x800000, v2
	s_delay_alu instid0(VALU_DEP_2) | instskip(SKIP_2) | instid1(VALU_DEP_2)
	v_cmp_gt_u32_e64 s13, 0x72, v74
	v_sub_nc_u32_e32 v4, 0x71, v74
	v_cmp_eq_u32_e32 vcc_lo, 0, v74
	v_dual_cndmask_b32 v4, 0, v4, s13 :: v_dual_cndmask_b32 v2, v5, v2, vcc_lo
	s_delay_alu instid0(VALU_DEP_1) | instskip(NEXT) | instid1(VALU_DEP_1)
	v_cndmask_b32_e64 v76, v4, 0x70, vcc_lo
	v_dual_add_nc_u32 v4, 21, v76 :: v_dual_add_nc_u32 v8, 20, v76
	s_delay_alu instid0(VALU_DEP_1) | instskip(NEXT) | instid1(VALU_DEP_2)
	v_lshlrev_b64_e64 v[4:5], v4, -1
	v_lshlrev_b64_e64 v[8:9], v8, 1
	s_delay_alu instid0(VALU_DEP_2) | instskip(NEXT) | instid1(VALU_DEP_3)
	v_bfi_b32 v5, v5, 0, 0
	v_bfi_b32 v4, v4, 0, v2
	s_delay_alu instid0(VALU_DEP_1) | instskip(SKIP_1) | instid1(VALU_DEP_1)
	v_cmp_eq_u64_e64 s13, v[4:5], v[8:9]
	v_lshrrev_b64 v[4:5], v76, v[2:3]
	v_mov_b64_e32 v[8:9], v[4:5]
	s_and_saveexec_b32 s74, s13
; %bb.1541:                             ;   in Loop: Header=BB4_357 Depth=4
	v_bfe_u32 v2, v4, 21, 1
	s_delay_alu instid0(VALU_DEP_1) | instskip(NEXT) | instid1(VALU_DEP_1)
	v_add_nc_u64_e32 v[8:9], v[4:5], v[2:3]
	v_add_nc_u64_e32 v[8:9], -1, v[8:9]
; %bb.1542:                             ;   in Loop: Header=BB4_357 Depth=4
	s_or_b32 exec_lo, exec_lo, s74
	v_add_nc_u32_e32 v2, 0xffffff81, v74
	v_lshrrev_b32_e32 v5, 23, v4
	s_mov_b32 s13, exec_lo
	s_delay_alu instid0(VALU_DEP_2) | instskip(NEXT) | instid1(VALU_DEP_1)
	v_cndmask_b32_e64 v2, v2, 0xffffff82, vcc_lo
	v_add3_u32 v74, v76, v2, v5
	v_and_b32_e32 v2, 0x1fffff, v8
                                        ; implicit-def: $vgpr8
	s_delay_alu instid0(VALU_DEP_1) | instskip(NEXT) | instid1(VALU_DEP_1)
	v_dual_add_nc_u32 v9, 14, v74 :: v_dual_add_nc_u32 v2, v2, v4
                                        ; implicit-def: $vgpr4_vgpr5
	v_cmpx_ne_u32_e32 0, v9
	s_xor_b32 s13, exec_lo, s13
; %bb.1543:                             ;   in Loop: Header=BB4_357 Depth=4
	s_delay_alu instid0(VALU_DEP_2) | instskip(SKIP_1) | instid1(VALU_DEP_1)
	v_cmp_lt_u64_e32 vcc_lo, 0xffffff, v[2:3]
	v_add_nc_u32_e32 v4, 15, v74
	v_cndmask_b32_e32 v8, v9, v4, vcc_lo
	v_cndmask_b32_e64 v4, 0, 1, vcc_lo
	s_delay_alu instid0(VALU_DEP_1)
	v_lshrrev_b64 v[4:5], v4, v[2:3]
; %bb.1544:                             ;   in Loop: Header=BB4_357 Depth=4
	s_and_not1_saveexec_b32 s13, s13
; %bb.1545:                             ;   in Loop: Header=BB4_357 Depth=4
	v_mov_b64_e32 v[4:5], v[2:3]
	v_bfe_u32 v8, v2, 23, 1
; %bb.1546:                             ;   in Loop: Header=BB4_357 Depth=4
	s_or_b32 exec_lo, exec_lo, s13
	s_delay_alu instid0(VALU_DEP_2) | instskip(NEXT) | instid1(VALU_DEP_2)
	v_lshrrev_b64 v[4:5], 21, v[4:5]
	v_cmp_gt_i32_e32 vcc_lo, 32, v8
	v_min_i32_e32 v2, 31, v8
	v_cmp_eq_u32_e64 s13, 0, v8
	s_delay_alu instid0(VALU_DEP_2) | instskip(SKIP_1) | instid1(VALU_DEP_2)
	v_dual_cndmask_b32 v5, 0, v5 :: v_dual_lshlrev_b32 v2, 2, v2
	v_cndmask_b32_e32 v4, 3, v4, vcc_lo
	v_and_b32_e32 v2, 0xfc, v2
	s_delay_alu instid0(VALU_DEP_2) | instskip(NEXT) | instid1(VALU_DEP_2)
	v_cmp_eq_u64_e32 vcc_lo, 0, v[4:5]
	v_and_or_b32 v2, v4, 3, v2
	s_and_b32 s13, s13, vcc_lo
	s_delay_alu instid0(VALU_DEP_1) | instid1(SALU_CYCLE_1)
	v_cndmask_b32_e64 v2, v2, 0, s13
	s_delay_alu instid0(VALU_DEP_1)
	v_or_b32_e32 v74, v2, v75
.LBB4_1547:                             ;   in Loop: Header=BB4_357 Depth=4
	s_or_b32 exec_lo, exec_lo, s73
                                        ; implicit-def: $vgpr75
.LBB4_1548:                             ;   in Loop: Header=BB4_357 Depth=4
	s_and_not1_saveexec_b32 s13, s72
; %bb.1549:                             ;   in Loop: Header=BB4_357 Depth=4
	v_or_b32_e32 v74, 0x7b, v75
; %bb.1550:                             ;   in Loop: Header=BB4_357 Depth=4
	s_or_b32 exec_lo, exec_lo, s13
                                        ; implicit-def: $vgpr4
                                        ; implicit-def: $vgpr5
.LBB4_1551:                             ;   in Loop: Header=BB4_357 Depth=4
	s_and_not1_saveexec_b32 s13, s63
	s_cbranch_execz .LBB4_1557
; %bb.1552:                             ;   in Loop: Header=BB4_357 Depth=4
	s_mov_b32 s63, exec_lo
                                        ; implicit-def: $vgpr74
	v_cmpx_ne_u64_e32 0, v[2:3]
	s_xor_b32 s63, exec_lo, s63
; %bb.1553:                             ;   in Loop: Header=BB4_357 Depth=4
	v_or_b32_e32 v74, 0x7f, v5
                                        ; implicit-def: $vgpr4
; %bb.1554:                             ;   in Loop: Header=BB4_357 Depth=4
	s_and_not1_saveexec_b32 s63, s63
; %bb.1555:                             ;   in Loop: Header=BB4_357 Depth=4
	v_cmp_lt_i32_e32 vcc_lo, -1, v4
	v_cndmask_b32_e32 v74, 0xfc, v113, vcc_lo
; %bb.1556:                             ;   in Loop: Header=BB4_357 Depth=4
	s_or_b32 exec_lo, exec_lo, s63
.LBB4_1557:                             ;   in Loop: Header=BB4_357 Depth=4
	s_delay_alu instid0(SALU_CYCLE_1) | instskip(SKIP_3) | instid1(VALU_DEP_2)
	s_or_b32 exec_lo, exec_lo, s13
	v_dual_lshrrev_b32 v2, 16, v15 :: v_dual_mov_b32 v4, 0
	v_mov_b32_e32 v5, 0
	s_mov_b32 s13, exec_lo
	v_and_b32_e32 v8, 0xff, v2
	s_delay_alu instid0(VALU_DEP_1)
	v_cmpx_ne_u16_e32 0, v8
	s_cbranch_execz .LBB4_1567
; %bb.1558:                             ;   in Loop: Header=BB4_357 Depth=4
	v_bfrev_b32_e32 v5, 1
	s_mov_b32 s63, exec_lo
	v_cmpx_ne_u16_e32 0x80, v8
	s_cbranch_execz .LBB4_1566
; %bb.1559:                             ;   in Loop: Header=BB4_357 Depth=4
	v_and_b32_e32 v5, 0x7c0000, v15
	v_bfe_u32 v8, v15, 16, 2
	s_delay_alu instid0(VALU_DEP_2) | instskip(SKIP_1) | instid1(SALU_CYCLE_1)
	v_cmp_ne_u32_e32 vcc_lo, 0x7c0000, v5
                                        ; implicit-def: $vgpr5
	s_and_saveexec_b32 s72, vcc_lo
	s_xor_b32 s72, exec_lo, s72
	s_cbranch_execz .LBB4_1563
; %bb.1560:                             ;   in Loop: Header=BB4_357 Depth=4
	v_bfe_u32 v5, v15, 18, 5
	s_mov_b32 s73, exec_lo
	s_delay_alu instid0(VALU_DEP_1)
	v_cmpx_eq_u32_e32 0, v5
; %bb.1561:                             ;   in Loop: Header=BB4_357 Depth=4
	v_clz_i32_u32_e32 v5, v8
	s_delay_alu instid0(VALU_DEP_1) | instskip(NEXT) | instid1(VALU_DEP_1)
	v_min_u32_e32 v5, 32, v5
	v_subrev_nc_u32_e32 v8, 29, v5
	s_delay_alu instid0(VALU_DEP_1) | instskip(NEXT) | instid1(VALU_DEP_1)
	v_lshlrev_b64_e32 v[8:9], v8, v[2:3]
	v_dual_sub_nc_u32 v5, 30, v5 :: v_dual_bitop2_b32 v8, 3, v8 bitop3:0x40
; %bb.1562:                             ;   in Loop: Header=BB4_357 Depth=4
	s_or_b32 exec_lo, exec_lo, s73
	v_lshlrev_b32_e32 v2, 24, v2
	s_delay_alu instid0(VALU_DEP_1) | instskip(NEXT) | instid1(VALU_DEP_1)
	v_and_b32_e32 v2, 0x80000000, v2
	v_lshl_add_u32 v2, v5, 23, v2
	s_delay_alu instid0(VALU_DEP_1) | instskip(NEXT) | instid1(VALU_DEP_1)
	v_lshl_or_b32 v2, v8, 21, v2
                                        ; implicit-def: $vgpr8
	v_add_nc_u32_e32 v5, 0x38000000, v2
                                        ; implicit-def: $vgpr2
.LBB4_1563:                             ;   in Loop: Header=BB4_357 Depth=4
	s_and_not1_saveexec_b32 s72, s72
; %bb.1564:                             ;   in Loop: Header=BB4_357 Depth=4
	v_bfe_i32 v2, v2, 0, 8
	s_delay_alu instid0(VALU_DEP_1) | instskip(SKIP_2) | instid1(VALU_DEP_2)
	v_cmp_lt_i16_e32 vcc_lo, -1, v2
	v_cndmask_b32_e32 v2, 0xff800000, v112, vcc_lo
	v_cmp_eq_u32_e32 vcc_lo, 0, v8
	v_cndmask_b32_e32 v5, 0x7f800001, v2, vcc_lo
; %bb.1565:                             ;   in Loop: Header=BB4_357 Depth=4
	s_or_b32 exec_lo, exec_lo, s72
.LBB4_1566:                             ;   in Loop: Header=BB4_357 Depth=4
	s_delay_alu instid0(SALU_CYCLE_1)
	s_or_b32 exec_lo, exec_lo, s63
.LBB4_1567:                             ;   in Loop: Header=BB4_357 Depth=4
	s_delay_alu instid0(SALU_CYCLE_1) | instskip(SKIP_2) | instid1(VALU_DEP_1)
	s_or_b32 exec_lo, exec_lo, s13
	v_lshrrev_b32_e32 v2, 16, v11
	s_mov_b32 s13, exec_lo
	v_and_b32_e32 v8, 0xff, v2
	s_delay_alu instid0(VALU_DEP_1)
	v_cmpx_ne_u16_e32 0, v8
	s_cbranch_execz .LBB4_1577
; %bb.1568:                             ;   in Loop: Header=BB4_357 Depth=4
	v_bfrev_b32_e32 v4, 1
	s_mov_b32 s63, exec_lo
	v_cmpx_ne_u16_e32 0x80, v8
	s_cbranch_execz .LBB4_1576
; %bb.1569:                             ;   in Loop: Header=BB4_357 Depth=4
	v_and_b32_e32 v4, 0x7c0000, v11
	v_bfe_u32 v8, v11, 16, 2
	s_delay_alu instid0(VALU_DEP_2) | instskip(SKIP_1) | instid1(SALU_CYCLE_1)
	v_cmp_ne_u32_e32 vcc_lo, 0x7c0000, v4
                                        ; implicit-def: $vgpr4
	s_and_saveexec_b32 s72, vcc_lo
	s_xor_b32 s72, exec_lo, s72
	s_cbranch_execz .LBB4_1573
; %bb.1570:                             ;   in Loop: Header=BB4_357 Depth=4
	v_bfe_u32 v4, v11, 18, 5
	s_mov_b32 s73, exec_lo
	s_delay_alu instid0(VALU_DEP_1)
	v_cmpx_eq_u32_e32 0, v4
; %bb.1571:                             ;   in Loop: Header=BB4_357 Depth=4
	v_clz_i32_u32_e32 v4, v8
	s_delay_alu instid0(VALU_DEP_1) | instskip(NEXT) | instid1(VALU_DEP_1)
	v_min_u32_e32 v4, 32, v4
	v_subrev_nc_u32_e32 v8, 29, v4
	v_sub_nc_u32_e32 v4, 30, v4
	s_delay_alu instid0(VALU_DEP_2) | instskip(NEXT) | instid1(VALU_DEP_1)
	v_lshlrev_b64_e32 v[8:9], v8, v[2:3]
	v_and_b32_e32 v8, 3, v8
; %bb.1572:                             ;   in Loop: Header=BB4_357 Depth=4
	s_or_b32 exec_lo, exec_lo, s73
	v_lshlrev_b32_e32 v2, 24, v2
	s_delay_alu instid0(VALU_DEP_1) | instskip(NEXT) | instid1(VALU_DEP_1)
	v_and_b32_e32 v2, 0x80000000, v2
	v_lshl_add_u32 v2, v4, 23, v2
	s_delay_alu instid0(VALU_DEP_1) | instskip(NEXT) | instid1(VALU_DEP_1)
	v_lshl_or_b32 v2, v8, 21, v2
                                        ; implicit-def: $vgpr8
	v_add_nc_u32_e32 v4, 0x38000000, v2
                                        ; implicit-def: $vgpr2
.LBB4_1573:                             ;   in Loop: Header=BB4_357 Depth=4
	s_and_not1_saveexec_b32 s72, s72
; %bb.1574:                             ;   in Loop: Header=BB4_357 Depth=4
	v_bfe_i32 v2, v2, 0, 8
	s_delay_alu instid0(VALU_DEP_1) | instskip(SKIP_2) | instid1(VALU_DEP_2)
	v_cmp_lt_i16_e32 vcc_lo, -1, v2
	v_cndmask_b32_e32 v2, 0xff800000, v112, vcc_lo
	v_cmp_eq_u32_e32 vcc_lo, 0, v8
	v_cndmask_b32_e32 v4, 0x7f800001, v2, vcc_lo
; %bb.1575:                             ;   in Loop: Header=BB4_357 Depth=4
	s_or_b32 exec_lo, exec_lo, s72
.LBB4_1576:                             ;   in Loop: Header=BB4_357 Depth=4
	s_delay_alu instid0(SALU_CYCLE_1)
	s_or_b32 exec_lo, exec_lo, s63
.LBB4_1577:                             ;   in Loop: Header=BB4_357 Depth=4
	s_delay_alu instid0(SALU_CYCLE_1) | instskip(NEXT) | instid1(VALU_DEP_1)
	s_or_b32 exec_lo, exec_lo, s13
	v_dual_mul_f32 v4, v5, v4 :: v_dual_mov_b32 v9, v3
                                        ; implicit-def: $vgpr75
	s_mov_b32 s13, exec_lo
	s_delay_alu instid0(VALU_DEP_1) | instskip(SKIP_2) | instid1(VALU_DEP_3)
	v_and_b32_e32 v8, 0x7f800000, v4
	v_and_b32_e32 v2, 0x7fffff, v4
	v_lshrrev_b32_e32 v5, 24, v4
	v_cmpx_ne_u64_e32 0x7f800000, v[8:9]
	s_xor_b32 s63, exec_lo, s13
	s_cbranch_execz .LBB4_1591
; %bb.1578:                             ;   in Loop: Header=BB4_357 Depth=4
	v_and_b32_e32 v8, 0x7fffffff, v4
	v_mov_b32_e32 v9, v3
	v_and_b32_e32 v76, 0x80, v5
                                        ; implicit-def: $vgpr75
	s_mov_b32 s13, exec_lo
	s_delay_alu instid0(VALU_DEP_2)
	v_cmpx_gt_u64_e32 0x47600001, v[8:9]
	s_xor_b32 s72, exec_lo, s13
	s_cbranch_execz .LBB4_1588
; %bb.1579:                             ;   in Loop: Header=BB4_357 Depth=4
	v_mov_b32_e32 v75, 0
	s_mov_b32 s73, exec_lo
	v_cmpx_ne_u32_e32 0, v4
	s_cbranch_execz .LBB4_1587
; %bb.1580:                             ;   in Loop: Header=BB4_357 Depth=4
	v_bfe_u32 v75, v4, 23, 8
	v_or_b32_e32 v5, 0x800000, v2
	s_delay_alu instid0(VALU_DEP_2) | instskip(SKIP_2) | instid1(VALU_DEP_2)
	v_cmp_gt_u32_e64 s13, 0x72, v75
	v_sub_nc_u32_e32 v4, 0x71, v75
	v_cmp_eq_u32_e32 vcc_lo, 0, v75
	v_dual_cndmask_b32 v4, 0, v4, s13 :: v_dual_cndmask_b32 v2, v5, v2, vcc_lo
	s_delay_alu instid0(VALU_DEP_1) | instskip(NEXT) | instid1(VALU_DEP_1)
	v_cndmask_b32_e64 v77, v4, 0x70, vcc_lo
	v_dual_add_nc_u32 v4, 21, v77 :: v_dual_add_nc_u32 v8, 20, v77
	s_delay_alu instid0(VALU_DEP_1) | instskip(NEXT) | instid1(VALU_DEP_2)
	v_lshlrev_b64_e64 v[4:5], v4, -1
	v_lshlrev_b64_e64 v[8:9], v8, 1
	s_delay_alu instid0(VALU_DEP_2) | instskip(NEXT) | instid1(VALU_DEP_3)
	v_bfi_b32 v5, v5, 0, 0
	v_bfi_b32 v4, v4, 0, v2
	s_delay_alu instid0(VALU_DEP_1) | instskip(SKIP_1) | instid1(VALU_DEP_1)
	v_cmp_eq_u64_e64 s13, v[4:5], v[8:9]
	v_lshrrev_b64 v[4:5], v77, v[2:3]
	v_mov_b64_e32 v[8:9], v[4:5]
	s_and_saveexec_b32 s74, s13
; %bb.1581:                             ;   in Loop: Header=BB4_357 Depth=4
	v_bfe_u32 v2, v4, 21, 1
	s_delay_alu instid0(VALU_DEP_1) | instskip(NEXT) | instid1(VALU_DEP_1)
	v_add_nc_u64_e32 v[8:9], v[4:5], v[2:3]
	v_add_nc_u64_e32 v[8:9], -1, v[8:9]
; %bb.1582:                             ;   in Loop: Header=BB4_357 Depth=4
	s_or_b32 exec_lo, exec_lo, s74
	v_add_nc_u32_e32 v2, 0xffffff81, v75
	v_lshrrev_b32_e32 v5, 23, v4
	s_mov_b32 s13, exec_lo
	s_delay_alu instid0(VALU_DEP_2) | instskip(NEXT) | instid1(VALU_DEP_1)
	v_cndmask_b32_e64 v2, v2, 0xffffff82, vcc_lo
	v_add3_u32 v75, v77, v2, v5
	v_and_b32_e32 v2, 0x1fffff, v8
                                        ; implicit-def: $vgpr8
	s_delay_alu instid0(VALU_DEP_1) | instskip(NEXT) | instid1(VALU_DEP_1)
	v_dual_add_nc_u32 v9, 14, v75 :: v_dual_add_nc_u32 v2, v2, v4
                                        ; implicit-def: $vgpr4_vgpr5
	v_cmpx_ne_u32_e32 0, v9
	s_xor_b32 s13, exec_lo, s13
; %bb.1583:                             ;   in Loop: Header=BB4_357 Depth=4
	s_delay_alu instid0(VALU_DEP_2) | instskip(SKIP_1) | instid1(VALU_DEP_1)
	v_cmp_lt_u64_e32 vcc_lo, 0xffffff, v[2:3]
	v_add_nc_u32_e32 v4, 15, v75
	v_cndmask_b32_e32 v8, v9, v4, vcc_lo
	v_cndmask_b32_e64 v4, 0, 1, vcc_lo
	s_delay_alu instid0(VALU_DEP_1)
	v_lshrrev_b64 v[4:5], v4, v[2:3]
; %bb.1584:                             ;   in Loop: Header=BB4_357 Depth=4
	s_and_not1_saveexec_b32 s13, s13
; %bb.1585:                             ;   in Loop: Header=BB4_357 Depth=4
	v_mov_b64_e32 v[4:5], v[2:3]
	v_bfe_u32 v8, v2, 23, 1
; %bb.1586:                             ;   in Loop: Header=BB4_357 Depth=4
	s_or_b32 exec_lo, exec_lo, s13
	s_delay_alu instid0(VALU_DEP_2) | instskip(NEXT) | instid1(VALU_DEP_2)
	v_lshrrev_b64 v[4:5], 21, v[4:5]
	v_cmp_gt_i32_e32 vcc_lo, 32, v8
	v_min_i32_e32 v2, 31, v8
	v_cmp_eq_u32_e64 s13, 0, v8
	s_delay_alu instid0(VALU_DEP_2) | instskip(SKIP_1) | instid1(VALU_DEP_2)
	v_dual_cndmask_b32 v5, 0, v5 :: v_dual_lshlrev_b32 v2, 2, v2
	v_cndmask_b32_e32 v4, 3, v4, vcc_lo
	v_and_b32_e32 v2, 0xfc, v2
	s_delay_alu instid0(VALU_DEP_2) | instskip(NEXT) | instid1(VALU_DEP_2)
	v_cmp_eq_u64_e32 vcc_lo, 0, v[4:5]
	v_and_or_b32 v2, v4, 3, v2
	s_and_b32 s13, s13, vcc_lo
	s_delay_alu instid0(VALU_DEP_1) | instid1(SALU_CYCLE_1)
	v_cndmask_b32_e64 v2, v2, 0, s13
	s_delay_alu instid0(VALU_DEP_1)
	v_or_b32_e32 v75, v2, v76
.LBB4_1587:                             ;   in Loop: Header=BB4_357 Depth=4
	s_or_b32 exec_lo, exec_lo, s73
                                        ; implicit-def: $vgpr76
.LBB4_1588:                             ;   in Loop: Header=BB4_357 Depth=4
	s_and_not1_saveexec_b32 s13, s72
; %bb.1589:                             ;   in Loop: Header=BB4_357 Depth=4
	v_or_b32_e32 v75, 0x7b, v76
; %bb.1590:                             ;   in Loop: Header=BB4_357 Depth=4
	s_or_b32 exec_lo, exec_lo, s13
                                        ; implicit-def: $vgpr4
                                        ; implicit-def: $vgpr5
.LBB4_1591:                             ;   in Loop: Header=BB4_357 Depth=4
	s_and_not1_saveexec_b32 s13, s63
	s_cbranch_execz .LBB4_1597
; %bb.1592:                             ;   in Loop: Header=BB4_357 Depth=4
	s_mov_b32 s63, exec_lo
                                        ; implicit-def: $vgpr75
	v_cmpx_ne_u64_e32 0, v[2:3]
	s_xor_b32 s63, exec_lo, s63
; %bb.1593:                             ;   in Loop: Header=BB4_357 Depth=4
	v_or_b32_e32 v75, 0x7f, v5
                                        ; implicit-def: $vgpr4
; %bb.1594:                             ;   in Loop: Header=BB4_357 Depth=4
	s_and_not1_saveexec_b32 s63, s63
; %bb.1595:                             ;   in Loop: Header=BB4_357 Depth=4
	v_cmp_lt_i32_e32 vcc_lo, -1, v4
	v_cndmask_b32_e32 v75, 0xfc, v113, vcc_lo
; %bb.1596:                             ;   in Loop: Header=BB4_357 Depth=4
	s_or_b32 exec_lo, exec_lo, s63
.LBB4_1597:                             ;   in Loop: Header=BB4_357 Depth=4
	s_delay_alu instid0(SALU_CYCLE_1)
	s_or_b32 exec_lo, exec_lo, s13
	v_dual_mov_b32 v4, 0 :: v_dual_mov_b32 v5, 0
	s_mov_b32 s13, exec_lo
	v_cmpx_lt_u64_e64 s[22:23], v[14:15]
	s_cbranch_execz .LBB4_1607
; %bb.1598:                             ;   in Loop: Header=BB4_357 Depth=4
	v_lshrrev_b32_e32 v2, 24, v15
	v_bfrev_b32_e32 v5, 1
	s_mov_b32 s63, exec_lo
	s_delay_alu instid0(VALU_DEP_2)
	v_cmpx_ne_u32_e32 0x80, v2
	s_cbranch_execz .LBB4_1606
; %bb.1599:                             ;   in Loop: Header=BB4_357 Depth=4
	v_and_b32_e32 v5, 0x7c000000, v15
	v_bfe_u32 v8, v15, 24, 2
	s_delay_alu instid0(VALU_DEP_2) | instskip(SKIP_1) | instid1(SALU_CYCLE_1)
	v_cmp_ne_u32_e32 vcc_lo, 0x7c000000, v5
                                        ; implicit-def: $vgpr5
	s_and_saveexec_b32 s72, vcc_lo
	s_xor_b32 s72, exec_lo, s72
	s_cbranch_execz .LBB4_1603
; %bb.1600:                             ;   in Loop: Header=BB4_357 Depth=4
	v_bfe_u32 v5, v15, 26, 5
	s_mov_b32 s73, exec_lo
	s_delay_alu instid0(VALU_DEP_1)
	v_cmpx_eq_u32_e32 0, v5
; %bb.1601:                             ;   in Loop: Header=BB4_357 Depth=4
	v_clz_i32_u32_e32 v5, v8
	s_delay_alu instid0(VALU_DEP_1) | instskip(NEXT) | instid1(VALU_DEP_1)
	v_min_u32_e32 v5, 32, v5
	v_subrev_nc_u32_e32 v8, 29, v5
	s_delay_alu instid0(VALU_DEP_1) | instskip(NEXT) | instid1(VALU_DEP_1)
	v_lshlrev_b64_e32 v[8:9], v8, v[2:3]
	v_dual_sub_nc_u32 v5, 30, v5 :: v_dual_bitop2_b32 v8, 3, v8 bitop3:0x40
; %bb.1602:                             ;   in Loop: Header=BB4_357 Depth=4
	s_or_b32 exec_lo, exec_lo, s73
	v_and_b32_e32 v2, 0x80000000, v15
                                        ; implicit-def: $vgpr14_vgpr15
	s_delay_alu instid0(VALU_DEP_1) | instskip(NEXT) | instid1(VALU_DEP_1)
	v_lshl_add_u32 v2, v5, 23, v2
	v_lshl_or_b32 v2, v8, 21, v2
                                        ; implicit-def: $vgpr8
	s_delay_alu instid0(VALU_DEP_1)
	v_add_nc_u32_e32 v5, 0x38000000, v2
.LBB4_1603:                             ;   in Loop: Header=BB4_357 Depth=4
	s_and_not1_saveexec_b32 s72, s72
; %bb.1604:                             ;   in Loop: Header=BB4_357 Depth=4
	v_cmp_lt_i64_e32 vcc_lo, -1, v[14:15]
	v_cndmask_b32_e32 v2, 0xff800000, v112, vcc_lo
	v_cmp_eq_u32_e32 vcc_lo, 0, v8
	s_delay_alu instid0(VALU_DEP_2)
	v_cndmask_b32_e32 v5, 0x7f800001, v2, vcc_lo
; %bb.1605:                             ;   in Loop: Header=BB4_357 Depth=4
	s_or_b32 exec_lo, exec_lo, s72
.LBB4_1606:                             ;   in Loop: Header=BB4_357 Depth=4
	s_delay_alu instid0(SALU_CYCLE_1)
	s_or_b32 exec_lo, exec_lo, s63
.LBB4_1607:                             ;   in Loop: Header=BB4_357 Depth=4
	s_delay_alu instid0(SALU_CYCLE_1) | instskip(NEXT) | instid1(SALU_CYCLE_1)
	s_or_b32 exec_lo, exec_lo, s13
	s_mov_b32 s13, exec_lo
	v_cmpx_lt_u64_e64 s[22:23], v[10:11]
	s_cbranch_execz .LBB4_1617
; %bb.1608:                             ;   in Loop: Header=BB4_357 Depth=4
	v_lshrrev_b32_e32 v2, 24, v11
	v_bfrev_b32_e32 v4, 1
	s_mov_b32 s63, exec_lo
	s_delay_alu instid0(VALU_DEP_2)
	v_cmpx_ne_u32_e32 0x80, v2
	s_cbranch_execz .LBB4_1616
; %bb.1609:                             ;   in Loop: Header=BB4_357 Depth=4
	v_and_b32_e32 v4, 0x7c000000, v11
	v_bfe_u32 v8, v11, 24, 2
	s_delay_alu instid0(VALU_DEP_2) | instskip(SKIP_1) | instid1(SALU_CYCLE_1)
	v_cmp_ne_u32_e32 vcc_lo, 0x7c000000, v4
                                        ; implicit-def: $vgpr4
	s_and_saveexec_b32 s72, vcc_lo
	s_xor_b32 s72, exec_lo, s72
	s_cbranch_execz .LBB4_1613
; %bb.1610:                             ;   in Loop: Header=BB4_357 Depth=4
	v_bfe_u32 v4, v11, 26, 5
	s_mov_b32 s73, exec_lo
	s_delay_alu instid0(VALU_DEP_1)
	v_cmpx_eq_u32_e32 0, v4
; %bb.1611:                             ;   in Loop: Header=BB4_357 Depth=4
	v_clz_i32_u32_e32 v4, v8
	s_delay_alu instid0(VALU_DEP_1) | instskip(NEXT) | instid1(VALU_DEP_1)
	v_min_u32_e32 v4, 32, v4
	v_subrev_nc_u32_e32 v8, 29, v4
	v_sub_nc_u32_e32 v4, 30, v4
	s_delay_alu instid0(VALU_DEP_2) | instskip(NEXT) | instid1(VALU_DEP_1)
	v_lshlrev_b64_e32 v[8:9], v8, v[2:3]
	v_and_b32_e32 v8, 3, v8
; %bb.1612:                             ;   in Loop: Header=BB4_357 Depth=4
	s_or_b32 exec_lo, exec_lo, s73
	v_and_b32_e32 v2, 0x80000000, v11
                                        ; implicit-def: $vgpr10_vgpr11
	s_delay_alu instid0(VALU_DEP_1) | instskip(NEXT) | instid1(VALU_DEP_1)
	v_lshl_add_u32 v2, v4, 23, v2
	v_lshl_or_b32 v2, v8, 21, v2
                                        ; implicit-def: $vgpr8
	s_delay_alu instid0(VALU_DEP_1)
	v_add_nc_u32_e32 v4, 0x38000000, v2
.LBB4_1613:                             ;   in Loop: Header=BB4_357 Depth=4
	s_and_not1_saveexec_b32 s72, s72
; %bb.1614:                             ;   in Loop: Header=BB4_357 Depth=4
	v_cmp_lt_i64_e32 vcc_lo, -1, v[10:11]
	v_cndmask_b32_e32 v2, 0xff800000, v112, vcc_lo
	v_cmp_eq_u32_e32 vcc_lo, 0, v8
	s_delay_alu instid0(VALU_DEP_2)
	v_cndmask_b32_e32 v4, 0x7f800001, v2, vcc_lo
; %bb.1615:                             ;   in Loop: Header=BB4_357 Depth=4
	s_or_b32 exec_lo, exec_lo, s72
.LBB4_1616:                             ;   in Loop: Header=BB4_357 Depth=4
	s_delay_alu instid0(SALU_CYCLE_1)
	s_or_b32 exec_lo, exec_lo, s63
.LBB4_1617:                             ;   in Loop: Header=BB4_357 Depth=4
	s_delay_alu instid0(SALU_CYCLE_1) | instskip(NEXT) | instid1(VALU_DEP_1)
	s_or_b32 exec_lo, exec_lo, s13
	v_dual_mul_f32 v5, v5, v4 :: v_dual_mov_b32 v9, v3
                                        ; implicit-def: $vgpr4
	s_delay_alu instid0(VALU_DEP_1) | instskip(SKIP_1) | instid1(VALU_DEP_2)
	v_and_b32_e32 v8, 0x7f800000, v5
	v_and_b32_e32 v2, 0x7fffff, v5
	v_cmp_ne_u64_e32 vcc_lo, 0x7f800000, v[8:9]
	v_lshrrev_b32_e32 v8, 24, v5
	s_and_saveexec_b32 s13, vcc_lo
	s_delay_alu instid0(SALU_CYCLE_1)
	s_xor_b32 s63, exec_lo, s13
	s_cbranch_execz .LBB4_1631
; %bb.1618:                             ;   in Loop: Header=BB4_357 Depth=4
	v_and_b32_e32 v10, 0x7fffffff, v5
	v_mov_b32_e32 v11, v3
                                        ; implicit-def: $vgpr4
	s_delay_alu instid0(VALU_DEP_1) | instskip(SKIP_2) | instid1(SALU_CYCLE_1)
	v_cmp_gt_u64_e32 vcc_lo, 0x47600001, v[10:11]
	v_and_b32_e32 v10, 0x80, v8
	s_and_saveexec_b32 s13, vcc_lo
	s_xor_b32 s72, exec_lo, s13
	s_cbranch_execz .LBB4_1628
; %bb.1619:                             ;   in Loop: Header=BB4_357 Depth=4
	v_mov_b32_e32 v4, 0
	s_mov_b32 s73, exec_lo
	v_cmpx_ne_u32_e32 0, v5
	s_cbranch_execz .LBB4_1627
; %bb.1620:                             ;   in Loop: Header=BB4_357 Depth=4
	v_bfe_u32 v11, v5, 23, 8
	v_or_b32_e32 v5, 0x800000, v2
	s_delay_alu instid0(VALU_DEP_2) | instskip(SKIP_2) | instid1(VALU_DEP_2)
	v_cmp_gt_u32_e64 s13, 0x72, v11
	v_sub_nc_u32_e32 v4, 0x71, v11
	v_cmp_eq_u32_e32 vcc_lo, 0, v11
	v_dual_cndmask_b32 v4, 0, v4, s13 :: v_dual_cndmask_b32 v2, v5, v2, vcc_lo
	s_delay_alu instid0(VALU_DEP_1) | instskip(NEXT) | instid1(VALU_DEP_1)
	v_cndmask_b32_e64 v14, v4, 0x70, vcc_lo
	v_dual_add_nc_u32 v4, 21, v14 :: v_dual_add_nc_u32 v8, 20, v14
	s_delay_alu instid0(VALU_DEP_1) | instskip(NEXT) | instid1(VALU_DEP_2)
	v_lshlrev_b64_e64 v[4:5], v4, -1
	v_lshlrev_b64_e64 v[8:9], v8, 1
	s_delay_alu instid0(VALU_DEP_2) | instskip(NEXT) | instid1(VALU_DEP_3)
	v_bfi_b32 v5, v5, 0, 0
	v_bfi_b32 v4, v4, 0, v2
	s_delay_alu instid0(VALU_DEP_1) | instskip(SKIP_1) | instid1(VALU_DEP_1)
	v_cmp_eq_u64_e64 s13, v[4:5], v[8:9]
	v_lshrrev_b64 v[4:5], v14, v[2:3]
	v_mov_b64_e32 v[8:9], v[4:5]
	s_and_saveexec_b32 s74, s13
; %bb.1621:                             ;   in Loop: Header=BB4_357 Depth=4
	v_bfe_u32 v2, v4, 21, 1
	s_delay_alu instid0(VALU_DEP_1) | instskip(NEXT) | instid1(VALU_DEP_1)
	v_add_nc_u64_e32 v[8:9], v[4:5], v[2:3]
	v_add_nc_u64_e32 v[8:9], -1, v[8:9]
; %bb.1622:                             ;   in Loop: Header=BB4_357 Depth=4
	s_or_b32 exec_lo, exec_lo, s74
	v_add_nc_u32_e32 v2, 0xffffff81, v11
	v_lshrrev_b32_e32 v5, 23, v4
	s_mov_b32 s13, exec_lo
	s_delay_alu instid0(VALU_DEP_2) | instskip(NEXT) | instid1(VALU_DEP_1)
	v_cndmask_b32_e64 v2, v2, 0xffffff82, vcc_lo
	v_add3_u32 v9, v14, v2, v5
	v_and_b32_e32 v2, 0x1fffff, v8
                                        ; implicit-def: $vgpr8
	s_delay_alu instid0(VALU_DEP_1) | instskip(NEXT) | instid1(VALU_DEP_1)
	v_dual_add_nc_u32 v11, 14, v9 :: v_dual_add_nc_u32 v2, v2, v4
                                        ; implicit-def: $vgpr4_vgpr5
	v_cmpx_ne_u32_e32 0, v11
	s_xor_b32 s13, exec_lo, s13
; %bb.1623:                             ;   in Loop: Header=BB4_357 Depth=4
	s_delay_alu instid0(VALU_DEP_2) | instskip(SKIP_1) | instid1(VALU_DEP_1)
	v_cmp_lt_u64_e32 vcc_lo, 0xffffff, v[2:3]
	v_add_nc_u32_e32 v4, 15, v9
	v_cndmask_b32_e32 v8, v11, v4, vcc_lo
	v_cndmask_b32_e64 v4, 0, 1, vcc_lo
	s_delay_alu instid0(VALU_DEP_1)
	v_lshrrev_b64 v[4:5], v4, v[2:3]
; %bb.1624:                             ;   in Loop: Header=BB4_357 Depth=4
	s_and_not1_saveexec_b32 s13, s13
; %bb.1625:                             ;   in Loop: Header=BB4_357 Depth=4
	v_mov_b64_e32 v[4:5], v[2:3]
	v_bfe_u32 v8, v2, 23, 1
; %bb.1626:                             ;   in Loop: Header=BB4_357 Depth=4
	s_or_b32 exec_lo, exec_lo, s13
	s_delay_alu instid0(VALU_DEP_2) | instskip(NEXT) | instid1(VALU_DEP_2)
	v_lshrrev_b64 v[4:5], 21, v[4:5]
	v_cmp_gt_i32_e32 vcc_lo, 32, v8
	v_min_i32_e32 v2, 31, v8
	v_cmp_eq_u32_e64 s13, 0, v8
	s_delay_alu instid0(VALU_DEP_2) | instskip(SKIP_1) | instid1(VALU_DEP_2)
	v_dual_cndmask_b32 v5, 0, v5 :: v_dual_lshlrev_b32 v2, 2, v2
	v_cndmask_b32_e32 v4, 3, v4, vcc_lo
	v_and_b32_e32 v2, 0xfc, v2
	s_delay_alu instid0(VALU_DEP_2) | instskip(NEXT) | instid1(VALU_DEP_2)
	v_cmp_eq_u64_e32 vcc_lo, 0, v[4:5]
	v_and_or_b32 v2, v4, 3, v2
	s_and_b32 s13, s13, vcc_lo
	s_delay_alu instid0(VALU_DEP_1) | instid1(SALU_CYCLE_1)
	v_cndmask_b32_e64 v2, v2, 0, s13
	s_delay_alu instid0(VALU_DEP_1)
	v_or_b32_e32 v4, v2, v10
.LBB4_1627:                             ;   in Loop: Header=BB4_357 Depth=4
	s_or_b32 exec_lo, exec_lo, s73
                                        ; implicit-def: $vgpr10
.LBB4_1628:                             ;   in Loop: Header=BB4_357 Depth=4
	s_and_not1_saveexec_b32 s13, s72
; %bb.1629:                             ;   in Loop: Header=BB4_357 Depth=4
	v_or_b32_e32 v4, 0x7b, v10
; %bb.1630:                             ;   in Loop: Header=BB4_357 Depth=4
	s_or_b32 exec_lo, exec_lo, s13
                                        ; implicit-def: $vgpr5
                                        ; implicit-def: $vgpr8
.LBB4_1631:                             ;   in Loop: Header=BB4_357 Depth=4
	s_and_not1_saveexec_b32 s13, s63
	s_cbranch_execz .LBB4_356
; %bb.1632:                             ;   in Loop: Header=BB4_357 Depth=4
	s_mov_b32 s63, exec_lo
                                        ; implicit-def: $vgpr4
	v_cmpx_ne_u64_e32 0, v[2:3]
	s_xor_b32 s63, exec_lo, s63
; %bb.1633:                             ;   in Loop: Header=BB4_357 Depth=4
	v_or_b32_e32 v4, 0x7f, v8
                                        ; implicit-def: $vgpr5
; %bb.1634:                             ;   in Loop: Header=BB4_357 Depth=4
	s_and_not1_saveexec_b32 s63, s63
	s_cbranch_execz .LBB4_355
; %bb.1635:                             ;   in Loop: Header=BB4_357 Depth=4
	v_cmp_lt_i32_e32 vcc_lo, -1, v5
	v_cndmask_b32_e32 v4, 0xfc, v113, vcc_lo
	s_branch .LBB4_355
.LBB4_1636:                             ;   in Loop: Header=BB4_274 Depth=3
	s_or_b32 exec_lo, exec_lo, s62
	v_mov_b64_e32 v[60:61], 0
	v_add_nc_u64_e32 v[62:63], 0x200, v[86:87]
.LBB4_1637:                             ;   in Loop: Header=BB4_274 Depth=3
	s_or_b32 exec_lo, exec_lo, s14
	v_dual_lshlrev_b32 v27, 10, v27 :: v_dual_mov_b32 v43, 0
	s_mov_b32 s13, 0
	s_mov_b32 s62, exec_lo
                                        ; implicit-def: $vgpr124
                                        ; implicit-def: $vgpr125
                                        ; implicit-def: $vgpr2
	s_delay_alu instid0(VALU_DEP_1)
	v_cmpx_ne_u32_e64 v41, v27
	s_cbranch_execz .LBB4_2221
; %bb.1638:                             ;   in Loop: Header=BB4_274 Depth=3
	scratch_load_b32 v4, off, s33 offset:196 ; 4-byte Folded Reload
	v_dual_lshlrev_b32 v2, 5, v26 :: v_dual_sub_nc_u32 v5, v41, v27
	s_mov_b32 s63, exec_lo
	s_delay_alu instid0(VALU_DEP_1) | instskip(SKIP_1) | instid1(VALU_DEP_1)
	v_ashrrev_i32_e32 v8, 31, v5
	s_wait_loadcnt 0x0
	v_dual_lshrrev_b32 v8, 23, v8 :: v_dual_sub_nc_u32 v2, v4, v2
	s_delay_alu instid0(VALU_DEP_1) | instskip(NEXT) | instid1(VALU_DEP_1)
	v_ashrrev_i32_e32 v4, 31, v2
	v_lshrrev_b32_e32 v4, 27, v4
	s_delay_alu instid0(VALU_DEP_1) | instskip(NEXT) | instid1(VALU_DEP_1)
	v_add_nc_u32_e32 v4, v2, v4
	v_and_b32_e32 v9, 0xffffffe0, v4
	s_delay_alu instid0(VALU_DEP_1) | instskip(NEXT) | instid1(VALU_DEP_1)
	v_dual_sub_nc_u32 v28, v2, v9 :: v_dual_ashrrev_i32 v4, 5, v4
	v_lshlrev_b32_e32 v2, 4, v28
	s_delay_alu instid0(VALU_DEP_1) | instskip(NEXT) | instid1(VALU_DEP_1)
	v_lshl_add_u32 v2, v4, 9, v2
	v_dual_add_nc_u32 v8, v5, v8 :: v_dual_sub_nc_u32 v31, v5, v2
	s_delay_alu instid0(VALU_DEP_1) | instskip(NEXT) | instid1(VALU_DEP_1)
	v_and_b32_e32 v26, 0xfffffe00, v8
	v_dual_ashrrev_i32 v8, 9, v8 :: v_dual_sub_nc_u32 v29, v5, v26
	s_delay_alu instid0(VALU_DEP_1) | instskip(NEXT) | instid1(VALU_DEP_2)
	v_cmp_lt_i32_e32 vcc_lo, 15, v29
	v_add_co_ci_u32_e64 v8, null, 0, v8, vcc_lo
	s_delay_alu instid0(VALU_DEP_1)
	v_sub_nc_u32_e32 v30, v8, v4
	s_wait_xcnt 0x0
	v_cmpx_lt_i32_e32 15, v31
	s_cbranch_execz .LBB4_2218
; %bb.1639:                             ;   in Loop: Header=BB4_274 Depth=3
	s_trap 2
	ds_load_b64 v[4:5], v0
	v_add_nc_u32_e32 v8, v2, v27
	s_mov_b32 s72, 0
	s_delay_alu instid0(VALU_DEP_1) | instskip(NEXT) | instid1(VALU_DEP_1)
	v_ashrrev_i32_e32 v9, 31, v8
	v_add_nc_u64_e32 v[16:17], v[8:9], v[46:47]
	v_add_nc_u64_e32 v[20:21], v[8:9], v[56:57]
	s_wait_dscnt 0x0
	v_add_nc_u64_e32 v[18:19], v[4:5], v[8:9]
	s_branch .LBB4_1642
.LBB4_1640:                             ;   in Loop: Header=BB4_1642 Depth=4
	s_or_b32 exec_lo, exec_lo, s73
.LBB4_1641:                             ;   in Loop: Header=BB4_1642 Depth=4
	s_delay_alu instid0(SALU_CYCLE_1)
	s_or_b32 exec_lo, exec_lo, s14
	v_lshl_or_b32 v2, v25, 8, v24
	v_dual_lshlrev_b32 v5, 16, v22 :: v_dual_lshlrev_b32 v8, 24, v23
	v_lshl_or_b32 v10, v67, 8, v66
	v_dual_lshlrev_b32 v11, 16, v84 :: v_dual_lshlrev_b32 v14, 24, v85
	;; [unrolled: 2-line block ×3, first 2 shown]
	v_dual_lshlrev_b32 v4, 24, v4 :: v_dual_sub_nc_u32 v31, v31, v70
	v_lshlrev_b32_e32 v24, 16, v116
	v_lshl_or_b32 v12, v13, 8, v12
	v_or3_b32 v9, v2, v5, v8
	v_or3_b32 v8, v10, v11, v14
	;; [unrolled: 1-line block ×3, first 2 shown]
	v_add_nc_u64_e32 v[16:17], v[16:17], v[70:71]
	v_or3_b32 v11, v12, v24, v4
	v_add_nc_u64_e32 v[18:19], v[18:19], v[70:71]
	v_cmp_gt_i32_e64 s13, 16, v31
	v_sub_nc_u32_e32 v30, v30, v52
	global_store_b128 v[20:21], v[8:11], off th:TH_STORE_NT
	s_wait_xcnt 0x0
	v_add_nc_u64_e32 v[20:21], v[20:21], v[70:71]
	s_or_b32 s72, s13, s72
	s_delay_alu instid0(SALU_CYCLE_1)
	s_and_not1_b32 exec_lo, exec_lo, s72
	s_cbranch_execz .LBB4_2217
.LBB4_1642:                             ;   Parent Loop BB4_47 Depth=1
                                        ;     Parent Loop BB4_271 Depth=2
                                        ;       Parent Loop BB4_274 Depth=3
                                        ; =>      This Inner Loop Header: Depth=4
	global_load_b128 v[12:15], v[16:17], off th:TH_LOAD_NT
	global_load_b128 v[8:11], v[18:19], off th:TH_LOAD_NT
	s_wait_loadcnt 0x1
	v_and_b32_e32 v2, 0xff, v12
	s_delay_alu instid0(VALU_DEP_1)
	v_cmp_ne_u16_e64 s13, 0, v2
	v_mov_b32_e32 v2, 0
	s_wait_xcnt 0x0
	s_and_saveexec_b32 s14, s13
	s_cbranch_execz .LBB4_1652
; %bb.1643:                             ;   in Loop: Header=BB4_1642 Depth=4
	v_bfe_i32 v5, v12, 0, 8
	v_bfrev_b32_e32 v2, 1
	s_mov_b32 s73, exec_lo
	s_delay_alu instid0(VALU_DEP_2)
	v_cmpx_ne_u16_e32 0xff80, v5
	s_cbranch_execz .LBB4_1651
; %bb.1644:                             ;   in Loop: Header=BB4_1642 Depth=4
	v_and_b32_e32 v2, 0x7c, v12
	v_and_b32_e32 v4, 3, v12
	s_delay_alu instid0(VALU_DEP_2) | instskip(SKIP_1) | instid1(SALU_CYCLE_1)
	v_cmp_ne_u32_e64 s13, 0x7c, v2
                                        ; implicit-def: $vgpr2
	s_and_saveexec_b32 s74, s13
	s_xor_b32 s74, exec_lo, s74
	s_cbranch_execz .LBB4_1648
; %bb.1645:                             ;   in Loop: Header=BB4_1642 Depth=4
	v_bfe_u32 v2, v12, 2, 5
	s_mov_b32 s75, exec_lo
	s_delay_alu instid0(VALU_DEP_1)
	v_cmpx_eq_u32_e32 0, v2
; %bb.1646:                             ;   in Loop: Header=BB4_1642 Depth=4
	v_clz_i32_u32_e32 v2, v4
	s_delay_alu instid0(VALU_DEP_1) | instskip(NEXT) | instid1(VALU_DEP_1)
	v_min_u32_e32 v2, 32, v2
	v_subrev_nc_u32_e32 v4, 29, v2
	s_delay_alu instid0(VALU_DEP_1) | instskip(NEXT) | instid1(VALU_DEP_1)
	v_lshlrev_b64_e32 v[4:5], v4, v[12:13]
	v_dual_sub_nc_u32 v2, 30, v2 :: v_dual_bitop2_b32 v4, 3, v4 bitop3:0x40
; %bb.1647:                             ;   in Loop: Header=BB4_1642 Depth=4
	s_or_b32 exec_lo, exec_lo, s75
	v_lshlrev_b32_e32 v5, 24, v12
	s_delay_alu instid0(VALU_DEP_1) | instskip(NEXT) | instid1(VALU_DEP_1)
	v_and_b32_e32 v5, 0x80000000, v5
	v_lshl_add_u32 v2, v2, 23, v5
                                        ; implicit-def: $vgpr5
	s_delay_alu instid0(VALU_DEP_1) | instskip(NEXT) | instid1(VALU_DEP_1)
	v_lshl_or_b32 v2, v4, 21, v2
                                        ; implicit-def: $vgpr4
	v_add_nc_u32_e32 v2, 0x38000000, v2
.LBB4_1648:                             ;   in Loop: Header=BB4_1642 Depth=4
	s_and_not1_saveexec_b32 s74, s74
; %bb.1649:                             ;   in Loop: Header=BB4_1642 Depth=4
	v_cmp_lt_i16_e64 s13, -1, v5
	s_delay_alu instid0(VALU_DEP_1) | instskip(SKIP_1) | instid1(VALU_DEP_1)
	v_cndmask_b32_e64 v2, 0xff800000, v112, s13
	v_cmp_eq_u32_e64 s13, 0, v4
	v_cndmask_b32_e64 v2, 0x7f800001, v2, s13
; %bb.1650:                             ;   in Loop: Header=BB4_1642 Depth=4
	s_or_b32 exec_lo, exec_lo, s74
.LBB4_1651:                             ;   in Loop: Header=BB4_1642 Depth=4
	s_delay_alu instid0(SALU_CYCLE_1)
	s_or_b32 exec_lo, exec_lo, s73
.LBB4_1652:                             ;   in Loop: Header=BB4_1642 Depth=4
	s_delay_alu instid0(SALU_CYCLE_1) | instskip(SKIP_4) | instid1(VALU_DEP_1)
	s_or_b32 exec_lo, exec_lo, s14
	s_wait_loadcnt 0x0
	v_and_b32_e32 v5, 0xff, v8
	s_mov_b32 s73, 0
	s_mov_b32 s14, exec_lo
	v_cmpx_lt_i16_e32 0x7f, v5
	s_xor_b32 s14, exec_lo, s14
	s_cbranch_execz .LBB4_2193
; %bb.1653:                             ;   in Loop: Header=BB4_1642 Depth=4
	s_mov_b32 s73, -1
	s_mov_b32 s74, exec_lo
	v_cmpx_eq_u16_e32 0x80, v5
; %bb.1654:                             ;   in Loop: Header=BB4_1642 Depth=4
	s_xor_b32 s73, exec_lo, -1
; %bb.1655:                             ;   in Loop: Header=BB4_1642 Depth=4
	s_or_b32 exec_lo, exec_lo, s74
	s_delay_alu instid0(SALU_CYCLE_1)
	s_and_b32 s73, s73, exec_lo
                                        ; implicit-def: $vgpr5
	s_or_saveexec_b32 s14, s14
	v_bfrev_b32_e32 v4, 1
	s_xor_b32 exec_lo, exec_lo, s14
	s_cbranch_execnz .LBB4_2194
.LBB4_1656:                             ;   in Loop: Header=BB4_1642 Depth=4
	s_or_b32 exec_lo, exec_lo, s14
	s_and_saveexec_b32 s14, s73
	s_cbranch_execz .LBB4_1658
.LBB4_1657:                             ;   in Loop: Header=BB4_1642 Depth=4
	v_and_b32_e32 v22, 3, v8
	v_bfe_u32 v24, v8, 2, 5
	s_delay_alu instid0(VALU_DEP_2) | instskip(NEXT) | instid1(VALU_DEP_2)
	v_clz_i32_u32_e32 v4, v22
	v_cmp_eq_u32_e64 s13, 0, v24
	s_delay_alu instid0(VALU_DEP_2) | instskip(NEXT) | instid1(VALU_DEP_1)
	v_min_u32_e32 v23, 32, v4
	v_subrev_nc_u32_e32 v4, 29, v23
	s_delay_alu instid0(VALU_DEP_1) | instskip(SKIP_1) | instid1(VALU_DEP_1)
	v_lshlrev_b64_e32 v[4:5], v4, v[8:9]
	v_dual_lshlrev_b32 v5, 24, v8 :: v_dual_sub_nc_u32 v23, 30, v23
	v_and_b32_e32 v5, 0x80000000, v5
	s_delay_alu instid0(VALU_DEP_2) | instskip(SKIP_1) | instid1(VALU_DEP_2)
	v_dual_cndmask_b32 v23, v24, v23, s13 :: v_dual_bitop2_b32 v4, 3, v4 bitop3:0x40
	v_bfe_i32 v24, v8, 0, 8
	v_cndmask_b32_e64 v4, v22, v4, s13
	s_delay_alu instid0(VALU_DEP_3) | instskip(NEXT) | instid1(VALU_DEP_3)
	v_lshl_add_u32 v5, v23, 23, v5
	v_cmp_lt_i16_e64 s13, -1, v24
	s_delay_alu instid0(VALU_DEP_2) | instskip(NEXT) | instid1(VALU_DEP_2)
	v_lshl_or_b32 v4, v4, 21, v5
	v_cndmask_b32_e64 v23, 0xff800000, v112, s13
	v_and_b32_e32 v5, 0x7c, v8
	v_cmp_eq_u32_e64 s13, 0, v22
	s_delay_alu instid0(VALU_DEP_4) | instskip(NEXT) | instid1(VALU_DEP_2)
	v_add_nc_u32_e32 v4, 0x38000000, v4
	v_cndmask_b32_e64 v22, 0x7f800001, v23, s13
	s_delay_alu instid0(VALU_DEP_4) | instskip(NEXT) | instid1(VALU_DEP_1)
	v_cmp_eq_u32_e64 s13, 0x7c, v5
	v_cndmask_b32_e64 v4, v4, v22, s13
.LBB4_1658:                             ;   in Loop: Header=BB4_1642 Depth=4
	s_or_b32 exec_lo, exec_lo, s14
	s_delay_alu instid0(VALU_DEP_1) | instskip(SKIP_1) | instid1(VALU_DEP_1)
	v_dual_mul_f32 v4, v2, v4 :: v_dual_mov_b32 v23, v3
                                        ; implicit-def: $vgpr66
	s_mov_b32 s14, exec_lo
	v_and_b32_e32 v22, 0x7f800000, v4
	v_and_b32_e32 v2, 0x7fffff, v4
	v_lshrrev_b32_e32 v5, 24, v4
	s_delay_alu instid0(VALU_DEP_3)
	v_cmpx_ne_u64_e32 0x7f800000, v[22:23]
	s_xor_b32 s73, exec_lo, s14
	s_cbranch_execz .LBB4_1672
; %bb.1659:                             ;   in Loop: Header=BB4_1642 Depth=4
	v_and_b32_e32 v22, 0x7fffffff, v4
	v_mov_b32_e32 v23, v3
	v_and_b32_e32 v24, 0x80, v5
                                        ; implicit-def: $vgpr66
	s_mov_b32 s14, exec_lo
	s_delay_alu instid0(VALU_DEP_2)
	v_cmpx_gt_u64_e32 0x47600001, v[22:23]
	s_xor_b32 s74, exec_lo, s14
	s_cbranch_execz .LBB4_1669
; %bb.1660:                             ;   in Loop: Header=BB4_1642 Depth=4
	v_mov_b32_e32 v66, 0
	s_mov_b32 s75, exec_lo
	v_cmpx_ne_u32_e32 0, v4
	s_cbranch_execz .LBB4_1668
; %bb.1661:                             ;   in Loop: Header=BB4_1642 Depth=4
	v_bfe_u32 v25, v4, 23, 8
	v_or_b32_e32 v22, 0x800000, v2
	s_delay_alu instid0(VALU_DEP_2) | instskip(SKIP_1) | instid1(VALU_DEP_1)
	v_sub_nc_u32_e32 v4, 0x71, v25
	v_cmp_gt_u32_e64 s13, 0x72, v25
	v_cndmask_b32_e64 v4, 0, v4, s13
	v_cmp_eq_u32_e64 s13, 0, v25
	s_delay_alu instid0(VALU_DEP_1) | instskip(SKIP_1) | instid1(VALU_DEP_2)
	v_cndmask_b32_e64 v66, v4, 0x70, s13
	v_cndmask_b32_e64 v2, v22, v2, s13
	v_dual_add_nc_u32 v4, 21, v66 :: v_dual_add_nc_u32 v23, 20, v66
	s_delay_alu instid0(VALU_DEP_1) | instskip(NEXT) | instid1(VALU_DEP_2)
	v_lshlrev_b64_e64 v[4:5], v4, -1
	v_lshlrev_b64_e64 v[22:23], v23, 1
	s_delay_alu instid0(VALU_DEP_2) | instskip(NEXT) | instid1(VALU_DEP_3)
	v_bfi_b32 v85, v5, 0, 0
	v_bfi_b32 v84, v4, 0, v2
	v_lshrrev_b64 v[4:5], v66, v[2:3]
	s_delay_alu instid0(VALU_DEP_2) | instskip(NEXT) | instid1(VALU_DEP_2)
	v_cmp_eq_u64_e64 s14, v[84:85], v[22:23]
	v_mov_b64_e32 v[22:23], v[4:5]
	s_and_saveexec_b32 s76, s14
; %bb.1662:                             ;   in Loop: Header=BB4_1642 Depth=4
	v_bfe_u32 v2, v4, 21, 1
	s_delay_alu instid0(VALU_DEP_1) | instskip(NEXT) | instid1(VALU_DEP_1)
	v_add_nc_u64_e32 v[22:23], v[4:5], v[2:3]
	v_add_nc_u64_e32 v[22:23], -1, v[22:23]
; %bb.1663:                             ;   in Loop: Header=BB4_1642 Depth=4
	s_or_b32 exec_lo, exec_lo, s76
	v_add_nc_u32_e32 v2, 0xffffff81, v25
	v_lshrrev_b32_e32 v5, 23, v4
	s_mov_b32 s14, exec_lo
	s_delay_alu instid0(VALU_DEP_2) | instskip(NEXT) | instid1(VALU_DEP_1)
	v_cndmask_b32_e64 v2, v2, 0xffffff82, s13
	v_add3_u32 v23, v66, v2, v5
	v_and_b32_e32 v2, 0x1fffff, v22
                                        ; implicit-def: $vgpr22
	s_delay_alu instid0(VALU_DEP_1) | instskip(NEXT) | instid1(VALU_DEP_1)
	v_dual_add_nc_u32 v25, 14, v23 :: v_dual_add_nc_u32 v2, v2, v4
                                        ; implicit-def: $vgpr4_vgpr5
	v_cmpx_ne_u32_e32 0, v25
	s_xor_b32 s14, exec_lo, s14
; %bb.1664:                             ;   in Loop: Header=BB4_1642 Depth=4
	s_delay_alu instid0(VALU_DEP_2) | instskip(SKIP_1) | instid1(VALU_DEP_1)
	v_cmp_lt_u64_e64 s13, 0xffffff, v[2:3]
	v_add_nc_u32_e32 v4, 15, v23
	v_cndmask_b32_e64 v22, v25, v4, s13
	v_cndmask_b32_e64 v4, 0, 1, s13
	s_delay_alu instid0(VALU_DEP_1)
	v_lshrrev_b64 v[4:5], v4, v[2:3]
; %bb.1665:                             ;   in Loop: Header=BB4_1642 Depth=4
	s_and_not1_saveexec_b32 s13, s14
; %bb.1666:                             ;   in Loop: Header=BB4_1642 Depth=4
	v_mov_b64_e32 v[4:5], v[2:3]
	v_bfe_u32 v22, v2, 23, 1
; %bb.1667:                             ;   in Loop: Header=BB4_1642 Depth=4
	s_or_b32 exec_lo, exec_lo, s13
	s_delay_alu instid0(VALU_DEP_2) | instskip(NEXT) | instid1(VALU_DEP_2)
	v_lshrrev_b64 v[4:5], 21, v[4:5]
	v_cmp_gt_i32_e64 s13, 32, v22
	v_min_i32_e32 v2, 31, v22
	v_cmp_eq_u32_e64 s14, 0, v22
	s_delay_alu instid0(VALU_DEP_2) | instskip(SKIP_1) | instid1(VALU_DEP_2)
	v_dual_cndmask_b32 v5, 0, v5, s13 :: v_dual_lshlrev_b32 v2, 2, v2
	v_cndmask_b32_e64 v4, 3, v4, s13
	v_and_b32_e32 v2, 0xfc, v2
	s_delay_alu instid0(VALU_DEP_2) | instskip(NEXT) | instid1(VALU_DEP_2)
	v_cmp_eq_u64_e64 s13, 0, v[4:5]
	v_and_or_b32 v2, v4, 3, v2
	s_and_b32 s13, s14, s13
	s_delay_alu instid0(VALU_DEP_1) | instid1(SALU_CYCLE_1)
	v_cndmask_b32_e64 v2, v2, 0, s13
	s_delay_alu instid0(VALU_DEP_1)
	v_or_b32_e32 v66, v2, v24
.LBB4_1668:                             ;   in Loop: Header=BB4_1642 Depth=4
	s_or_b32 exec_lo, exec_lo, s75
                                        ; implicit-def: $vgpr24
.LBB4_1669:                             ;   in Loop: Header=BB4_1642 Depth=4
	s_and_not1_saveexec_b32 s13, s74
; %bb.1670:                             ;   in Loop: Header=BB4_1642 Depth=4
	v_or_b32_e32 v66, 0x7b, v24
; %bb.1671:                             ;   in Loop: Header=BB4_1642 Depth=4
	s_or_b32 exec_lo, exec_lo, s13
                                        ; implicit-def: $vgpr4
                                        ; implicit-def: $vgpr5
.LBB4_1672:                             ;   in Loop: Header=BB4_1642 Depth=4
	s_and_not1_saveexec_b32 s14, s73
	s_cbranch_execz .LBB4_1678
; %bb.1673:                             ;   in Loop: Header=BB4_1642 Depth=4
	v_cmp_ne_u64_e64 s13, 0, v[2:3]
                                        ; implicit-def: $vgpr66
	s_and_saveexec_b32 s73, s13
	s_delay_alu instid0(SALU_CYCLE_1)
	s_xor_b32 s13, exec_lo, s73
; %bb.1674:                             ;   in Loop: Header=BB4_1642 Depth=4
	v_or_b32_e32 v66, 0x7f, v5
                                        ; implicit-def: $vgpr4
; %bb.1675:                             ;   in Loop: Header=BB4_1642 Depth=4
	s_and_not1_saveexec_b32 s73, s13
; %bb.1676:                             ;   in Loop: Header=BB4_1642 Depth=4
	v_cmp_lt_i32_e64 s13, -1, v4
	s_delay_alu instid0(VALU_DEP_1)
	v_cndmask_b32_e64 v66, 0xfc, v113, s13
; %bb.1677:                             ;   in Loop: Header=BB4_1642 Depth=4
	s_or_b32 exec_lo, exec_lo, s73
.LBB4_1678:                             ;   in Loop: Header=BB4_1642 Depth=4
	s_delay_alu instid0(SALU_CYCLE_1) | instskip(SKIP_3) | instid1(VALU_DEP_2)
	s_or_b32 exec_lo, exec_lo, s14
	v_lshrrev_b16 v2, 8, v12
	v_mov_b32_e32 v4, 0
	s_mov_b32 s14, exec_lo
	v_cmpx_ne_u16_e32 0, v2
	s_cbranch_execz .LBB4_1688
; %bb.1679:                             ;   in Loop: Header=BB4_1642 Depth=4
	v_bfrev_b32_e32 v4, 1
	s_mov_b32 s73, exec_lo
	v_cmpx_ne_u16_e32 0x80, v2
	s_cbranch_execz .LBB4_1687
; %bb.1680:                             ;   in Loop: Header=BB4_1642 Depth=4
	v_and_b32_e32 v22, 0xffff, v2
	s_delay_alu instid0(VALU_DEP_1) | instskip(SKIP_1) | instid1(VALU_DEP_2)
	v_and_b32_e32 v4, 0x7c, v22
	v_and_b32_e32 v5, 3, v22
	v_cmp_ne_u32_e64 s13, 0x7c, v4
                                        ; implicit-def: $vgpr4
	s_and_saveexec_b32 s74, s13
	s_delay_alu instid0(SALU_CYCLE_1)
	s_xor_b32 s74, exec_lo, s74
	s_cbranch_execz .LBB4_1684
; %bb.1681:                             ;   in Loop: Header=BB4_1642 Depth=4
	v_bfe_u32 v4, v22, 2, 5
	s_mov_b32 s75, exec_lo
	s_delay_alu instid0(VALU_DEP_1)
	v_cmpx_eq_u32_e32 0, v4
; %bb.1682:                             ;   in Loop: Header=BB4_1642 Depth=4
	v_clz_i32_u32_e32 v4, v5
	s_delay_alu instid0(VALU_DEP_1) | instskip(NEXT) | instid1(VALU_DEP_1)
	v_min_u32_e32 v4, 32, v4
	v_subrev_nc_u32_e32 v5, 29, v4
	s_delay_alu instid0(VALU_DEP_1) | instskip(NEXT) | instid1(VALU_DEP_1)
	v_lshlrev_b64_e32 v[22:23], v5, v[2:3]
	v_dual_sub_nc_u32 v4, 30, v4 :: v_dual_bitop2_b32 v5, 3, v22 bitop3:0x40
; %bb.1683:                             ;   in Loop: Header=BB4_1642 Depth=4
	s_or_b32 exec_lo, exec_lo, s75
	v_lshlrev_b32_e32 v2, 16, v12
	s_delay_alu instid0(VALU_DEP_1) | instskip(NEXT) | instid1(VALU_DEP_1)
	v_and_b32_e32 v2, 0x80000000, v2
	v_lshl_add_u32 v2, v4, 23, v2
	s_delay_alu instid0(VALU_DEP_1) | instskip(NEXT) | instid1(VALU_DEP_1)
	v_lshl_or_b32 v2, v5, 21, v2
                                        ; implicit-def: $vgpr5
	v_add_nc_u32_e32 v4, 0x38000000, v2
.LBB4_1684:                             ;   in Loop: Header=BB4_1642 Depth=4
	s_and_not1_saveexec_b32 s74, s74
; %bb.1685:                             ;   in Loop: Header=BB4_1642 Depth=4
	v_cmp_lt_i16_e64 s13, -1, v12
	s_delay_alu instid0(VALU_DEP_1) | instskip(SKIP_1) | instid1(VALU_DEP_1)
	v_cndmask_b32_e64 v2, 0xff800000, v112, s13
	v_cmp_eq_u32_e64 s13, 0, v5
	v_cndmask_b32_e64 v4, 0x7f800001, v2, s13
; %bb.1686:                             ;   in Loop: Header=BB4_1642 Depth=4
	s_or_b32 exec_lo, exec_lo, s74
.LBB4_1687:                             ;   in Loop: Header=BB4_1642 Depth=4
	s_delay_alu instid0(SALU_CYCLE_1)
	s_or_b32 exec_lo, exec_lo, s73
.LBB4_1688:                             ;   in Loop: Header=BB4_1642 Depth=4
	s_delay_alu instid0(SALU_CYCLE_1) | instskip(SKIP_3) | instid1(VALU_DEP_1)
	s_or_b32 exec_lo, exec_lo, s14
	v_lshrrev_b16 v2, 8, v8
	s_mov_b32 s73, 0
	s_mov_b32 s14, exec_lo
	v_cmpx_lt_i16_e32 0x7f, v2
	s_xor_b32 s14, exec_lo, s14
	s_cbranch_execz .LBB4_2195
; %bb.1689:                             ;   in Loop: Header=BB4_1642 Depth=4
	s_mov_b32 s73, -1
	s_mov_b32 s74, exec_lo
	v_cmpx_eq_u16_e32 0x80, v2
; %bb.1690:                             ;   in Loop: Header=BB4_1642 Depth=4
	s_xor_b32 s73, exec_lo, -1
; %bb.1691:                             ;   in Loop: Header=BB4_1642 Depth=4
	s_or_b32 exec_lo, exec_lo, s74
	s_delay_alu instid0(SALU_CYCLE_1)
	s_and_b32 s73, s73, exec_lo
	s_or_saveexec_b32 s14, s14
	v_bfrev_b32_e32 v5, 1
	s_xor_b32 exec_lo, exec_lo, s14
	s_cbranch_execnz .LBB4_2196
.LBB4_1692:                             ;   in Loop: Header=BB4_1642 Depth=4
	s_or_b32 exec_lo, exec_lo, s14
	s_and_saveexec_b32 s14, s73
	s_cbranch_execz .LBB4_1694
.LBB4_1693:                             ;   in Loop: Header=BB4_1642 Depth=4
	v_and_b32_e32 v5, 0xffff, v2
	s_delay_alu instid0(VALU_DEP_1) | instskip(NEXT) | instid1(VALU_DEP_1)
	v_and_b32_e32 v24, 3, v5
	v_clz_i32_u32_e32 v22, v24
	s_delay_alu instid0(VALU_DEP_1) | instskip(NEXT) | instid1(VALU_DEP_1)
	v_min_u32_e32 v25, 32, v22
	v_subrev_nc_u32_e32 v22, 29, v25
	s_delay_alu instid0(VALU_DEP_1) | instskip(SKIP_3) | instid1(VALU_DEP_3)
	v_lshlrev_b64_e32 v[22:23], v22, v[2:3]
	v_bfe_u32 v23, v5, 2, 5
	v_dual_lshlrev_b32 v2, 24, v2 :: v_dual_sub_nc_u32 v25, 30, v25
	v_and_b32_e32 v5, 0x7c, v5
	v_cmp_eq_u32_e64 s13, 0, v23
	s_delay_alu instid0(VALU_DEP_3) | instskip(NEXT) | instid1(VALU_DEP_2)
	v_and_b32_e32 v2, 0x80000000, v2
	v_dual_cndmask_b32 v23, v23, v25, s13 :: v_dual_bitop2_b32 v22, 3, v22 bitop3:0x40
	s_delay_alu instid0(VALU_DEP_1) | instskip(SKIP_1) | instid1(VALU_DEP_3)
	v_cndmask_b32_e64 v22, v24, v22, s13
	v_cmp_lt_i16_e64 s13, -1, v8
	v_lshl_add_u32 v2, v23, 23, v2
	s_delay_alu instid0(VALU_DEP_2) | instskip(SKIP_1) | instid1(VALU_DEP_3)
	v_cndmask_b32_e64 v23, 0xff800000, v112, s13
	v_cmp_eq_u32_e64 s13, 0, v24
	v_lshl_or_b32 v2, v22, 21, v2
	s_delay_alu instid0(VALU_DEP_2) | instskip(NEXT) | instid1(VALU_DEP_2)
	v_cndmask_b32_e64 v22, 0x7f800001, v23, s13
	v_add_nc_u32_e32 v2, 0x38000000, v2
	v_cmp_eq_u32_e64 s13, 0x7c, v5
	s_delay_alu instid0(VALU_DEP_1)
	v_cndmask_b32_e64 v5, v2, v22, s13
.LBB4_1694:                             ;   in Loop: Header=BB4_1642 Depth=4
	s_or_b32 exec_lo, exec_lo, s14
	s_delay_alu instid0(VALU_DEP_1) | instskip(SKIP_1) | instid1(VALU_DEP_1)
	v_dual_mul_f32 v4, v4, v5 :: v_dual_mov_b32 v23, v3
                                        ; implicit-def: $vgpr67
	s_mov_b32 s14, exec_lo
	v_and_b32_e32 v22, 0x7f800000, v4
	v_and_b32_e32 v2, 0x7fffff, v4
	v_lshrrev_b32_e32 v5, 24, v4
	s_delay_alu instid0(VALU_DEP_3)
	v_cmpx_ne_u64_e32 0x7f800000, v[22:23]
	s_xor_b32 s73, exec_lo, s14
	s_cbranch_execz .LBB4_1708
; %bb.1695:                             ;   in Loop: Header=BB4_1642 Depth=4
	v_and_b32_e32 v22, 0x7fffffff, v4
	v_mov_b32_e32 v23, v3
	v_and_b32_e32 v24, 0x80, v5
                                        ; implicit-def: $vgpr67
	s_mov_b32 s14, exec_lo
	s_delay_alu instid0(VALU_DEP_2)
	v_cmpx_gt_u64_e32 0x47600001, v[22:23]
	s_xor_b32 s74, exec_lo, s14
	s_cbranch_execz .LBB4_1705
; %bb.1696:                             ;   in Loop: Header=BB4_1642 Depth=4
	v_mov_b32_e32 v67, 0
	s_mov_b32 s75, exec_lo
	v_cmpx_ne_u32_e32 0, v4
	s_cbranch_execz .LBB4_1704
; %bb.1697:                             ;   in Loop: Header=BB4_1642 Depth=4
	v_bfe_u32 v25, v4, 23, 8
	v_or_b32_e32 v22, 0x800000, v2
	s_delay_alu instid0(VALU_DEP_2) | instskip(SKIP_1) | instid1(VALU_DEP_1)
	v_sub_nc_u32_e32 v4, 0x71, v25
	v_cmp_gt_u32_e64 s13, 0x72, v25
	v_cndmask_b32_e64 v4, 0, v4, s13
	v_cmp_eq_u32_e64 s13, 0, v25
	s_delay_alu instid0(VALU_DEP_1) | instskip(NEXT) | instid1(VALU_DEP_1)
	v_cndmask_b32_e64 v67, v4, 0x70, s13
	v_dual_cndmask_b32 v2, v22, v2, s13 :: v_dual_add_nc_u32 v4, 21, v67
	v_add_nc_u32_e32 v23, 20, v67
	s_delay_alu instid0(VALU_DEP_2) | instskip(NEXT) | instid1(VALU_DEP_2)
	v_lshlrev_b64_e64 v[4:5], v4, -1
	v_lshlrev_b64_e64 v[22:23], v23, 1
	s_delay_alu instid0(VALU_DEP_2) | instskip(NEXT) | instid1(VALU_DEP_3)
	v_bfi_b32 v85, v5, 0, 0
	v_bfi_b32 v84, v4, 0, v2
	v_lshrrev_b64 v[4:5], v67, v[2:3]
	s_delay_alu instid0(VALU_DEP_2) | instskip(NEXT) | instid1(VALU_DEP_2)
	v_cmp_eq_u64_e64 s14, v[84:85], v[22:23]
	v_mov_b64_e32 v[22:23], v[4:5]
	s_and_saveexec_b32 s76, s14
; %bb.1698:                             ;   in Loop: Header=BB4_1642 Depth=4
	v_bfe_u32 v2, v4, 21, 1
	s_delay_alu instid0(VALU_DEP_1) | instskip(NEXT) | instid1(VALU_DEP_1)
	v_add_nc_u64_e32 v[22:23], v[4:5], v[2:3]
	v_add_nc_u64_e32 v[22:23], -1, v[22:23]
; %bb.1699:                             ;   in Loop: Header=BB4_1642 Depth=4
	s_or_b32 exec_lo, exec_lo, s76
	v_add_nc_u32_e32 v2, 0xffffff81, v25
	v_lshrrev_b32_e32 v5, 23, v4
	s_mov_b32 s14, exec_lo
	s_delay_alu instid0(VALU_DEP_2) | instskip(NEXT) | instid1(VALU_DEP_1)
	v_cndmask_b32_e64 v2, v2, 0xffffff82, s13
	v_add3_u32 v23, v67, v2, v5
	v_and_b32_e32 v2, 0x1fffff, v22
                                        ; implicit-def: $vgpr22
	s_delay_alu instid0(VALU_DEP_1) | instskip(NEXT) | instid1(VALU_DEP_1)
	v_dual_add_nc_u32 v25, 14, v23 :: v_dual_add_nc_u32 v2, v2, v4
                                        ; implicit-def: $vgpr4_vgpr5
	v_cmpx_ne_u32_e32 0, v25
	s_xor_b32 s14, exec_lo, s14
; %bb.1700:                             ;   in Loop: Header=BB4_1642 Depth=4
	s_delay_alu instid0(VALU_DEP_2) | instskip(SKIP_1) | instid1(VALU_DEP_1)
	v_cmp_lt_u64_e64 s13, 0xffffff, v[2:3]
	v_add_nc_u32_e32 v4, 15, v23
	v_cndmask_b32_e64 v22, v25, v4, s13
	v_cndmask_b32_e64 v4, 0, 1, s13
	s_delay_alu instid0(VALU_DEP_1)
	v_lshrrev_b64 v[4:5], v4, v[2:3]
; %bb.1701:                             ;   in Loop: Header=BB4_1642 Depth=4
	s_and_not1_saveexec_b32 s13, s14
; %bb.1702:                             ;   in Loop: Header=BB4_1642 Depth=4
	v_mov_b64_e32 v[4:5], v[2:3]
	v_bfe_u32 v22, v2, 23, 1
; %bb.1703:                             ;   in Loop: Header=BB4_1642 Depth=4
	s_or_b32 exec_lo, exec_lo, s13
	s_delay_alu instid0(VALU_DEP_2) | instskip(NEXT) | instid1(VALU_DEP_2)
	v_lshrrev_b64 v[4:5], 21, v[4:5]
	v_cmp_gt_i32_e64 s13, 32, v22
	v_min_i32_e32 v2, 31, v22
	v_cmp_eq_u32_e64 s14, 0, v22
	s_delay_alu instid0(VALU_DEP_2) | instskip(SKIP_1) | instid1(VALU_DEP_2)
	v_dual_cndmask_b32 v5, 0, v5, s13 :: v_dual_lshlrev_b32 v2, 2, v2
	v_cndmask_b32_e64 v4, 3, v4, s13
	v_and_b32_e32 v2, 0xfc, v2
	s_delay_alu instid0(VALU_DEP_2) | instskip(NEXT) | instid1(VALU_DEP_2)
	v_cmp_eq_u64_e64 s13, 0, v[4:5]
	v_and_or_b32 v2, v4, 3, v2
	s_and_b32 s13, s14, s13
	s_delay_alu instid0(VALU_DEP_1) | instid1(SALU_CYCLE_1)
	v_cndmask_b32_e64 v2, v2, 0, s13
	s_delay_alu instid0(VALU_DEP_1)
	v_or_b32_e32 v67, v2, v24
.LBB4_1704:                             ;   in Loop: Header=BB4_1642 Depth=4
	s_or_b32 exec_lo, exec_lo, s75
                                        ; implicit-def: $vgpr24
.LBB4_1705:                             ;   in Loop: Header=BB4_1642 Depth=4
	s_and_not1_saveexec_b32 s13, s74
; %bb.1706:                             ;   in Loop: Header=BB4_1642 Depth=4
	v_or_b32_e32 v67, 0x7b, v24
; %bb.1707:                             ;   in Loop: Header=BB4_1642 Depth=4
	s_or_b32 exec_lo, exec_lo, s13
                                        ; implicit-def: $vgpr4
                                        ; implicit-def: $vgpr5
.LBB4_1708:                             ;   in Loop: Header=BB4_1642 Depth=4
	s_and_not1_saveexec_b32 s14, s73
	s_cbranch_execz .LBB4_1714
; %bb.1709:                             ;   in Loop: Header=BB4_1642 Depth=4
	v_cmp_ne_u64_e64 s13, 0, v[2:3]
                                        ; implicit-def: $vgpr67
	s_and_saveexec_b32 s73, s13
	s_delay_alu instid0(SALU_CYCLE_1)
	s_xor_b32 s13, exec_lo, s73
; %bb.1710:                             ;   in Loop: Header=BB4_1642 Depth=4
	v_or_b32_e32 v67, 0x7f, v5
                                        ; implicit-def: $vgpr4
; %bb.1711:                             ;   in Loop: Header=BB4_1642 Depth=4
	s_and_not1_saveexec_b32 s73, s13
; %bb.1712:                             ;   in Loop: Header=BB4_1642 Depth=4
	v_cmp_lt_i32_e64 s13, -1, v4
	s_delay_alu instid0(VALU_DEP_1)
	v_cndmask_b32_e64 v67, 0xfc, v113, s13
; %bb.1713:                             ;   in Loop: Header=BB4_1642 Depth=4
	s_or_b32 exec_lo, exec_lo, s73
.LBB4_1714:                             ;   in Loop: Header=BB4_1642 Depth=4
	s_delay_alu instid0(SALU_CYCLE_1) | instskip(SKIP_2) | instid1(VALU_DEP_1)
	s_or_b32 exec_lo, exec_lo, s14
	v_dual_lshrrev_b32 v2, 16, v12 :: v_dual_mov_b32 v4, 0
	s_mov_b32 s14, exec_lo
	v_and_b32_e32 v5, 0xff, v2
	s_delay_alu instid0(VALU_DEP_1)
	v_cmpx_ne_u16_e32 0, v5
	s_cbranch_execz .LBB4_1724
; %bb.1715:                             ;   in Loop: Header=BB4_1642 Depth=4
	v_bfrev_b32_e32 v4, 1
	s_mov_b32 s73, exec_lo
	v_cmpx_ne_u16_e32 0x80, v5
	s_cbranch_execz .LBB4_1723
; %bb.1716:                             ;   in Loop: Header=BB4_1642 Depth=4
	v_and_b32_e32 v4, 0x7c0000, v12
	v_bfe_u32 v5, v12, 16, 2
	s_delay_alu instid0(VALU_DEP_2) | instskip(SKIP_1) | instid1(SALU_CYCLE_1)
	v_cmp_ne_u32_e64 s13, 0x7c0000, v4
                                        ; implicit-def: $vgpr4
	s_and_saveexec_b32 s74, s13
	s_xor_b32 s74, exec_lo, s74
	s_cbranch_execz .LBB4_1720
; %bb.1717:                             ;   in Loop: Header=BB4_1642 Depth=4
	v_bfe_u32 v4, v12, 18, 5
	s_mov_b32 s75, exec_lo
	s_delay_alu instid0(VALU_DEP_1)
	v_cmpx_eq_u32_e32 0, v4
; %bb.1718:                             ;   in Loop: Header=BB4_1642 Depth=4
	v_clz_i32_u32_e32 v4, v5
	s_delay_alu instid0(VALU_DEP_1) | instskip(NEXT) | instid1(VALU_DEP_1)
	v_min_u32_e32 v4, 32, v4
	v_subrev_nc_u32_e32 v5, 29, v4
	s_delay_alu instid0(VALU_DEP_1) | instskip(NEXT) | instid1(VALU_DEP_1)
	v_lshlrev_b64_e32 v[22:23], v5, v[2:3]
	v_dual_sub_nc_u32 v4, 30, v4 :: v_dual_bitop2_b32 v5, 3, v22 bitop3:0x40
; %bb.1719:                             ;   in Loop: Header=BB4_1642 Depth=4
	s_or_b32 exec_lo, exec_lo, s75
	v_lshlrev_b32_e32 v2, 24, v2
	s_delay_alu instid0(VALU_DEP_1) | instskip(NEXT) | instid1(VALU_DEP_1)
	v_and_b32_e32 v2, 0x80000000, v2
	v_lshl_add_u32 v2, v4, 23, v2
	s_delay_alu instid0(VALU_DEP_1) | instskip(NEXT) | instid1(VALU_DEP_1)
	v_lshl_or_b32 v2, v5, 21, v2
                                        ; implicit-def: $vgpr5
	v_add_nc_u32_e32 v4, 0x38000000, v2
                                        ; implicit-def: $vgpr2
.LBB4_1720:                             ;   in Loop: Header=BB4_1642 Depth=4
	s_and_not1_saveexec_b32 s74, s74
; %bb.1721:                             ;   in Loop: Header=BB4_1642 Depth=4
	v_bfe_i32 v2, v2, 0, 8
	s_delay_alu instid0(VALU_DEP_1) | instskip(NEXT) | instid1(VALU_DEP_1)
	v_cmp_lt_i16_e64 s13, -1, v2
	v_cndmask_b32_e64 v2, 0xff800000, v112, s13
	v_cmp_eq_u32_e64 s13, 0, v5
	s_delay_alu instid0(VALU_DEP_1)
	v_cndmask_b32_e64 v4, 0x7f800001, v2, s13
; %bb.1722:                             ;   in Loop: Header=BB4_1642 Depth=4
	s_or_b32 exec_lo, exec_lo, s74
.LBB4_1723:                             ;   in Loop: Header=BB4_1642 Depth=4
	s_delay_alu instid0(SALU_CYCLE_1)
	s_or_b32 exec_lo, exec_lo, s73
.LBB4_1724:                             ;   in Loop: Header=BB4_1642 Depth=4
	s_delay_alu instid0(SALU_CYCLE_1) | instskip(SKIP_3) | instid1(VALU_DEP_1)
	s_or_b32 exec_lo, exec_lo, s14
	v_lshrrev_b32_e32 v2, 16, v8
	s_mov_b32 s73, 0
	s_mov_b32 s14, exec_lo
	v_and_b32_e32 v22, 0xff, v2
	s_delay_alu instid0(VALU_DEP_1)
	v_cmpx_lt_i16_e32 0x7f, v22
	s_xor_b32 s14, exec_lo, s14
	s_cbranch_execz .LBB4_2197
; %bb.1725:                             ;   in Loop: Header=BB4_1642 Depth=4
	s_mov_b32 s73, -1
	s_mov_b32 s74, exec_lo
	v_cmpx_eq_u16_e32 0x80, v22
; %bb.1726:                             ;   in Loop: Header=BB4_1642 Depth=4
	s_xor_b32 s73, exec_lo, -1
; %bb.1727:                             ;   in Loop: Header=BB4_1642 Depth=4
	s_or_b32 exec_lo, exec_lo, s74
	s_delay_alu instid0(SALU_CYCLE_1)
	s_and_b32 s73, s73, exec_lo
                                        ; implicit-def: $vgpr22
	s_or_saveexec_b32 s14, s14
	v_bfrev_b32_e32 v5, 1
	s_xor_b32 exec_lo, exec_lo, s14
	s_cbranch_execnz .LBB4_2198
.LBB4_1728:                             ;   in Loop: Header=BB4_1642 Depth=4
	s_or_b32 exec_lo, exec_lo, s14
	s_and_saveexec_b32 s14, s73
	s_cbranch_execz .LBB4_1730
.LBB4_1729:                             ;   in Loop: Header=BB4_1642 Depth=4
	v_and_b32_e32 v5, 3, v2
	v_bfe_u32 v25, v8, 18, 5
	s_delay_alu instid0(VALU_DEP_2) | instskip(NEXT) | instid1(VALU_DEP_2)
	v_clz_i32_u32_e32 v22, v5
	v_cmp_eq_u32_e64 s13, 0, v25
	s_delay_alu instid0(VALU_DEP_2) | instskip(NEXT) | instid1(VALU_DEP_1)
	v_min_u32_e32 v24, 32, v22
	v_subrev_nc_u32_e32 v22, 29, v24
	s_delay_alu instid0(VALU_DEP_1) | instskip(SKIP_2) | instid1(VALU_DEP_2)
	v_lshlrev_b64_e32 v[22:23], v22, v[2:3]
	v_dual_lshlrev_b32 v23, 24, v2 :: v_dual_sub_nc_u32 v24, 30, v24
	v_bfe_i32 v2, v2, 0, 8
	v_and_b32_e32 v23, 0x80000000, v23
	s_delay_alu instid0(VALU_DEP_3) | instskip(NEXT) | instid1(VALU_DEP_1)
	v_dual_cndmask_b32 v24, v25, v24, s13 :: v_dual_bitop2_b32 v22, 3, v22 bitop3:0x40
	v_cndmask_b32_e64 v22, v5, v22, s13
	s_delay_alu instid0(VALU_DEP_2) | instskip(SKIP_1) | instid1(VALU_DEP_2)
	v_lshl_add_u32 v23, v24, 23, v23
	v_cmp_lt_i16_e64 s13, -1, v2
	v_lshl_or_b32 v22, v22, 21, v23
	s_delay_alu instid0(VALU_DEP_2) | instskip(SKIP_2) | instid1(VALU_DEP_4)
	v_cndmask_b32_e64 v2, 0xff800000, v112, s13
	v_and_b32_e32 v23, 0x7c0000, v8
	v_cmp_eq_u32_e64 s13, 0, v5
	v_add_nc_u32_e32 v5, 0x38000000, v22
	s_delay_alu instid0(VALU_DEP_2) | instskip(NEXT) | instid1(VALU_DEP_4)
	v_cndmask_b32_e64 v2, 0x7f800001, v2, s13
	v_cmp_eq_u32_e64 s13, 0x7c0000, v23
	s_delay_alu instid0(VALU_DEP_1)
	v_cndmask_b32_e64 v5, v5, v2, s13
.LBB4_1730:                             ;   in Loop: Header=BB4_1642 Depth=4
	s_or_b32 exec_lo, exec_lo, s14
	s_delay_alu instid0(VALU_DEP_1) | instskip(SKIP_1) | instid1(VALU_DEP_1)
	v_dual_mul_f32 v4, v4, v5 :: v_dual_mov_b32 v23, v3
                                        ; implicit-def: $vgpr84
	s_mov_b32 s14, exec_lo
	v_and_b32_e32 v22, 0x7f800000, v4
	v_and_b32_e32 v2, 0x7fffff, v4
	v_lshrrev_b32_e32 v5, 24, v4
	s_delay_alu instid0(VALU_DEP_3)
	v_cmpx_ne_u64_e32 0x7f800000, v[22:23]
	s_xor_b32 s73, exec_lo, s14
	s_cbranch_execz .LBB4_1744
; %bb.1731:                             ;   in Loop: Header=BB4_1642 Depth=4
	v_and_b32_e32 v22, 0x7fffffff, v4
	v_mov_b32_e32 v23, v3
	v_and_b32_e32 v24, 0x80, v5
                                        ; implicit-def: $vgpr84
	s_mov_b32 s14, exec_lo
	s_delay_alu instid0(VALU_DEP_2)
	v_cmpx_gt_u64_e32 0x47600001, v[22:23]
	s_xor_b32 s74, exec_lo, s14
	s_cbranch_execz .LBB4_1741
; %bb.1732:                             ;   in Loop: Header=BB4_1642 Depth=4
	v_mov_b32_e32 v84, 0
	s_mov_b32 s75, exec_lo
	v_cmpx_ne_u32_e32 0, v4
	s_cbranch_execz .LBB4_1740
; %bb.1733:                             ;   in Loop: Header=BB4_1642 Depth=4
	v_bfe_u32 v25, v4, 23, 8
	v_or_b32_e32 v22, 0x800000, v2
	s_delay_alu instid0(VALU_DEP_2) | instskip(SKIP_1) | instid1(VALU_DEP_1)
	v_sub_nc_u32_e32 v4, 0x71, v25
	v_cmp_gt_u32_e64 s13, 0x72, v25
	v_cndmask_b32_e64 v4, 0, v4, s13
	v_cmp_eq_u32_e64 s13, 0, v25
	s_delay_alu instid0(VALU_DEP_1) | instskip(NEXT) | instid1(VALU_DEP_3)
	v_cndmask_b32_e64 v2, v22, v2, s13
	v_cndmask_b32_e64 v84, v4, 0x70, s13
	s_delay_alu instid0(VALU_DEP_1) | instskip(NEXT) | instid1(VALU_DEP_1)
	v_dual_add_nc_u32 v4, 21, v84 :: v_dual_add_nc_u32 v23, 20, v84
	v_lshlrev_b64_e64 v[4:5], v4, -1
	s_delay_alu instid0(VALU_DEP_2) | instskip(NEXT) | instid1(VALU_DEP_2)
	v_lshlrev_b64_e64 v[22:23], v23, 1
	v_bfi_b32 v101, v5, 0, 0
	s_delay_alu instid0(VALU_DEP_3) | instskip(SKIP_1) | instid1(VALU_DEP_2)
	v_bfi_b32 v100, v4, 0, v2
	v_lshrrev_b64 v[4:5], v84, v[2:3]
	v_cmp_eq_u64_e64 s14, v[100:101], v[22:23]
	s_delay_alu instid0(VALU_DEP_2)
	v_mov_b64_e32 v[22:23], v[4:5]
	s_and_saveexec_b32 s76, s14
; %bb.1734:                             ;   in Loop: Header=BB4_1642 Depth=4
	v_bfe_u32 v2, v4, 21, 1
	s_delay_alu instid0(VALU_DEP_1) | instskip(NEXT) | instid1(VALU_DEP_1)
	v_add_nc_u64_e32 v[22:23], v[4:5], v[2:3]
	v_add_nc_u64_e32 v[22:23], -1, v[22:23]
; %bb.1735:                             ;   in Loop: Header=BB4_1642 Depth=4
	s_or_b32 exec_lo, exec_lo, s76
	v_add_nc_u32_e32 v2, 0xffffff81, v25
	v_lshrrev_b32_e32 v5, 23, v4
	s_mov_b32 s14, exec_lo
	s_delay_alu instid0(VALU_DEP_2) | instskip(NEXT) | instid1(VALU_DEP_1)
	v_cndmask_b32_e64 v2, v2, 0xffffff82, s13
	v_add3_u32 v23, v84, v2, v5
	v_and_b32_e32 v2, 0x1fffff, v22
                                        ; implicit-def: $vgpr22
	s_delay_alu instid0(VALU_DEP_1) | instskip(NEXT) | instid1(VALU_DEP_1)
	v_dual_add_nc_u32 v25, 14, v23 :: v_dual_add_nc_u32 v2, v2, v4
                                        ; implicit-def: $vgpr4_vgpr5
	v_cmpx_ne_u32_e32 0, v25
	s_xor_b32 s14, exec_lo, s14
; %bb.1736:                             ;   in Loop: Header=BB4_1642 Depth=4
	s_delay_alu instid0(VALU_DEP_2) | instskip(SKIP_1) | instid1(VALU_DEP_1)
	v_cmp_lt_u64_e64 s13, 0xffffff, v[2:3]
	v_add_nc_u32_e32 v4, 15, v23
	v_cndmask_b32_e64 v22, v25, v4, s13
	v_cndmask_b32_e64 v4, 0, 1, s13
	s_delay_alu instid0(VALU_DEP_1)
	v_lshrrev_b64 v[4:5], v4, v[2:3]
; %bb.1737:                             ;   in Loop: Header=BB4_1642 Depth=4
	s_and_not1_saveexec_b32 s13, s14
; %bb.1738:                             ;   in Loop: Header=BB4_1642 Depth=4
	v_mov_b64_e32 v[4:5], v[2:3]
	v_bfe_u32 v22, v2, 23, 1
; %bb.1739:                             ;   in Loop: Header=BB4_1642 Depth=4
	s_or_b32 exec_lo, exec_lo, s13
	s_delay_alu instid0(VALU_DEP_2) | instskip(NEXT) | instid1(VALU_DEP_2)
	v_lshrrev_b64 v[4:5], 21, v[4:5]
	v_cmp_gt_i32_e64 s13, 32, v22
	v_min_i32_e32 v2, 31, v22
	v_cmp_eq_u32_e64 s14, 0, v22
	s_delay_alu instid0(VALU_DEP_2) | instskip(SKIP_1) | instid1(VALU_DEP_2)
	v_dual_cndmask_b32 v5, 0, v5, s13 :: v_dual_lshlrev_b32 v2, 2, v2
	v_cndmask_b32_e64 v4, 3, v4, s13
	v_and_b32_e32 v2, 0xfc, v2
	s_delay_alu instid0(VALU_DEP_2) | instskip(NEXT) | instid1(VALU_DEP_2)
	v_cmp_eq_u64_e64 s13, 0, v[4:5]
	v_and_or_b32 v2, v4, 3, v2
	s_and_b32 s13, s14, s13
	s_delay_alu instid0(VALU_DEP_1) | instid1(SALU_CYCLE_1)
	v_cndmask_b32_e64 v2, v2, 0, s13
	s_delay_alu instid0(VALU_DEP_1)
	v_or_b32_e32 v84, v2, v24
.LBB4_1740:                             ;   in Loop: Header=BB4_1642 Depth=4
	s_or_b32 exec_lo, exec_lo, s75
                                        ; implicit-def: $vgpr24
.LBB4_1741:                             ;   in Loop: Header=BB4_1642 Depth=4
	s_and_not1_saveexec_b32 s13, s74
; %bb.1742:                             ;   in Loop: Header=BB4_1642 Depth=4
	v_or_b32_e32 v84, 0x7b, v24
; %bb.1743:                             ;   in Loop: Header=BB4_1642 Depth=4
	s_or_b32 exec_lo, exec_lo, s13
                                        ; implicit-def: $vgpr4
                                        ; implicit-def: $vgpr5
.LBB4_1744:                             ;   in Loop: Header=BB4_1642 Depth=4
	s_and_not1_saveexec_b32 s14, s73
	s_cbranch_execz .LBB4_1750
; %bb.1745:                             ;   in Loop: Header=BB4_1642 Depth=4
	v_cmp_ne_u64_e64 s13, 0, v[2:3]
                                        ; implicit-def: $vgpr84
	s_and_saveexec_b32 s73, s13
	s_delay_alu instid0(SALU_CYCLE_1)
	s_xor_b32 s13, exec_lo, s73
; %bb.1746:                             ;   in Loop: Header=BB4_1642 Depth=4
	v_or_b32_e32 v84, 0x7f, v5
                                        ; implicit-def: $vgpr4
; %bb.1747:                             ;   in Loop: Header=BB4_1642 Depth=4
	s_and_not1_saveexec_b32 s73, s13
; %bb.1748:                             ;   in Loop: Header=BB4_1642 Depth=4
	v_cmp_lt_i32_e64 s13, -1, v4
	s_delay_alu instid0(VALU_DEP_1)
	v_cndmask_b32_e64 v84, 0xfc, v113, s13
; %bb.1749:                             ;   in Loop: Header=BB4_1642 Depth=4
	s_or_b32 exec_lo, exec_lo, s73
.LBB4_1750:                             ;   in Loop: Header=BB4_1642 Depth=4
	s_delay_alu instid0(SALU_CYCLE_1)
	s_or_b32 exec_lo, exec_lo, s14
	v_mov_b32_e32 v4, 0
	s_mov_b32 s14, exec_lo
	v_cmpx_lt_u32_e32 0xffffff, v12
	s_cbranch_execz .LBB4_1760
; %bb.1751:                             ;   in Loop: Header=BB4_1642 Depth=4
	v_lshrrev_b32_e32 v2, 24, v12
	v_bfrev_b32_e32 v4, 1
	s_mov_b32 s73, exec_lo
	s_delay_alu instid0(VALU_DEP_2)
	v_cmpx_ne_u32_e32 0x80, v2
	s_cbranch_execz .LBB4_1759
; %bb.1752:                             ;   in Loop: Header=BB4_1642 Depth=4
	v_and_b32_e32 v4, 0x7c000000, v12
	v_bfe_u32 v5, v12, 24, 2
	s_delay_alu instid0(VALU_DEP_2) | instskip(SKIP_1) | instid1(SALU_CYCLE_1)
	v_cmp_ne_u32_e64 s13, 0x7c000000, v4
                                        ; implicit-def: $vgpr4
	s_and_saveexec_b32 s74, s13
	s_xor_b32 s74, exec_lo, s74
	s_cbranch_execz .LBB4_1756
; %bb.1753:                             ;   in Loop: Header=BB4_1642 Depth=4
	v_bfe_u32 v4, v12, 26, 5
	s_mov_b32 s75, exec_lo
	s_delay_alu instid0(VALU_DEP_1)
	v_cmpx_eq_u32_e32 0, v4
; %bb.1754:                             ;   in Loop: Header=BB4_1642 Depth=4
	v_clz_i32_u32_e32 v4, v5
	s_delay_alu instid0(VALU_DEP_1) | instskip(NEXT) | instid1(VALU_DEP_1)
	v_min_u32_e32 v4, 32, v4
	v_subrev_nc_u32_e32 v5, 29, v4
	s_delay_alu instid0(VALU_DEP_1) | instskip(NEXT) | instid1(VALU_DEP_1)
	v_lshlrev_b64_e32 v[22:23], v5, v[2:3]
	v_dual_sub_nc_u32 v4, 30, v4 :: v_dual_bitop2_b32 v5, 3, v22 bitop3:0x40
; %bb.1755:                             ;   in Loop: Header=BB4_1642 Depth=4
	s_or_b32 exec_lo, exec_lo, s75
	v_and_b32_e32 v2, 0x80000000, v12
	s_delay_alu instid0(VALU_DEP_1) | instskip(NEXT) | instid1(VALU_DEP_1)
	v_lshl_add_u32 v2, v4, 23, v2
	v_lshl_or_b32 v2, v5, 21, v2
                                        ; implicit-def: $vgpr5
	s_delay_alu instid0(VALU_DEP_1)
	v_add_nc_u32_e32 v4, 0x38000000, v2
.LBB4_1756:                             ;   in Loop: Header=BB4_1642 Depth=4
	s_and_not1_saveexec_b32 s74, s74
; %bb.1757:                             ;   in Loop: Header=BB4_1642 Depth=4
	v_cmp_lt_i32_e64 s13, -1, v12
	s_delay_alu instid0(VALU_DEP_1) | instskip(SKIP_1) | instid1(VALU_DEP_1)
	v_cndmask_b32_e64 v2, 0xff800000, v112, s13
	v_cmp_eq_u32_e64 s13, 0, v5
	v_cndmask_b32_e64 v4, 0x7f800001, v2, s13
; %bb.1758:                             ;   in Loop: Header=BB4_1642 Depth=4
	s_or_b32 exec_lo, exec_lo, s74
.LBB4_1759:                             ;   in Loop: Header=BB4_1642 Depth=4
	s_delay_alu instid0(SALU_CYCLE_1)
	s_or_b32 exec_lo, exec_lo, s73
.LBB4_1760:                             ;   in Loop: Header=BB4_1642 Depth=4
	s_delay_alu instid0(SALU_CYCLE_1) | instskip(SKIP_3) | instid1(VALU_DEP_2)
	s_or_b32 exec_lo, exec_lo, s14
	v_bfe_u32 v5, v8, 24, 2
	v_bfe_u32 v25, v8, 26, 5
                                        ; implicit-def: $vgpr85
	s_mov_b32 s14, exec_lo
	v_clz_i32_u32_e32 v2, v5
	s_delay_alu instid0(VALU_DEP_2) | instskip(NEXT) | instid1(VALU_DEP_2)
	v_cmp_eq_u32_e64 s13, 0, v25
	v_min_u32_e32 v24, 32, v2
	v_lshrrev_b32_e32 v2, 24, v8
	s_delay_alu instid0(VALU_DEP_2) | instskip(NEXT) | instid1(VALU_DEP_1)
	v_subrev_nc_u32_e32 v22, 29, v24
	v_lshlrev_b64_e32 v[22:23], v22, v[2:3]
	v_sub_nc_u32_e32 v23, 30, v24
	v_and_b32_e32 v24, 0x80000000, v8
	s_delay_alu instid0(VALU_DEP_2) | instskip(NEXT) | instid1(VALU_DEP_1)
	v_dual_cndmask_b32 v23, v25, v23, s13 :: v_dual_bitop2_b32 v22, 3, v22 bitop3:0x40
	v_cndmask_b32_e64 v22, v5, v22, s13
	s_delay_alu instid0(VALU_DEP_2) | instskip(SKIP_1) | instid1(VALU_DEP_2)
	v_lshl_add_u32 v23, v23, 23, v24
	v_cmp_lt_i32_e64 s13, -1, v8
	v_lshl_or_b32 v22, v22, 21, v23
	s_delay_alu instid0(VALU_DEP_2) | instskip(SKIP_2) | instid1(VALU_DEP_4)
	v_cndmask_b32_e64 v24, 0xff800000, v112, s13
	v_and_b32_e32 v23, 0x7c000000, v8
	v_cmp_eq_u32_e64 s13, 0, v5
	v_add_nc_u32_e32 v22, 0x38000000, v22
	s_delay_alu instid0(VALU_DEP_2) | instskip(NEXT) | instid1(VALU_DEP_4)
	v_cndmask_b32_e64 v5, 0x7f800001, v24, s13
	v_cmp_eq_u32_e64 s13, 0x7c000000, v23
	s_delay_alu instid0(VALU_DEP_1) | instskip(SKIP_1) | instid1(VALU_DEP_1)
	v_dual_mov_b32 v23, v3 :: v_dual_cndmask_b32 v5, v22, v5, s13
	v_cmp_ne_u32_e64 s13, 0x80, v2
	v_cndmask_b32_e64 v2, 0x80000000, v5, s13
	v_cmp_lt_u32_e64 s13, 0xffffff, v8
	s_delay_alu instid0(VALU_DEP_1) | instskip(NEXT) | instid1(VALU_DEP_1)
	v_cndmask_b32_e64 v2, 0, v2, s13
	v_mul_f32_e32 v4, v2, v4
	s_delay_alu instid0(VALU_DEP_1) | instskip(SKIP_2) | instid1(VALU_DEP_3)
	v_and_b32_e32 v22, 0x7f800000, v4
	v_and_b32_e32 v2, 0x7fffff, v4
	v_lshrrev_b32_e32 v5, 24, v4
	v_cmpx_ne_u64_e32 0x7f800000, v[22:23]
	s_xor_b32 s73, exec_lo, s14
	s_cbranch_execz .LBB4_1774
; %bb.1761:                             ;   in Loop: Header=BB4_1642 Depth=4
	v_and_b32_e32 v22, 0x7fffffff, v4
	v_mov_b32_e32 v23, v3
	v_and_b32_e32 v24, 0x80, v5
                                        ; implicit-def: $vgpr85
	s_mov_b32 s14, exec_lo
	s_delay_alu instid0(VALU_DEP_2)
	v_cmpx_gt_u64_e32 0x47600001, v[22:23]
	s_xor_b32 s74, exec_lo, s14
	s_cbranch_execz .LBB4_1771
; %bb.1762:                             ;   in Loop: Header=BB4_1642 Depth=4
	v_mov_b32_e32 v85, 0
	s_mov_b32 s75, exec_lo
	v_cmpx_ne_u32_e32 0, v4
	s_cbranch_execz .LBB4_1770
; %bb.1763:                             ;   in Loop: Header=BB4_1642 Depth=4
	v_bfe_u32 v25, v4, 23, 8
	v_or_b32_e32 v22, 0x800000, v2
	s_delay_alu instid0(VALU_DEP_2) | instskip(SKIP_1) | instid1(VALU_DEP_1)
	v_sub_nc_u32_e32 v4, 0x71, v25
	v_cmp_gt_u32_e64 s13, 0x72, v25
	v_cndmask_b32_e64 v4, 0, v4, s13
	v_cmp_eq_u32_e64 s13, 0, v25
	s_delay_alu instid0(VALU_DEP_1) | instskip(NEXT) | instid1(VALU_DEP_1)
	v_cndmask_b32_e64 v85, v4, 0x70, s13
	v_dual_cndmask_b32 v2, v22, v2, s13 :: v_dual_add_nc_u32 v4, 21, v85
	v_add_nc_u32_e32 v23, 20, v85
	s_delay_alu instid0(VALU_DEP_2) | instskip(NEXT) | instid1(VALU_DEP_2)
	v_lshlrev_b64_e64 v[4:5], v4, -1
	v_lshlrev_b64_e64 v[22:23], v23, 1
	s_delay_alu instid0(VALU_DEP_2) | instskip(NEXT) | instid1(VALU_DEP_3)
	v_bfi_b32 v101, v5, 0, 0
	v_bfi_b32 v100, v4, 0, v2
	v_lshrrev_b64 v[4:5], v85, v[2:3]
	s_delay_alu instid0(VALU_DEP_2) | instskip(NEXT) | instid1(VALU_DEP_2)
	v_cmp_eq_u64_e64 s14, v[100:101], v[22:23]
	v_mov_b64_e32 v[22:23], v[4:5]
	s_and_saveexec_b32 s76, s14
; %bb.1764:                             ;   in Loop: Header=BB4_1642 Depth=4
	v_bfe_u32 v2, v4, 21, 1
	s_delay_alu instid0(VALU_DEP_1) | instskip(NEXT) | instid1(VALU_DEP_1)
	v_add_nc_u64_e32 v[22:23], v[4:5], v[2:3]
	v_add_nc_u64_e32 v[22:23], -1, v[22:23]
; %bb.1765:                             ;   in Loop: Header=BB4_1642 Depth=4
	s_or_b32 exec_lo, exec_lo, s76
	v_add_nc_u32_e32 v2, 0xffffff81, v25
	v_lshrrev_b32_e32 v5, 23, v4
	s_mov_b32 s14, exec_lo
	s_delay_alu instid0(VALU_DEP_2) | instskip(NEXT) | instid1(VALU_DEP_1)
	v_cndmask_b32_e64 v2, v2, 0xffffff82, s13
	v_add3_u32 v23, v85, v2, v5
	v_and_b32_e32 v2, 0x1fffff, v22
                                        ; implicit-def: $vgpr22
	s_delay_alu instid0(VALU_DEP_1) | instskip(NEXT) | instid1(VALU_DEP_1)
	v_dual_add_nc_u32 v25, 14, v23 :: v_dual_add_nc_u32 v2, v2, v4
                                        ; implicit-def: $vgpr4_vgpr5
	v_cmpx_ne_u32_e32 0, v25
	s_xor_b32 s14, exec_lo, s14
; %bb.1766:                             ;   in Loop: Header=BB4_1642 Depth=4
	s_delay_alu instid0(VALU_DEP_2) | instskip(SKIP_1) | instid1(VALU_DEP_1)
	v_cmp_lt_u64_e64 s13, 0xffffff, v[2:3]
	v_add_nc_u32_e32 v4, 15, v23
	v_cndmask_b32_e64 v22, v25, v4, s13
	v_cndmask_b32_e64 v4, 0, 1, s13
	s_delay_alu instid0(VALU_DEP_1)
	v_lshrrev_b64 v[4:5], v4, v[2:3]
; %bb.1767:                             ;   in Loop: Header=BB4_1642 Depth=4
	s_and_not1_saveexec_b32 s13, s14
; %bb.1768:                             ;   in Loop: Header=BB4_1642 Depth=4
	v_mov_b64_e32 v[4:5], v[2:3]
	v_bfe_u32 v22, v2, 23, 1
; %bb.1769:                             ;   in Loop: Header=BB4_1642 Depth=4
	s_or_b32 exec_lo, exec_lo, s13
	s_delay_alu instid0(VALU_DEP_2) | instskip(NEXT) | instid1(VALU_DEP_2)
	v_lshrrev_b64 v[4:5], 21, v[4:5]
	v_cmp_gt_i32_e64 s13, 32, v22
	v_min_i32_e32 v2, 31, v22
	v_cmp_eq_u32_e64 s14, 0, v22
	s_delay_alu instid0(VALU_DEP_2) | instskip(SKIP_1) | instid1(VALU_DEP_2)
	v_dual_cndmask_b32 v5, 0, v5, s13 :: v_dual_lshlrev_b32 v2, 2, v2
	v_cndmask_b32_e64 v4, 3, v4, s13
	v_and_b32_e32 v2, 0xfc, v2
	s_delay_alu instid0(VALU_DEP_2) | instskip(NEXT) | instid1(VALU_DEP_2)
	v_cmp_eq_u64_e64 s13, 0, v[4:5]
	v_and_or_b32 v2, v4, 3, v2
	s_and_b32 s13, s14, s13
	s_delay_alu instid0(VALU_DEP_1) | instid1(SALU_CYCLE_1)
	v_cndmask_b32_e64 v2, v2, 0, s13
	s_delay_alu instid0(VALU_DEP_1)
	v_or_b32_e32 v85, v2, v24
.LBB4_1770:                             ;   in Loop: Header=BB4_1642 Depth=4
	s_or_b32 exec_lo, exec_lo, s75
                                        ; implicit-def: $vgpr24
.LBB4_1771:                             ;   in Loop: Header=BB4_1642 Depth=4
	s_and_not1_saveexec_b32 s13, s74
; %bb.1772:                             ;   in Loop: Header=BB4_1642 Depth=4
	v_or_b32_e32 v85, 0x7b, v24
; %bb.1773:                             ;   in Loop: Header=BB4_1642 Depth=4
	s_or_b32 exec_lo, exec_lo, s13
                                        ; implicit-def: $vgpr4
                                        ; implicit-def: $vgpr5
.LBB4_1774:                             ;   in Loop: Header=BB4_1642 Depth=4
	s_and_not1_saveexec_b32 s14, s73
	s_cbranch_execz .LBB4_1780
; %bb.1775:                             ;   in Loop: Header=BB4_1642 Depth=4
	v_cmp_ne_u64_e64 s13, 0, v[2:3]
                                        ; implicit-def: $vgpr85
	s_and_saveexec_b32 s73, s13
	s_delay_alu instid0(SALU_CYCLE_1)
	s_xor_b32 s13, exec_lo, s73
; %bb.1776:                             ;   in Loop: Header=BB4_1642 Depth=4
	v_or_b32_e32 v85, 0x7f, v5
                                        ; implicit-def: $vgpr4
; %bb.1777:                             ;   in Loop: Header=BB4_1642 Depth=4
	s_and_not1_saveexec_b32 s73, s13
; %bb.1778:                             ;   in Loop: Header=BB4_1642 Depth=4
	v_cmp_lt_i32_e64 s13, -1, v4
	s_delay_alu instid0(VALU_DEP_1)
	v_cndmask_b32_e64 v85, 0xfc, v113, s13
; %bb.1779:                             ;   in Loop: Header=BB4_1642 Depth=4
	s_or_b32 exec_lo, exec_lo, s73
.LBB4_1780:                             ;   in Loop: Header=BB4_1642 Depth=4
	s_delay_alu instid0(SALU_CYCLE_1) | instskip(SKIP_3) | instid1(VALU_DEP_2)
	s_or_b32 exec_lo, exec_lo, s14
	v_and_b32_e32 v4, 0xff, v13
	v_dual_mov_b32 v2, v13 :: v_dual_mov_b32 v22, 0
	s_mov_b32 s14, exec_lo
	v_cmpx_ne_u16_e32 0, v4
	s_cbranch_execz .LBB4_1790
; %bb.1781:                             ;   in Loop: Header=BB4_1642 Depth=4
	v_bfrev_b32_e32 v22, 1
	s_mov_b32 s73, exec_lo
	v_cmpx_ne_u16_e32 0x80, v4
	s_cbranch_execz .LBB4_1789
; %bb.1782:                             ;   in Loop: Header=BB4_1642 Depth=4
	v_and_b32_e32 v5, 0x7c, v13
	v_and_b32_e32 v4, 3, v13
	s_mov_b32 s74, exec_lo
                                        ; implicit-def: $vgpr22
	s_delay_alu instid0(VALU_DEP_2)
	v_cmpx_ne_u32_e32 0x7c, v5
	s_xor_b32 s74, exec_lo, s74
	s_cbranch_execz .LBB4_1786
; %bb.1783:                             ;   in Loop: Header=BB4_1642 Depth=4
	v_bfe_u32 v5, v13, 2, 5
	s_mov_b32 s75, exec_lo
	s_delay_alu instid0(VALU_DEP_1)
	v_cmpx_eq_u32_e32 0, v5
; %bb.1784:                             ;   in Loop: Header=BB4_1642 Depth=4
	v_clz_i32_u32_e32 v4, v4
	s_delay_alu instid0(VALU_DEP_1) | instskip(NEXT) | instid1(VALU_DEP_1)
	v_min_u32_e32 v22, 32, v4
	v_subrev_nc_u32_e32 v4, 29, v22
	s_delay_alu instid0(VALU_DEP_1) | instskip(NEXT) | instid1(VALU_DEP_1)
	v_lshlrev_b64_e32 v[4:5], v4, v[2:3]
	v_dual_sub_nc_u32 v5, 30, v22 :: v_dual_bitop2_b32 v4, 3, v4 bitop3:0x40
; %bb.1785:                             ;   in Loop: Header=BB4_1642 Depth=4
	s_or_b32 exec_lo, exec_lo, s75
	v_lshlrev_b32_e32 v22, 24, v13
	s_delay_alu instid0(VALU_DEP_1) | instskip(NEXT) | instid1(VALU_DEP_1)
	v_and_b32_e32 v22, 0x80000000, v22
	v_lshl_add_u32 v5, v5, 23, v22
	s_delay_alu instid0(VALU_DEP_1) | instskip(NEXT) | instid1(VALU_DEP_1)
	v_lshl_or_b32 v4, v4, 21, v5
	v_add_nc_u32_e32 v22, 0x38000000, v4
                                        ; implicit-def: $vgpr4
.LBB4_1786:                             ;   in Loop: Header=BB4_1642 Depth=4
	s_and_not1_saveexec_b32 s74, s74
; %bb.1787:                             ;   in Loop: Header=BB4_1642 Depth=4
	v_bfe_i32 v5, v13, 0, 8
	s_delay_alu instid0(VALU_DEP_1) | instskip(NEXT) | instid1(VALU_DEP_1)
	v_cmp_lt_i16_e64 s13, -1, v5
	v_cndmask_b32_e64 v5, 0xff800000, v112, s13
	v_cmp_eq_u32_e64 s13, 0, v4
	s_delay_alu instid0(VALU_DEP_1)
	v_cndmask_b32_e64 v22, 0x7f800001, v5, s13
; %bb.1788:                             ;   in Loop: Header=BB4_1642 Depth=4
	s_or_b32 exec_lo, exec_lo, s74
.LBB4_1789:                             ;   in Loop: Header=BB4_1642 Depth=4
	s_delay_alu instid0(SALU_CYCLE_1)
	s_or_b32 exec_lo, exec_lo, s73
.LBB4_1790:                             ;   in Loop: Header=BB4_1642 Depth=4
	s_delay_alu instid0(SALU_CYCLE_1) | instskip(SKIP_4) | instid1(VALU_DEP_2)
	s_or_b32 exec_lo, exec_lo, s14
	v_and_b32_e32 v5, 0xff, v9
	v_mov_b32_e32 v4, v9
	s_mov_b32 s73, 0
	s_mov_b32 s14, exec_lo
	v_cmpx_lt_i16_e32 0x7f, v5
	s_xor_b32 s14, exec_lo, s14
	s_cbranch_execz .LBB4_2199
; %bb.1791:                             ;   in Loop: Header=BB4_1642 Depth=4
	s_mov_b32 s73, -1
	s_mov_b32 s74, exec_lo
	v_cmpx_eq_u16_e32 0x80, v5
; %bb.1792:                             ;   in Loop: Header=BB4_1642 Depth=4
	s_xor_b32 s73, exec_lo, -1
; %bb.1793:                             ;   in Loop: Header=BB4_1642 Depth=4
	s_or_b32 exec_lo, exec_lo, s74
	s_delay_alu instid0(SALU_CYCLE_1)
	s_and_b32 s73, s73, exec_lo
                                        ; implicit-def: $vgpr5
	s_or_saveexec_b32 s14, s14
	v_bfrev_b32_e32 v23, 1
	s_xor_b32 exec_lo, exec_lo, s14
	s_cbranch_execnz .LBB4_2200
.LBB4_1794:                             ;   in Loop: Header=BB4_1642 Depth=4
	s_or_b32 exec_lo, exec_lo, s14
	v_mov_b32_e32 v5, v3
	s_and_saveexec_b32 s14, s73
	s_cbranch_execz .LBB4_1796
.LBB4_1795:                             ;   in Loop: Header=BB4_1642 Depth=4
	v_and_b32_e32 v23, 3, v9
	s_delay_alu instid0(VALU_DEP_1) | instskip(NEXT) | instid1(VALU_DEP_1)
	v_clz_i32_u32_e32 v24, v23
	v_min_u32_e32 v100, 32, v24
	s_delay_alu instid0(VALU_DEP_1) | instskip(SKIP_1) | instid1(VALU_DEP_2)
	v_subrev_nc_u32_e32 v24, 29, v100
	v_sub_nc_u32_e32 v100, 30, v100
	v_lshlrev_b64_e32 v[24:25], v24, v[4:5]
	v_bfe_u32 v25, v9, 2, 5
	v_lshlrev_b32_e32 v5, 24, v9
	s_delay_alu instid0(VALU_DEP_2) | instskip(NEXT) | instid1(VALU_DEP_2)
	v_cmp_eq_u32_e64 s13, 0, v25
	v_and_b32_e32 v5, 0x80000000, v5
	v_and_b32_e32 v24, 3, v24
	s_delay_alu instid0(VALU_DEP_3) | instskip(SKIP_1) | instid1(VALU_DEP_3)
	v_cndmask_b32_e64 v25, v25, v100, s13
	v_bfe_i32 v100, v9, 0, 8
	v_cndmask_b32_e64 v24, v23, v24, s13
	s_delay_alu instid0(VALU_DEP_3) | instskip(NEXT) | instid1(VALU_DEP_3)
	v_lshl_add_u32 v5, v25, 23, v5
	v_cmp_lt_i16_e64 s13, -1, v100
	s_delay_alu instid0(VALU_DEP_2) | instskip(NEXT) | instid1(VALU_DEP_2)
	v_lshl_or_b32 v5, v24, 21, v5
	v_cndmask_b32_e64 v25, 0xff800000, v112, s13
	v_and_b32_e32 v24, 0x7c, v9
	v_cmp_eq_u32_e64 s13, 0, v23
	s_delay_alu instid0(VALU_DEP_4) | instskip(NEXT) | instid1(VALU_DEP_2)
	v_add_nc_u32_e32 v5, 0x38000000, v5
	v_cndmask_b32_e64 v23, 0x7f800001, v25, s13
	s_delay_alu instid0(VALU_DEP_4) | instskip(NEXT) | instid1(VALU_DEP_1)
	v_cmp_eq_u32_e64 s13, 0x7c, v24
	v_cndmask_b32_e64 v23, v5, v23, s13
.LBB4_1796:                             ;   in Loop: Header=BB4_1642 Depth=4
	s_or_b32 exec_lo, exec_lo, s14
	s_delay_alu instid0(VALU_DEP_1) | instskip(SKIP_2) | instid1(VALU_DEP_2)
	v_dual_mul_f32 v25, v22, v23 :: v_dual_mov_b32 v101, v3
	v_mov_b32_e32 v23, v3
                                        ; implicit-def: $vgpr24
	s_mov_b32 s14, exec_lo
	v_and_b32_e32 v100, 0x7f800000, v25
	v_and_b32_e32 v22, 0x7fffff, v25
	v_lshrrev_b32_e32 v5, 24, v25
	s_delay_alu instid0(VALU_DEP_3)
	v_cmpx_ne_u64_e32 0x7f800000, v[100:101]
	s_xor_b32 s73, exec_lo, s14
	s_cbranch_execz .LBB4_1810
; %bb.1797:                             ;   in Loop: Header=BB4_1642 Depth=4
	v_and_b32_e32 v100, 0x7fffffff, v25
	v_mov_b32_e32 v101, v3
	v_and_b32_e32 v5, 0x80, v5
                                        ; implicit-def: $vgpr24
	s_mov_b32 s14, exec_lo
	s_delay_alu instid0(VALU_DEP_2)
	v_cmpx_gt_u64_e32 0x47600001, v[100:101]
	s_xor_b32 s74, exec_lo, s14
	s_cbranch_execz .LBB4_1807
; %bb.1798:                             ;   in Loop: Header=BB4_1642 Depth=4
	v_mov_b32_e32 v24, 0
	s_mov_b32 s75, exec_lo
	v_cmpx_ne_u32_e32 0, v25
	s_cbranch_execz .LBB4_1806
; %bb.1799:                             ;   in Loop: Header=BB4_1642 Depth=4
	v_bfe_u32 v100, v25, 23, 8
	v_or_b32_e32 v102, 0x800000, v22
	s_delay_alu instid0(VALU_DEP_2) | instskip(SKIP_1) | instid1(VALU_DEP_1)
	v_sub_nc_u32_e32 v24, 0x71, v100
	v_cmp_gt_u32_e64 s13, 0x72, v100
	v_cndmask_b32_e64 v24, 0, v24, s13
	v_cmp_eq_u32_e64 s13, 0, v100
	s_delay_alu instid0(VALU_DEP_1) | instskip(NEXT) | instid1(VALU_DEP_1)
	v_cndmask_b32_e64 v101, v24, 0x70, s13
	v_dual_cndmask_b32 v22, v102, v22, s13 :: v_dual_add_nc_u32 v24, 21, v101
	v_add_nc_u32_e32 v103, 20, v101
	s_delay_alu instid0(VALU_DEP_2) | instskip(NEXT) | instid1(VALU_DEP_2)
	v_lshlrev_b64_e64 v[24:25], v24, -1
	v_lshlrev_b64_e64 v[102:103], v103, 1
	s_delay_alu instid0(VALU_DEP_2) | instskip(SKIP_1) | instid1(VALU_DEP_4)
	v_bfi_b32 v24, v24, 0, v22
	v_lshrrev_b64 v[22:23], v101, v[22:23]
	v_bfi_b32 v25, v25, 0, 0
	s_delay_alu instid0(VALU_DEP_1) | instskip(NEXT) | instid1(VALU_DEP_3)
	v_cmp_eq_u64_e64 s14, v[24:25], v[102:103]
	v_mov_b64_e32 v[24:25], v[22:23]
	s_and_saveexec_b32 s76, s14
; %bb.1800:                             ;   in Loop: Header=BB4_1642 Depth=4
	v_bfe_u32 v24, v22, 21, 1
	v_mov_b32_e32 v25, v3
	s_delay_alu instid0(VALU_DEP_1) | instskip(NEXT) | instid1(VALU_DEP_1)
	v_add_nc_u64_e32 v[24:25], v[22:23], v[24:25]
	v_add_nc_u64_e32 v[24:25], -1, v[24:25]
; %bb.1801:                             ;   in Loop: Header=BB4_1642 Depth=4
	s_or_b32 exec_lo, exec_lo, s76
	v_add_nc_u32_e32 v23, 0xffffff81, v100
	v_lshrrev_b32_e32 v25, 23, v22
	s_mov_b32 s14, exec_lo
	s_delay_alu instid0(VALU_DEP_2) | instskip(NEXT) | instid1(VALU_DEP_1)
	v_cndmask_b32_e64 v23, v23, 0xffffff82, s13
	v_add3_u32 v25, v101, v23, v25
	v_and_b32_e32 v23, 0x1fffff, v24
                                        ; implicit-def: $vgpr24
	s_delay_alu instid0(VALU_DEP_1) | instskip(SKIP_1) | instid1(VALU_DEP_2)
	v_dual_add_nc_u32 v100, 14, v25 :: v_dual_add_nc_u32 v22, v23, v22
	v_mov_b32_e32 v23, v3
	v_cmpx_ne_u32_e32 0, v100
	s_xor_b32 s14, exec_lo, s14
; %bb.1802:                             ;   in Loop: Header=BB4_1642 Depth=4
	s_delay_alu instid0(VALU_DEP_2) | instskip(SKIP_1) | instid1(VALU_DEP_2)
	v_cmp_lt_u64_e64 s13, 0xffffff, v[22:23]
	v_add_nc_u32_e32 v24, 15, v25
	v_cndmask_b32_e64 v25, 0, 1, s13
	s_delay_alu instid0(VALU_DEP_2) | instskip(NEXT) | instid1(VALU_DEP_2)
	v_cndmask_b32_e64 v24, v100, v24, s13
	v_lshrrev_b64 v[22:23], v25, v[22:23]
; %bb.1803:                             ;   in Loop: Header=BB4_1642 Depth=4
	s_and_not1_saveexec_b32 s13, s14
; %bb.1804:                             ;   in Loop: Header=BB4_1642 Depth=4
	s_delay_alu instid0(VALU_DEP_1)
	v_bfe_u32 v24, v22, 23, 1
; %bb.1805:                             ;   in Loop: Header=BB4_1642 Depth=4
	s_or_b32 exec_lo, exec_lo, s13
	s_delay_alu instid0(VALU_DEP_2) | instskip(NEXT) | instid1(VALU_DEP_2)
	v_lshrrev_b64 v[22:23], 21, v[22:23]
	v_cmp_gt_i32_e64 s13, 32, v24
	v_min_i32_e32 v25, 31, v24
	v_cmp_eq_u32_e64 s14, 0, v24
	s_delay_alu instid0(VALU_DEP_2) | instskip(SKIP_1) | instid1(VALU_DEP_2)
	v_dual_cndmask_b32 v23, 0, v23, s13 :: v_dual_lshlrev_b32 v25, 2, v25
	v_cndmask_b32_e64 v22, 3, v22, s13
	v_and_b32_e32 v25, 0xfc, v25
	s_delay_alu instid0(VALU_DEP_2) | instskip(NEXT) | instid1(VALU_DEP_2)
	v_cmp_eq_u64_e64 s13, 0, v[22:23]
	v_and_or_b32 v22, v22, 3, v25
	s_and_b32 s13, s14, s13
	s_delay_alu instid0(VALU_DEP_1) | instid1(SALU_CYCLE_1)
	v_cndmask_b32_e64 v22, v22, 0, s13
	s_delay_alu instid0(VALU_DEP_1)
	v_or_b32_e32 v24, v22, v5
.LBB4_1806:                             ;   in Loop: Header=BB4_1642 Depth=4
	s_or_b32 exec_lo, exec_lo, s75
                                        ; implicit-def: $vgpr5
.LBB4_1807:                             ;   in Loop: Header=BB4_1642 Depth=4
	s_and_not1_saveexec_b32 s13, s74
; %bb.1808:                             ;   in Loop: Header=BB4_1642 Depth=4
	v_or_b32_e32 v24, 0x7b, v5
; %bb.1809:                             ;   in Loop: Header=BB4_1642 Depth=4
	s_or_b32 exec_lo, exec_lo, s13
                                        ; implicit-def: $vgpr25
                                        ; implicit-def: $vgpr22_vgpr23
                                        ; implicit-def: $vgpr5
.LBB4_1810:                             ;   in Loop: Header=BB4_1642 Depth=4
	s_and_not1_saveexec_b32 s14, s73
	s_cbranch_execz .LBB4_1816
; %bb.1811:                             ;   in Loop: Header=BB4_1642 Depth=4
	v_cmp_ne_u64_e64 s13, 0, v[22:23]
                                        ; implicit-def: $vgpr24
	s_and_saveexec_b32 s73, s13
	s_delay_alu instid0(SALU_CYCLE_1)
	s_xor_b32 s13, exec_lo, s73
; %bb.1812:                             ;   in Loop: Header=BB4_1642 Depth=4
	v_or_b32_e32 v24, 0x7f, v5
                                        ; implicit-def: $vgpr25
; %bb.1813:                             ;   in Loop: Header=BB4_1642 Depth=4
	s_and_not1_saveexec_b32 s73, s13
; %bb.1814:                             ;   in Loop: Header=BB4_1642 Depth=4
	v_cmp_lt_i32_e64 s13, -1, v25
	s_delay_alu instid0(VALU_DEP_1)
	v_cndmask_b32_e64 v24, 0xfc, v113, s13
; %bb.1815:                             ;   in Loop: Header=BB4_1642 Depth=4
	s_or_b32 exec_lo, exec_lo, s73
.LBB4_1816:                             ;   in Loop: Header=BB4_1642 Depth=4
	s_delay_alu instid0(SALU_CYCLE_1) | instskip(SKIP_3) | instid1(VALU_DEP_2)
	s_or_b32 exec_lo, exec_lo, s14
	v_lshrrev_b16 v22, 8, v2
	v_mov_b32_e32 v5, 0
	s_mov_b32 s14, exec_lo
	v_cmpx_ne_u16_e32 0, v22
	s_cbranch_execz .LBB4_1826
; %bb.1817:                             ;   in Loop: Header=BB4_1642 Depth=4
	v_bfrev_b32_e32 v5, 1
	s_mov_b32 s73, exec_lo
	v_cmpx_ne_u16_e32 0x80, v22
	s_cbranch_execz .LBB4_1825
; %bb.1818:                             ;   in Loop: Header=BB4_1642 Depth=4
	v_and_b32_e32 v25, 0xffff, v22
	s_delay_alu instid0(VALU_DEP_1) | instskip(SKIP_1) | instid1(VALU_DEP_2)
	v_and_b32_e32 v5, 0x7c, v25
	v_and_b32_e32 v23, 3, v25
	v_cmp_ne_u32_e64 s13, 0x7c, v5
                                        ; implicit-def: $vgpr5
	s_and_saveexec_b32 s74, s13
	s_delay_alu instid0(SALU_CYCLE_1)
	s_xor_b32 s74, exec_lo, s74
	s_cbranch_execz .LBB4_1822
; %bb.1819:                             ;   in Loop: Header=BB4_1642 Depth=4
	v_bfe_u32 v5, v25, 2, 5
	s_mov_b32 s75, exec_lo
	s_delay_alu instid0(VALU_DEP_1)
	v_cmpx_eq_u32_e32 0, v5
	s_cbranch_execz .LBB4_1821
; %bb.1820:                             ;   in Loop: Header=BB4_1642 Depth=4
	v_clz_i32_u32_e32 v5, v23
	s_delay_alu instid0(VALU_DEP_1) | instskip(SKIP_1) | instid1(VALU_DEP_2)
	v_min_u32_e32 v5, 32, v5
	v_mov_b32_e32 v23, v3
	v_subrev_nc_u32_e32 v25, 29, v5
	v_sub_nc_u32_e32 v5, 30, v5
	s_delay_alu instid0(VALU_DEP_2) | instskip(NEXT) | instid1(VALU_DEP_1)
	v_lshlrev_b64_e32 v[22:23], v25, v[22:23]
	v_and_b32_e32 v23, 3, v22
.LBB4_1821:                             ;   in Loop: Header=BB4_1642 Depth=4
	s_or_b32 exec_lo, exec_lo, s75
	v_lshlrev_b32_e32 v2, 16, v2
	s_delay_alu instid0(VALU_DEP_1) | instskip(NEXT) | instid1(VALU_DEP_1)
	v_and_b32_e32 v2, 0x80000000, v2
	v_lshl_add_u32 v2, v5, 23, v2
	s_delay_alu instid0(VALU_DEP_1) | instskip(NEXT) | instid1(VALU_DEP_1)
	v_lshl_or_b32 v2, v23, 21, v2
                                        ; implicit-def: $vgpr23
	v_add_nc_u32_e32 v5, 0x38000000, v2
.LBB4_1822:                             ;   in Loop: Header=BB4_1642 Depth=4
	s_and_not1_saveexec_b32 s74, s74
; %bb.1823:                             ;   in Loop: Header=BB4_1642 Depth=4
	v_cmp_lt_i16_e64 s13, -1, v2
	s_delay_alu instid0(VALU_DEP_1) | instskip(SKIP_1) | instid1(VALU_DEP_1)
	v_cndmask_b32_e64 v2, 0xff800000, v112, s13
	v_cmp_eq_u32_e64 s13, 0, v23
	v_cndmask_b32_e64 v5, 0x7f800001, v2, s13
; %bb.1824:                             ;   in Loop: Header=BB4_1642 Depth=4
	s_or_b32 exec_lo, exec_lo, s74
.LBB4_1825:                             ;   in Loop: Header=BB4_1642 Depth=4
	s_delay_alu instid0(SALU_CYCLE_1)
	s_or_b32 exec_lo, exec_lo, s73
.LBB4_1826:                             ;   in Loop: Header=BB4_1642 Depth=4
	s_delay_alu instid0(SALU_CYCLE_1) | instskip(SKIP_3) | instid1(VALU_DEP_1)
	s_or_b32 exec_lo, exec_lo, s14
	v_lshrrev_b16 v2, 8, v4
	s_mov_b32 s73, 0
	s_mov_b32 s14, exec_lo
	v_cmpx_lt_i16_e32 0x7f, v2
	s_xor_b32 s14, exec_lo, s14
	s_cbranch_execz .LBB4_2201
; %bb.1827:                             ;   in Loop: Header=BB4_1642 Depth=4
	s_mov_b32 s73, -1
	s_mov_b32 s74, exec_lo
	v_cmpx_eq_u16_e32 0x80, v2
; %bb.1828:                             ;   in Loop: Header=BB4_1642 Depth=4
	s_xor_b32 s73, exec_lo, -1
; %bb.1829:                             ;   in Loop: Header=BB4_1642 Depth=4
	s_or_b32 exec_lo, exec_lo, s74
	s_delay_alu instid0(SALU_CYCLE_1)
	s_and_b32 s73, s73, exec_lo
	s_or_saveexec_b32 s14, s14
	v_bfrev_b32_e32 v22, 1
	s_xor_b32 exec_lo, exec_lo, s14
	s_cbranch_execnz .LBB4_2202
.LBB4_1830:                             ;   in Loop: Header=BB4_1642 Depth=4
	s_or_b32 exec_lo, exec_lo, s14
	s_and_saveexec_b32 s14, s73
	s_cbranch_execz .LBB4_1832
.LBB4_1831:                             ;   in Loop: Header=BB4_1642 Depth=4
	v_and_b32_e32 v25, 0xffff, v2
	s_delay_alu instid0(VALU_DEP_1) | instskip(NEXT) | instid1(VALU_DEP_1)
	v_and_b32_e32 v100, 3, v25
	v_clz_i32_u32_e32 v22, v100
	s_delay_alu instid0(VALU_DEP_1) | instskip(NEXT) | instid1(VALU_DEP_1)
	v_min_u32_e32 v101, 32, v22
	v_subrev_nc_u32_e32 v22, 29, v101
	s_delay_alu instid0(VALU_DEP_1) | instskip(SKIP_2) | instid1(VALU_DEP_2)
	v_lshlrev_b64_e32 v[22:23], v22, v[2:3]
	v_bfe_u32 v23, v25, 2, 5
	v_dual_lshlrev_b32 v2, 24, v2 :: v_dual_sub_nc_u32 v101, 30, v101
	v_cmp_eq_u32_e64 s13, 0, v23
	s_delay_alu instid0(VALU_DEP_2) | instskip(NEXT) | instid1(VALU_DEP_2)
	v_and_b32_e32 v2, 0x80000000, v2
	v_dual_cndmask_b32 v23, v23, v101, s13 :: v_dual_bitop2_b32 v22, 3, v22 bitop3:0x40
	s_delay_alu instid0(VALU_DEP_1) | instskip(SKIP_1) | instid1(VALU_DEP_3)
	v_cndmask_b32_e64 v22, v100, v22, s13
	v_cmp_lt_i16_e64 s13, -1, v4
	v_lshl_add_u32 v2, v23, 23, v2
	s_delay_alu instid0(VALU_DEP_2) | instskip(SKIP_1) | instid1(VALU_DEP_3)
	v_cndmask_b32_e64 v4, 0xff800000, v112, s13
	v_cmp_eq_u32_e64 s13, 0, v100
	v_lshl_or_b32 v2, v22, 21, v2
	v_and_b32_e32 v22, 0x7c, v25
	s_delay_alu instid0(VALU_DEP_3) | instskip(NEXT) | instid1(VALU_DEP_3)
	v_cndmask_b32_e64 v4, 0x7f800001, v4, s13
	v_add_nc_u32_e32 v2, 0x38000000, v2
	s_delay_alu instid0(VALU_DEP_3) | instskip(NEXT) | instid1(VALU_DEP_1)
	v_cmp_eq_u32_e64 s13, 0x7c, v22
	v_cndmask_b32_e64 v22, v2, v4, s13
.LBB4_1832:                             ;   in Loop: Header=BB4_1642 Depth=4
	s_or_b32 exec_lo, exec_lo, s14
	s_delay_alu instid0(VALU_DEP_1) | instskip(SKIP_1) | instid1(VALU_DEP_1)
	v_dual_mul_f32 v4, v5, v22 :: v_dual_mov_b32 v23, v3
                                        ; implicit-def: $vgpr25
	s_mov_b32 s14, exec_lo
	v_and_b32_e32 v22, 0x7f800000, v4
	v_and_b32_e32 v2, 0x7fffff, v4
	v_lshrrev_b32_e32 v5, 24, v4
	s_delay_alu instid0(VALU_DEP_3)
	v_cmpx_ne_u64_e32 0x7f800000, v[22:23]
	s_xor_b32 s73, exec_lo, s14
	s_cbranch_execz .LBB4_1846
; %bb.1833:                             ;   in Loop: Header=BB4_1642 Depth=4
	v_and_b32_e32 v22, 0x7fffffff, v4
	v_mov_b32_e32 v23, v3
	v_and_b32_e32 v100, 0x80, v5
                                        ; implicit-def: $vgpr25
	s_mov_b32 s14, exec_lo
	s_delay_alu instid0(VALU_DEP_2)
	v_cmpx_gt_u64_e32 0x47600001, v[22:23]
	s_xor_b32 s74, exec_lo, s14
	s_cbranch_execz .LBB4_1843
; %bb.1834:                             ;   in Loop: Header=BB4_1642 Depth=4
	v_mov_b32_e32 v25, 0
	s_mov_b32 s75, exec_lo
	v_cmpx_ne_u32_e32 0, v4
	s_cbranch_execz .LBB4_1842
; %bb.1835:                             ;   in Loop: Header=BB4_1642 Depth=4
	v_bfe_u32 v25, v4, 23, 8
	v_or_b32_e32 v22, 0x800000, v2
	s_delay_alu instid0(VALU_DEP_2) | instskip(SKIP_1) | instid1(VALU_DEP_1)
	v_sub_nc_u32_e32 v4, 0x71, v25
	v_cmp_gt_u32_e64 s13, 0x72, v25
	v_cndmask_b32_e64 v4, 0, v4, s13
	v_cmp_eq_u32_e64 s13, 0, v25
	s_delay_alu instid0(VALU_DEP_1) | instskip(NEXT) | instid1(VALU_DEP_1)
	v_cndmask_b32_e64 v101, v4, 0x70, s13
	v_dual_cndmask_b32 v2, v22, v2, s13 :: v_dual_add_nc_u32 v4, 21, v101
	v_add_nc_u32_e32 v23, 20, v101
	s_delay_alu instid0(VALU_DEP_2) | instskip(NEXT) | instid1(VALU_DEP_2)
	v_lshlrev_b64_e64 v[4:5], v4, -1
	v_lshlrev_b64_e64 v[22:23], v23, 1
	s_delay_alu instid0(VALU_DEP_2) | instskip(NEXT) | instid1(VALU_DEP_3)
	v_bfi_b32 v103, v5, 0, 0
	v_bfi_b32 v102, v4, 0, v2
	v_lshrrev_b64 v[4:5], v101, v[2:3]
	s_delay_alu instid0(VALU_DEP_2) | instskip(NEXT) | instid1(VALU_DEP_2)
	v_cmp_eq_u64_e64 s14, v[102:103], v[22:23]
	v_mov_b64_e32 v[22:23], v[4:5]
	s_and_saveexec_b32 s76, s14
; %bb.1836:                             ;   in Loop: Header=BB4_1642 Depth=4
	v_bfe_u32 v2, v4, 21, 1
	s_delay_alu instid0(VALU_DEP_1) | instskip(NEXT) | instid1(VALU_DEP_1)
	v_add_nc_u64_e32 v[22:23], v[4:5], v[2:3]
	v_add_nc_u64_e32 v[22:23], -1, v[22:23]
; %bb.1837:                             ;   in Loop: Header=BB4_1642 Depth=4
	s_or_b32 exec_lo, exec_lo, s76
	v_add_nc_u32_e32 v2, 0xffffff81, v25
	v_lshrrev_b32_e32 v5, 23, v4
	s_mov_b32 s14, exec_lo
	s_delay_alu instid0(VALU_DEP_2) | instskip(NEXT) | instid1(VALU_DEP_1)
	v_cndmask_b32_e64 v2, v2, 0xffffff82, s13
	v_add3_u32 v23, v101, v2, v5
	v_and_b32_e32 v2, 0x1fffff, v22
                                        ; implicit-def: $vgpr22
	s_delay_alu instid0(VALU_DEP_1) | instskip(NEXT) | instid1(VALU_DEP_1)
	v_dual_add_nc_u32 v25, 14, v23 :: v_dual_add_nc_u32 v2, v2, v4
                                        ; implicit-def: $vgpr4_vgpr5
	v_cmpx_ne_u32_e32 0, v25
	s_xor_b32 s14, exec_lo, s14
; %bb.1838:                             ;   in Loop: Header=BB4_1642 Depth=4
	s_delay_alu instid0(VALU_DEP_2) | instskip(SKIP_1) | instid1(VALU_DEP_1)
	v_cmp_lt_u64_e64 s13, 0xffffff, v[2:3]
	v_add_nc_u32_e32 v4, 15, v23
	v_cndmask_b32_e64 v22, v25, v4, s13
	v_cndmask_b32_e64 v4, 0, 1, s13
	s_delay_alu instid0(VALU_DEP_1)
	v_lshrrev_b64 v[4:5], v4, v[2:3]
; %bb.1839:                             ;   in Loop: Header=BB4_1642 Depth=4
	s_and_not1_saveexec_b32 s13, s14
; %bb.1840:                             ;   in Loop: Header=BB4_1642 Depth=4
	v_mov_b64_e32 v[4:5], v[2:3]
	v_bfe_u32 v22, v2, 23, 1
; %bb.1841:                             ;   in Loop: Header=BB4_1642 Depth=4
	s_or_b32 exec_lo, exec_lo, s13
	s_delay_alu instid0(VALU_DEP_2) | instskip(NEXT) | instid1(VALU_DEP_2)
	v_lshrrev_b64 v[4:5], 21, v[4:5]
	v_cmp_gt_i32_e64 s13, 32, v22
	v_min_i32_e32 v2, 31, v22
	v_cmp_eq_u32_e64 s14, 0, v22
	s_delay_alu instid0(VALU_DEP_2) | instskip(SKIP_1) | instid1(VALU_DEP_2)
	v_dual_cndmask_b32 v5, 0, v5, s13 :: v_dual_lshlrev_b32 v2, 2, v2
	v_cndmask_b32_e64 v4, 3, v4, s13
	v_and_b32_e32 v2, 0xfc, v2
	s_delay_alu instid0(VALU_DEP_2) | instskip(NEXT) | instid1(VALU_DEP_2)
	v_cmp_eq_u64_e64 s13, 0, v[4:5]
	v_and_or_b32 v2, v4, 3, v2
	s_and_b32 s13, s14, s13
	s_delay_alu instid0(VALU_DEP_1) | instid1(SALU_CYCLE_1)
	v_cndmask_b32_e64 v2, v2, 0, s13
	s_delay_alu instid0(VALU_DEP_1)
	v_or_b32_e32 v25, v2, v100
.LBB4_1842:                             ;   in Loop: Header=BB4_1642 Depth=4
	s_or_b32 exec_lo, exec_lo, s75
                                        ; implicit-def: $vgpr100
.LBB4_1843:                             ;   in Loop: Header=BB4_1642 Depth=4
	s_and_not1_saveexec_b32 s13, s74
; %bb.1844:                             ;   in Loop: Header=BB4_1642 Depth=4
	v_or_b32_e32 v25, 0x7b, v100
; %bb.1845:                             ;   in Loop: Header=BB4_1642 Depth=4
	s_or_b32 exec_lo, exec_lo, s13
                                        ; implicit-def: $vgpr4
                                        ; implicit-def: $vgpr5
.LBB4_1846:                             ;   in Loop: Header=BB4_1642 Depth=4
	s_and_not1_saveexec_b32 s14, s73
	s_cbranch_execz .LBB4_1852
; %bb.1847:                             ;   in Loop: Header=BB4_1642 Depth=4
	v_cmp_ne_u64_e64 s13, 0, v[2:3]
                                        ; implicit-def: $vgpr25
	s_and_saveexec_b32 s73, s13
	s_delay_alu instid0(SALU_CYCLE_1)
	s_xor_b32 s13, exec_lo, s73
; %bb.1848:                             ;   in Loop: Header=BB4_1642 Depth=4
	v_or_b32_e32 v25, 0x7f, v5
                                        ; implicit-def: $vgpr4
; %bb.1849:                             ;   in Loop: Header=BB4_1642 Depth=4
	s_and_not1_saveexec_b32 s73, s13
; %bb.1850:                             ;   in Loop: Header=BB4_1642 Depth=4
	v_cmp_lt_i32_e64 s13, -1, v4
	s_delay_alu instid0(VALU_DEP_1)
	v_cndmask_b32_e64 v25, 0xfc, v113, s13
; %bb.1851:                             ;   in Loop: Header=BB4_1642 Depth=4
	s_or_b32 exec_lo, exec_lo, s73
.LBB4_1852:                             ;   in Loop: Header=BB4_1642 Depth=4
	s_delay_alu instid0(SALU_CYCLE_1) | instskip(SKIP_2) | instid1(VALU_DEP_1)
	s_or_b32 exec_lo, exec_lo, s14
	v_dual_lshrrev_b32 v2, 16, v13 :: v_dual_mov_b32 v4, 0
	s_mov_b32 s14, exec_lo
	v_and_b32_e32 v5, 0xff, v2
	s_delay_alu instid0(VALU_DEP_1)
	v_cmpx_ne_u16_e32 0, v5
	s_cbranch_execz .LBB4_1862
; %bb.1853:                             ;   in Loop: Header=BB4_1642 Depth=4
	v_bfrev_b32_e32 v4, 1
	s_mov_b32 s73, exec_lo
	v_cmpx_ne_u16_e32 0x80, v5
	s_cbranch_execz .LBB4_1861
; %bb.1854:                             ;   in Loop: Header=BB4_1642 Depth=4
	v_and_b32_e32 v4, 0x7c0000, v13
	v_bfe_u32 v5, v13, 16, 2
	s_delay_alu instid0(VALU_DEP_2) | instskip(SKIP_1) | instid1(SALU_CYCLE_1)
	v_cmp_ne_u32_e64 s13, 0x7c0000, v4
                                        ; implicit-def: $vgpr4
	s_and_saveexec_b32 s74, s13
	s_xor_b32 s74, exec_lo, s74
	s_cbranch_execz .LBB4_1858
; %bb.1855:                             ;   in Loop: Header=BB4_1642 Depth=4
	v_bfe_u32 v4, v13, 18, 5
	s_mov_b32 s75, exec_lo
	s_delay_alu instid0(VALU_DEP_1)
	v_cmpx_eq_u32_e32 0, v4
; %bb.1856:                             ;   in Loop: Header=BB4_1642 Depth=4
	v_clz_i32_u32_e32 v4, v5
	s_delay_alu instid0(VALU_DEP_1) | instskip(NEXT) | instid1(VALU_DEP_1)
	v_min_u32_e32 v4, 32, v4
	v_subrev_nc_u32_e32 v5, 29, v4
	s_delay_alu instid0(VALU_DEP_1) | instskip(NEXT) | instid1(VALU_DEP_1)
	v_lshlrev_b64_e32 v[22:23], v5, v[2:3]
	v_dual_sub_nc_u32 v4, 30, v4 :: v_dual_bitop2_b32 v5, 3, v22 bitop3:0x40
; %bb.1857:                             ;   in Loop: Header=BB4_1642 Depth=4
	s_or_b32 exec_lo, exec_lo, s75
	v_lshlrev_b32_e32 v2, 24, v2
	s_delay_alu instid0(VALU_DEP_1) | instskip(NEXT) | instid1(VALU_DEP_1)
	v_and_b32_e32 v2, 0x80000000, v2
	v_lshl_add_u32 v2, v4, 23, v2
	s_delay_alu instid0(VALU_DEP_1) | instskip(NEXT) | instid1(VALU_DEP_1)
	v_lshl_or_b32 v2, v5, 21, v2
                                        ; implicit-def: $vgpr5
	v_add_nc_u32_e32 v4, 0x38000000, v2
                                        ; implicit-def: $vgpr2
.LBB4_1858:                             ;   in Loop: Header=BB4_1642 Depth=4
	s_and_not1_saveexec_b32 s74, s74
; %bb.1859:                             ;   in Loop: Header=BB4_1642 Depth=4
	v_bfe_i32 v2, v2, 0, 8
	s_delay_alu instid0(VALU_DEP_1) | instskip(NEXT) | instid1(VALU_DEP_1)
	v_cmp_lt_i16_e64 s13, -1, v2
	v_cndmask_b32_e64 v2, 0xff800000, v112, s13
	v_cmp_eq_u32_e64 s13, 0, v5
	s_delay_alu instid0(VALU_DEP_1)
	v_cndmask_b32_e64 v4, 0x7f800001, v2, s13
; %bb.1860:                             ;   in Loop: Header=BB4_1642 Depth=4
	s_or_b32 exec_lo, exec_lo, s74
.LBB4_1861:                             ;   in Loop: Header=BB4_1642 Depth=4
	s_delay_alu instid0(SALU_CYCLE_1)
	s_or_b32 exec_lo, exec_lo, s73
.LBB4_1862:                             ;   in Loop: Header=BB4_1642 Depth=4
	s_delay_alu instid0(SALU_CYCLE_1) | instskip(SKIP_3) | instid1(VALU_DEP_1)
	s_or_b32 exec_lo, exec_lo, s14
	v_lshrrev_b32_e32 v2, 16, v9
	s_mov_b32 s73, 0
	s_mov_b32 s14, exec_lo
	v_and_b32_e32 v22, 0xff, v2
	s_delay_alu instid0(VALU_DEP_1)
	v_cmpx_lt_i16_e32 0x7f, v22
	s_xor_b32 s14, exec_lo, s14
	s_cbranch_execz .LBB4_2203
; %bb.1863:                             ;   in Loop: Header=BB4_1642 Depth=4
	s_mov_b32 s73, -1
	s_mov_b32 s74, exec_lo
	v_cmpx_eq_u16_e32 0x80, v22
; %bb.1864:                             ;   in Loop: Header=BB4_1642 Depth=4
	s_xor_b32 s73, exec_lo, -1
; %bb.1865:                             ;   in Loop: Header=BB4_1642 Depth=4
	s_or_b32 exec_lo, exec_lo, s74
	s_delay_alu instid0(SALU_CYCLE_1)
	s_and_b32 s73, s73, exec_lo
                                        ; implicit-def: $vgpr22
	s_or_saveexec_b32 s14, s14
	v_bfrev_b32_e32 v5, 1
	s_xor_b32 exec_lo, exec_lo, s14
	s_cbranch_execnz .LBB4_2204
.LBB4_1866:                             ;   in Loop: Header=BB4_1642 Depth=4
	s_or_b32 exec_lo, exec_lo, s14
	s_and_saveexec_b32 s14, s73
	s_cbranch_execz .LBB4_1868
.LBB4_1867:                             ;   in Loop: Header=BB4_1642 Depth=4
	v_and_b32_e32 v5, 3, v2
	v_bfe_u32 v101, v9, 18, 5
	s_delay_alu instid0(VALU_DEP_2) | instskip(NEXT) | instid1(VALU_DEP_2)
	v_clz_i32_u32_e32 v22, v5
	v_cmp_eq_u32_e64 s13, 0, v101
	s_delay_alu instid0(VALU_DEP_2) | instskip(NEXT) | instid1(VALU_DEP_1)
	v_min_u32_e32 v100, 32, v22
	v_subrev_nc_u32_e32 v22, 29, v100
	s_delay_alu instid0(VALU_DEP_1) | instskip(SKIP_2) | instid1(VALU_DEP_2)
	v_lshlrev_b64_e32 v[22:23], v22, v[2:3]
	v_dual_lshlrev_b32 v23, 24, v2 :: v_dual_sub_nc_u32 v100, 30, v100
	v_bfe_i32 v2, v2, 0, 8
	v_and_b32_e32 v23, 0x80000000, v23
	s_delay_alu instid0(VALU_DEP_3) | instskip(NEXT) | instid1(VALU_DEP_1)
	v_dual_cndmask_b32 v100, v101, v100, s13 :: v_dual_bitop2_b32 v22, 3, v22 bitop3:0x40
	v_cndmask_b32_e64 v22, v5, v22, s13
	s_delay_alu instid0(VALU_DEP_2) | instskip(SKIP_1) | instid1(VALU_DEP_2)
	v_lshl_add_u32 v23, v100, 23, v23
	v_cmp_lt_i16_e64 s13, -1, v2
	v_lshl_or_b32 v22, v22, 21, v23
	s_delay_alu instid0(VALU_DEP_2) | instskip(SKIP_2) | instid1(VALU_DEP_4)
	v_cndmask_b32_e64 v2, 0xff800000, v112, s13
	v_and_b32_e32 v23, 0x7c0000, v9
	v_cmp_eq_u32_e64 s13, 0, v5
	v_add_nc_u32_e32 v5, 0x38000000, v22
	s_delay_alu instid0(VALU_DEP_2) | instskip(NEXT) | instid1(VALU_DEP_4)
	v_cndmask_b32_e64 v2, 0x7f800001, v2, s13
	v_cmp_eq_u32_e64 s13, 0x7c0000, v23
	s_delay_alu instid0(VALU_DEP_1)
	v_cndmask_b32_e64 v5, v5, v2, s13
.LBB4_1868:                             ;   in Loop: Header=BB4_1642 Depth=4
	s_or_b32 exec_lo, exec_lo, s14
	s_delay_alu instid0(VALU_DEP_1) | instskip(NEXT) | instid1(VALU_DEP_1)
	v_dual_mul_f32 v4, v4, v5 :: v_dual_mov_b32 v23, v3
	v_and_b32_e32 v22, 0x7f800000, v4
	v_and_b32_e32 v2, 0x7fffff, v4
	v_lshrrev_b32_e32 v5, 24, v4
	s_delay_alu instid0(VALU_DEP_3) | instskip(SKIP_1) | instid1(SALU_CYCLE_1)
	v_cmp_ne_u64_e64 s13, 0x7f800000, v[22:23]
                                        ; implicit-def: $vgpr22
	s_and_saveexec_b32 s14, s13
	s_xor_b32 s73, exec_lo, s14
	s_cbranch_execz .LBB4_1882
; %bb.1869:                             ;   in Loop: Header=BB4_1642 Depth=4
	v_and_b32_e32 v22, 0x7fffffff, v4
	v_mov_b32_e32 v23, v3
	v_and_b32_e32 v100, 0x80, v5
	s_delay_alu instid0(VALU_DEP_2) | instskip(SKIP_1) | instid1(SALU_CYCLE_1)
	v_cmp_gt_u64_e64 s13, 0x47600001, v[22:23]
                                        ; implicit-def: $vgpr22
	s_and_saveexec_b32 s14, s13
	s_xor_b32 s74, exec_lo, s14
	s_cbranch_execz .LBB4_1879
; %bb.1870:                             ;   in Loop: Header=BB4_1642 Depth=4
	v_mov_b32_e32 v22, 0
	s_mov_b32 s75, exec_lo
	v_cmpx_ne_u32_e32 0, v4
	s_cbranch_execz .LBB4_1878
; %bb.1871:                             ;   in Loop: Header=BB4_1642 Depth=4
	v_bfe_u32 v101, v4, 23, 8
	v_or_b32_e32 v22, 0x800000, v2
	s_delay_alu instid0(VALU_DEP_2) | instskip(SKIP_1) | instid1(VALU_DEP_1)
	v_sub_nc_u32_e32 v4, 0x71, v101
	v_cmp_gt_u32_e64 s13, 0x72, v101
	v_cndmask_b32_e64 v4, 0, v4, s13
	v_cmp_eq_u32_e64 s13, 0, v101
	s_delay_alu instid0(VALU_DEP_1) | instskip(SKIP_1) | instid1(VALU_DEP_2)
	v_cndmask_b32_e64 v102, v4, 0x70, s13
	v_cndmask_b32_e64 v2, v22, v2, s13
	v_dual_add_nc_u32 v4, 21, v102 :: v_dual_add_nc_u32 v23, 20, v102
	s_delay_alu instid0(VALU_DEP_1) | instskip(NEXT) | instid1(VALU_DEP_2)
	v_lshlrev_b64_e64 v[4:5], v4, -1
	v_lshlrev_b64_e64 v[22:23], v23, 1
	s_delay_alu instid0(VALU_DEP_2) | instskip(NEXT) | instid1(VALU_DEP_3)
	v_bfi_b32 v117, v5, 0, 0
	v_bfi_b32 v116, v4, 0, v2
	v_lshrrev_b64 v[4:5], v102, v[2:3]
	s_delay_alu instid0(VALU_DEP_2) | instskip(NEXT) | instid1(VALU_DEP_2)
	v_cmp_eq_u64_e64 s14, v[116:117], v[22:23]
	v_mov_b64_e32 v[22:23], v[4:5]
	s_and_saveexec_b32 s76, s14
; %bb.1872:                             ;   in Loop: Header=BB4_1642 Depth=4
	v_bfe_u32 v2, v4, 21, 1
	s_delay_alu instid0(VALU_DEP_1) | instskip(NEXT) | instid1(VALU_DEP_1)
	v_add_nc_u64_e32 v[22:23], v[4:5], v[2:3]
	v_add_nc_u64_e32 v[22:23], -1, v[22:23]
; %bb.1873:                             ;   in Loop: Header=BB4_1642 Depth=4
	s_or_b32 exec_lo, exec_lo, s76
	v_add_nc_u32_e32 v2, 0xffffff81, v101
	v_lshrrev_b32_e32 v5, 23, v4
	s_mov_b32 s14, exec_lo
	s_delay_alu instid0(VALU_DEP_2) | instskip(NEXT) | instid1(VALU_DEP_1)
	v_cndmask_b32_e64 v2, v2, 0xffffff82, s13
	v_add3_u32 v23, v102, v2, v5
	v_and_b32_e32 v2, 0x1fffff, v22
                                        ; implicit-def: $vgpr22
	s_delay_alu instid0(VALU_DEP_1) | instskip(NEXT) | instid1(VALU_DEP_1)
	v_dual_add_nc_u32 v101, 14, v23 :: v_dual_add_nc_u32 v2, v2, v4
                                        ; implicit-def: $vgpr4_vgpr5
	v_cmpx_ne_u32_e32 0, v101
	s_xor_b32 s14, exec_lo, s14
; %bb.1874:                             ;   in Loop: Header=BB4_1642 Depth=4
	s_delay_alu instid0(VALU_DEP_2) | instskip(SKIP_1) | instid1(VALU_DEP_1)
	v_cmp_lt_u64_e64 s13, 0xffffff, v[2:3]
	v_add_nc_u32_e32 v4, 15, v23
	v_cndmask_b32_e64 v22, v101, v4, s13
	v_cndmask_b32_e64 v4, 0, 1, s13
	s_delay_alu instid0(VALU_DEP_1)
	v_lshrrev_b64 v[4:5], v4, v[2:3]
; %bb.1875:                             ;   in Loop: Header=BB4_1642 Depth=4
	s_and_not1_saveexec_b32 s13, s14
; %bb.1876:                             ;   in Loop: Header=BB4_1642 Depth=4
	v_mov_b64_e32 v[4:5], v[2:3]
	v_bfe_u32 v22, v2, 23, 1
; %bb.1877:                             ;   in Loop: Header=BB4_1642 Depth=4
	s_or_b32 exec_lo, exec_lo, s13
	s_delay_alu instid0(VALU_DEP_2) | instskip(NEXT) | instid1(VALU_DEP_2)
	v_lshrrev_b64 v[4:5], 21, v[4:5]
	v_cmp_gt_i32_e64 s13, 32, v22
	v_min_i32_e32 v2, 31, v22
	v_cmp_eq_u32_e64 s14, 0, v22
	s_delay_alu instid0(VALU_DEP_2) | instskip(SKIP_1) | instid1(VALU_DEP_2)
	v_dual_cndmask_b32 v5, 0, v5, s13 :: v_dual_lshlrev_b32 v2, 2, v2
	v_cndmask_b32_e64 v4, 3, v4, s13
	v_and_b32_e32 v2, 0xfc, v2
	s_delay_alu instid0(VALU_DEP_2) | instskip(NEXT) | instid1(VALU_DEP_2)
	v_cmp_eq_u64_e64 s13, 0, v[4:5]
	v_and_or_b32 v2, v4, 3, v2
	s_and_b32 s13, s14, s13
	s_delay_alu instid0(VALU_DEP_1) | instid1(SALU_CYCLE_1)
	v_cndmask_b32_e64 v2, v2, 0, s13
	s_delay_alu instid0(VALU_DEP_1)
	v_or_b32_e32 v22, v2, v100
.LBB4_1878:                             ;   in Loop: Header=BB4_1642 Depth=4
	s_or_b32 exec_lo, exec_lo, s75
                                        ; implicit-def: $vgpr100
.LBB4_1879:                             ;   in Loop: Header=BB4_1642 Depth=4
	s_and_not1_saveexec_b32 s13, s74
; %bb.1880:                             ;   in Loop: Header=BB4_1642 Depth=4
	v_or_b32_e32 v22, 0x7b, v100
; %bb.1881:                             ;   in Loop: Header=BB4_1642 Depth=4
	s_or_b32 exec_lo, exec_lo, s13
                                        ; implicit-def: $vgpr4
                                        ; implicit-def: $vgpr5
.LBB4_1882:                             ;   in Loop: Header=BB4_1642 Depth=4
	s_and_not1_saveexec_b32 s14, s73
	s_cbranch_execz .LBB4_1888
; %bb.1883:                             ;   in Loop: Header=BB4_1642 Depth=4
	v_cmp_ne_u64_e64 s13, 0, v[2:3]
                                        ; implicit-def: $vgpr22
	s_and_saveexec_b32 s73, s13
	s_delay_alu instid0(SALU_CYCLE_1)
	s_xor_b32 s13, exec_lo, s73
; %bb.1884:                             ;   in Loop: Header=BB4_1642 Depth=4
	v_or_b32_e32 v22, 0x7f, v5
                                        ; implicit-def: $vgpr4
; %bb.1885:                             ;   in Loop: Header=BB4_1642 Depth=4
	s_and_not1_saveexec_b32 s73, s13
; %bb.1886:                             ;   in Loop: Header=BB4_1642 Depth=4
	v_cmp_lt_i32_e64 s13, -1, v4
	s_delay_alu instid0(VALU_DEP_1)
	v_cndmask_b32_e64 v22, 0xfc, v113, s13
; %bb.1887:                             ;   in Loop: Header=BB4_1642 Depth=4
	s_or_b32 exec_lo, exec_lo, s73
.LBB4_1888:                             ;   in Loop: Header=BB4_1642 Depth=4
	s_delay_alu instid0(SALU_CYCLE_1)
	s_or_b32 exec_lo, exec_lo, s14
	v_mov_b32_e32 v4, 0
	s_mov_b32 s14, exec_lo
	v_cmpx_lt_u64_e64 s[22:23], v[12:13]
	s_cbranch_execz .LBB4_1898
; %bb.1889:                             ;   in Loop: Header=BB4_1642 Depth=4
	v_lshrrev_b32_e32 v2, 24, v13
	v_bfrev_b32_e32 v4, 1
	s_mov_b32 s73, exec_lo
	s_delay_alu instid0(VALU_DEP_2)
	v_cmpx_ne_u32_e32 0x80, v2
	s_cbranch_execz .LBB4_1897
; %bb.1890:                             ;   in Loop: Header=BB4_1642 Depth=4
	v_and_b32_e32 v4, 0x7c000000, v13
	v_bfe_u32 v5, v13, 24, 2
	s_delay_alu instid0(VALU_DEP_2) | instskip(SKIP_1) | instid1(SALU_CYCLE_1)
	v_cmp_ne_u32_e64 s13, 0x7c000000, v4
                                        ; implicit-def: $vgpr4
	s_and_saveexec_b32 s74, s13
	s_xor_b32 s74, exec_lo, s74
	s_cbranch_execz .LBB4_1894
; %bb.1891:                             ;   in Loop: Header=BB4_1642 Depth=4
	v_bfe_u32 v4, v13, 26, 5
	s_mov_b32 s75, exec_lo
	s_delay_alu instid0(VALU_DEP_1)
	v_cmpx_eq_u32_e32 0, v4
; %bb.1892:                             ;   in Loop: Header=BB4_1642 Depth=4
	v_clz_i32_u32_e32 v4, v5
	s_delay_alu instid0(VALU_DEP_1) | instskip(NEXT) | instid1(VALU_DEP_1)
	v_min_u32_e32 v4, 32, v4
	v_subrev_nc_u32_e32 v5, 29, v4
	v_sub_nc_u32_e32 v4, 30, v4
	s_delay_alu instid0(VALU_DEP_2) | instskip(NEXT) | instid1(VALU_DEP_1)
	v_lshlrev_b64_e32 v[100:101], v5, v[2:3]
	v_and_b32_e32 v5, 3, v100
; %bb.1893:                             ;   in Loop: Header=BB4_1642 Depth=4
	s_or_b32 exec_lo, exec_lo, s75
	v_and_b32_e32 v2, 0x80000000, v13
	s_delay_alu instid0(VALU_DEP_1) | instskip(NEXT) | instid1(VALU_DEP_1)
	v_lshl_add_u32 v2, v4, 23, v2
	v_lshl_or_b32 v2, v5, 21, v2
                                        ; implicit-def: $vgpr5
	s_delay_alu instid0(VALU_DEP_1)
	v_add_nc_u32_e32 v4, 0x38000000, v2
.LBB4_1894:                             ;   in Loop: Header=BB4_1642 Depth=4
	s_and_not1_saveexec_b32 s74, s74
; %bb.1895:                             ;   in Loop: Header=BB4_1642 Depth=4
	v_cmp_lt_i64_e64 s13, -1, v[12:13]
	s_delay_alu instid0(VALU_DEP_1) | instskip(SKIP_1) | instid1(VALU_DEP_1)
	v_cndmask_b32_e64 v2, 0xff800000, v112, s13
	v_cmp_eq_u32_e64 s13, 0, v5
	v_cndmask_b32_e64 v4, 0x7f800001, v2, s13
; %bb.1896:                             ;   in Loop: Header=BB4_1642 Depth=4
	s_or_b32 exec_lo, exec_lo, s74
.LBB4_1897:                             ;   in Loop: Header=BB4_1642 Depth=4
	s_delay_alu instid0(SALU_CYCLE_1)
	s_or_b32 exec_lo, exec_lo, s73
.LBB4_1898:                             ;   in Loop: Header=BB4_1642 Depth=4
	s_delay_alu instid0(SALU_CYCLE_1) | instskip(SKIP_3) | instid1(VALU_DEP_2)
	s_or_b32 exec_lo, exec_lo, s14
	v_bfe_u32 v5, v9, 24, 2
	v_bfe_u32 v100, v9, 26, 5
	s_mov_b32 s14, exec_lo
	v_clz_i32_u32_e32 v2, v5
	s_delay_alu instid0(VALU_DEP_2) | instskip(NEXT) | instid1(VALU_DEP_2)
	v_cmp_eq_u32_e64 s13, 0, v100
	v_min_u32_e32 v23, 32, v2
	v_lshrrev_b32_e32 v2, 24, v9
	s_delay_alu instid0(VALU_DEP_2) | instskip(NEXT) | instid1(VALU_DEP_1)
	v_subrev_nc_u32_e32 v12, 29, v23
	v_lshlrev_b64_e32 v[12:13], v12, v[2:3]
	v_sub_nc_u32_e32 v13, 30, v23
	v_and_b32_e32 v23, 0x80000000, v9
	s_delay_alu instid0(VALU_DEP_2) | instskip(NEXT) | instid1(VALU_DEP_1)
	v_dual_cndmask_b32 v13, v100, v13, s13 :: v_dual_bitop2_b32 v12, 3, v12 bitop3:0x40
	v_lshl_add_u32 v13, v13, 23, v23
	s_delay_alu instid0(VALU_DEP_2) | instskip(SKIP_1) | instid1(VALU_DEP_2)
	v_cndmask_b32_e64 v12, v5, v12, s13
	v_cmp_lt_i64_e64 s13, -1, v[8:9]
	v_lshl_or_b32 v12, v12, 21, v13
	v_and_b32_e32 v13, 0x7c000000, v9
	s_delay_alu instid0(VALU_DEP_3) | instskip(SKIP_1) | instid1(VALU_DEP_4)
	v_cndmask_b32_e64 v23, 0xff800000, v112, s13
	v_cmp_eq_u32_e64 s13, 0, v5
	v_add_nc_u32_e32 v12, 0x38000000, v12
	s_delay_alu instid0(VALU_DEP_2) | instskip(SKIP_1) | instid1(VALU_DEP_1)
	v_cndmask_b32_e64 v5, 0x7f800001, v23, s13
	v_cmp_eq_u32_e64 s13, 0x7c000000, v13
                                        ; implicit-def: $vgpr23
	v_cndmask_b32_e64 v5, v12, v5, s13
	v_cmp_ne_u32_e64 s13, 0x80, v2
	s_delay_alu instid0(VALU_DEP_1) | instskip(SKIP_1) | instid1(VALU_DEP_1)
	v_cndmask_b32_e64 v2, 0x80000000, v5, s13
	v_cmp_lt_u64_e64 s13, s[22:23], v[8:9]
	v_dual_mov_b32 v9, v3 :: v_dual_cndmask_b32 v2, 0, v2, s13
	s_delay_alu instid0(VALU_DEP_1) | instskip(NEXT) | instid1(VALU_DEP_1)
	v_mul_f32_e32 v4, v2, v4
	v_and_b32_e32 v8, 0x7f800000, v4
	v_and_b32_e32 v2, 0x7fffff, v4
	v_lshrrev_b32_e32 v5, 24, v4
	s_delay_alu instid0(VALU_DEP_3)
	v_cmpx_ne_u64_e32 0x7f800000, v[8:9]
	s_xor_b32 s73, exec_lo, s14
	s_cbranch_execz .LBB4_1912
; %bb.1899:                             ;   in Loop: Header=BB4_1642 Depth=4
	v_and_b32_e32 v8, 0x7fffffff, v4
	v_mov_b32_e32 v9, v3
	v_and_b32_e32 v12, 0x80, v5
                                        ; implicit-def: $vgpr23
	s_mov_b32 s14, exec_lo
	s_delay_alu instid0(VALU_DEP_2)
	v_cmpx_gt_u64_e32 0x47600001, v[8:9]
	s_xor_b32 s74, exec_lo, s14
	s_cbranch_execz .LBB4_1909
; %bb.1900:                             ;   in Loop: Header=BB4_1642 Depth=4
	v_mov_b32_e32 v23, 0
	s_mov_b32 s75, exec_lo
	v_cmpx_ne_u32_e32 0, v4
	s_cbranch_execz .LBB4_1908
; %bb.1901:                             ;   in Loop: Header=BB4_1642 Depth=4
	v_bfe_u32 v13, v4, 23, 8
	v_or_b32_e32 v8, 0x800000, v2
	s_delay_alu instid0(VALU_DEP_2) | instskip(SKIP_1) | instid1(VALU_DEP_1)
	v_sub_nc_u32_e32 v4, 0x71, v13
	v_cmp_gt_u32_e64 s13, 0x72, v13
	v_cndmask_b32_e64 v4, 0, v4, s13
	v_cmp_eq_u32_e64 s13, 0, v13
	s_delay_alu instid0(VALU_DEP_1) | instskip(NEXT) | instid1(VALU_DEP_1)
	v_cndmask_b32_e64 v23, v4, 0x70, s13
	v_dual_cndmask_b32 v2, v8, v2, s13 :: v_dual_add_nc_u32 v4, 21, v23
	v_add_nc_u32_e32 v9, 20, v23
	s_delay_alu instid0(VALU_DEP_2) | instskip(NEXT) | instid1(VALU_DEP_2)
	v_lshlrev_b64_e64 v[4:5], v4, -1
	v_lshlrev_b64_e64 v[8:9], v9, 1
	s_delay_alu instid0(VALU_DEP_2) | instskip(NEXT) | instid1(VALU_DEP_3)
	v_bfi_b32 v101, v5, 0, 0
	v_bfi_b32 v100, v4, 0, v2
	v_lshrrev_b64 v[4:5], v23, v[2:3]
	s_delay_alu instid0(VALU_DEP_2) | instskip(NEXT) | instid1(VALU_DEP_2)
	v_cmp_eq_u64_e64 s14, v[100:101], v[8:9]
	v_mov_b64_e32 v[8:9], v[4:5]
	s_and_saveexec_b32 s76, s14
; %bb.1902:                             ;   in Loop: Header=BB4_1642 Depth=4
	v_bfe_u32 v2, v4, 21, 1
	s_delay_alu instid0(VALU_DEP_1) | instskip(NEXT) | instid1(VALU_DEP_1)
	v_add_nc_u64_e32 v[8:9], v[4:5], v[2:3]
	v_add_nc_u64_e32 v[8:9], -1, v[8:9]
; %bb.1903:                             ;   in Loop: Header=BB4_1642 Depth=4
	s_or_b32 exec_lo, exec_lo, s76
	v_add_nc_u32_e32 v2, 0xffffff81, v13
	v_lshrrev_b32_e32 v5, 23, v4
	s_mov_b32 s14, exec_lo
	s_delay_alu instid0(VALU_DEP_2) | instskip(NEXT) | instid1(VALU_DEP_1)
	v_cndmask_b32_e64 v2, v2, 0xffffff82, s13
	v_add3_u32 v9, v23, v2, v5
	v_and_b32_e32 v2, 0x1fffff, v8
                                        ; implicit-def: $vgpr8
	s_delay_alu instid0(VALU_DEP_1) | instskip(NEXT) | instid1(VALU_DEP_1)
	v_dual_add_nc_u32 v13, 14, v9 :: v_dual_add_nc_u32 v2, v2, v4
                                        ; implicit-def: $vgpr4_vgpr5
	v_cmpx_ne_u32_e32 0, v13
	s_xor_b32 s14, exec_lo, s14
; %bb.1904:                             ;   in Loop: Header=BB4_1642 Depth=4
	s_delay_alu instid0(VALU_DEP_2) | instskip(SKIP_1) | instid1(VALU_DEP_1)
	v_cmp_lt_u64_e64 s13, 0xffffff, v[2:3]
	v_add_nc_u32_e32 v4, 15, v9
	v_cndmask_b32_e64 v8, v13, v4, s13
	v_cndmask_b32_e64 v4, 0, 1, s13
	s_delay_alu instid0(VALU_DEP_1)
	v_lshrrev_b64 v[4:5], v4, v[2:3]
; %bb.1905:                             ;   in Loop: Header=BB4_1642 Depth=4
	s_and_not1_saveexec_b32 s13, s14
; %bb.1906:                             ;   in Loop: Header=BB4_1642 Depth=4
	v_mov_b64_e32 v[4:5], v[2:3]
	v_bfe_u32 v8, v2, 23, 1
; %bb.1907:                             ;   in Loop: Header=BB4_1642 Depth=4
	s_or_b32 exec_lo, exec_lo, s13
	s_delay_alu instid0(VALU_DEP_2) | instskip(NEXT) | instid1(VALU_DEP_2)
	v_lshrrev_b64 v[4:5], 21, v[4:5]
	v_cmp_gt_i32_e64 s13, 32, v8
	v_min_i32_e32 v2, 31, v8
	v_cmp_eq_u32_e64 s14, 0, v8
	s_delay_alu instid0(VALU_DEP_2) | instskip(SKIP_1) | instid1(VALU_DEP_2)
	v_dual_cndmask_b32 v5, 0, v5, s13 :: v_dual_lshlrev_b32 v2, 2, v2
	v_cndmask_b32_e64 v4, 3, v4, s13
	v_and_b32_e32 v2, 0xfc, v2
	s_delay_alu instid0(VALU_DEP_2) | instskip(NEXT) | instid1(VALU_DEP_2)
	v_cmp_eq_u64_e64 s13, 0, v[4:5]
	v_and_or_b32 v2, v4, 3, v2
	s_and_b32 s13, s14, s13
	s_delay_alu instid0(VALU_DEP_1) | instid1(SALU_CYCLE_1)
	v_cndmask_b32_e64 v2, v2, 0, s13
	s_delay_alu instid0(VALU_DEP_1)
	v_or_b32_e32 v23, v2, v12
.LBB4_1908:                             ;   in Loop: Header=BB4_1642 Depth=4
	s_or_b32 exec_lo, exec_lo, s75
                                        ; implicit-def: $vgpr12
.LBB4_1909:                             ;   in Loop: Header=BB4_1642 Depth=4
	s_and_not1_saveexec_b32 s13, s74
; %bb.1910:                             ;   in Loop: Header=BB4_1642 Depth=4
	v_or_b32_e32 v23, 0x7b, v12
; %bb.1911:                             ;   in Loop: Header=BB4_1642 Depth=4
	s_or_b32 exec_lo, exec_lo, s13
                                        ; implicit-def: $vgpr4
                                        ; implicit-def: $vgpr5
.LBB4_1912:                             ;   in Loop: Header=BB4_1642 Depth=4
	s_and_not1_saveexec_b32 s14, s73
	s_cbranch_execz .LBB4_1918
; %bb.1913:                             ;   in Loop: Header=BB4_1642 Depth=4
	v_cmp_ne_u64_e64 s13, 0, v[2:3]
                                        ; implicit-def: $vgpr23
	s_and_saveexec_b32 s73, s13
	s_delay_alu instid0(SALU_CYCLE_1)
	s_xor_b32 s13, exec_lo, s73
; %bb.1914:                             ;   in Loop: Header=BB4_1642 Depth=4
	v_or_b32_e32 v23, 0x7f, v5
                                        ; implicit-def: $vgpr4
; %bb.1915:                             ;   in Loop: Header=BB4_1642 Depth=4
	s_and_not1_saveexec_b32 s73, s13
; %bb.1916:                             ;   in Loop: Header=BB4_1642 Depth=4
	v_cmp_lt_i32_e64 s13, -1, v4
	s_delay_alu instid0(VALU_DEP_1)
	v_cndmask_b32_e64 v23, 0xfc, v113, s13
; %bb.1917:                             ;   in Loop: Header=BB4_1642 Depth=4
	s_or_b32 exec_lo, exec_lo, s73
.LBB4_1918:                             ;   in Loop: Header=BB4_1642 Depth=4
	s_delay_alu instid0(SALU_CYCLE_1) | instskip(SKIP_1) | instid1(VALU_DEP_1)
	s_or_b32 exec_lo, exec_lo, s14
	v_and_b32_e32 v2, 0xff, v14
	v_cmp_ne_u16_e64 s13, 0, v2
	v_mov_b32_e32 v2, 0
	s_and_saveexec_b32 s14, s13
	s_cbranch_execz .LBB4_1928
; %bb.1919:                             ;   in Loop: Header=BB4_1642 Depth=4
	v_bfe_i32 v5, v14, 0, 8
	v_bfrev_b32_e32 v2, 1
	s_mov_b32 s73, exec_lo
	s_delay_alu instid0(VALU_DEP_2)
	v_cmpx_ne_u16_e32 0xff80, v5
	s_cbranch_execz .LBB4_1927
; %bb.1920:                             ;   in Loop: Header=BB4_1642 Depth=4
	v_and_b32_e32 v2, 0x7c, v14
	v_and_b32_e32 v4, 3, v14
	s_delay_alu instid0(VALU_DEP_2) | instskip(SKIP_1) | instid1(SALU_CYCLE_1)
	v_cmp_ne_u32_e64 s13, 0x7c, v2
                                        ; implicit-def: $vgpr2
	s_and_saveexec_b32 s74, s13
	s_xor_b32 s74, exec_lo, s74
	s_cbranch_execz .LBB4_1924
; %bb.1921:                             ;   in Loop: Header=BB4_1642 Depth=4
	v_bfe_u32 v2, v14, 2, 5
	s_mov_b32 s75, exec_lo
	s_delay_alu instid0(VALU_DEP_1)
	v_cmpx_eq_u32_e32 0, v2
; %bb.1922:                             ;   in Loop: Header=BB4_1642 Depth=4
	v_clz_i32_u32_e32 v2, v4
	s_delay_alu instid0(VALU_DEP_1) | instskip(NEXT) | instid1(VALU_DEP_1)
	v_min_u32_e32 v2, 32, v2
	v_subrev_nc_u32_e32 v4, 29, v2
	s_delay_alu instid0(VALU_DEP_1) | instskip(NEXT) | instid1(VALU_DEP_1)
	v_lshlrev_b64_e32 v[4:5], v4, v[14:15]
	v_dual_sub_nc_u32 v2, 30, v2 :: v_dual_bitop2_b32 v4, 3, v4 bitop3:0x40
; %bb.1923:                             ;   in Loop: Header=BB4_1642 Depth=4
	s_or_b32 exec_lo, exec_lo, s75
	v_lshlrev_b32_e32 v5, 24, v14
	s_delay_alu instid0(VALU_DEP_1) | instskip(NEXT) | instid1(VALU_DEP_1)
	v_and_b32_e32 v5, 0x80000000, v5
	v_lshl_add_u32 v2, v2, 23, v5
                                        ; implicit-def: $vgpr5
	s_delay_alu instid0(VALU_DEP_1) | instskip(NEXT) | instid1(VALU_DEP_1)
	v_lshl_or_b32 v2, v4, 21, v2
                                        ; implicit-def: $vgpr4
	v_add_nc_u32_e32 v2, 0x38000000, v2
.LBB4_1924:                             ;   in Loop: Header=BB4_1642 Depth=4
	s_and_not1_saveexec_b32 s74, s74
; %bb.1925:                             ;   in Loop: Header=BB4_1642 Depth=4
	v_cmp_lt_i16_e64 s13, -1, v5
	s_delay_alu instid0(VALU_DEP_1) | instskip(SKIP_1) | instid1(VALU_DEP_1)
	v_cndmask_b32_e64 v2, 0xff800000, v112, s13
	v_cmp_eq_u32_e64 s13, 0, v4
	v_cndmask_b32_e64 v2, 0x7f800001, v2, s13
; %bb.1926:                             ;   in Loop: Header=BB4_1642 Depth=4
	s_or_b32 exec_lo, exec_lo, s74
.LBB4_1927:                             ;   in Loop: Header=BB4_1642 Depth=4
	s_delay_alu instid0(SALU_CYCLE_1)
	s_or_b32 exec_lo, exec_lo, s73
.LBB4_1928:                             ;   in Loop: Header=BB4_1642 Depth=4
	s_delay_alu instid0(SALU_CYCLE_1) | instskip(SKIP_3) | instid1(VALU_DEP_1)
	s_or_b32 exec_lo, exec_lo, s14
	v_and_b32_e32 v5, 0xff, v10
	s_mov_b32 s73, 0
	s_mov_b32 s14, exec_lo
	v_cmpx_lt_i16_e32 0x7f, v5
	s_xor_b32 s14, exec_lo, s14
	s_cbranch_execz .LBB4_2205
; %bb.1929:                             ;   in Loop: Header=BB4_1642 Depth=4
	s_mov_b32 s73, -1
	s_mov_b32 s74, exec_lo
	v_cmpx_eq_u16_e32 0x80, v5
; %bb.1930:                             ;   in Loop: Header=BB4_1642 Depth=4
	s_xor_b32 s73, exec_lo, -1
; %bb.1931:                             ;   in Loop: Header=BB4_1642 Depth=4
	s_or_b32 exec_lo, exec_lo, s74
	s_delay_alu instid0(SALU_CYCLE_1)
	s_and_b32 s73, s73, exec_lo
                                        ; implicit-def: $vgpr5
	s_or_saveexec_b32 s14, s14
	v_bfrev_b32_e32 v4, 1
	s_xor_b32 exec_lo, exec_lo, s14
	s_cbranch_execnz .LBB4_2206
.LBB4_1932:                             ;   in Loop: Header=BB4_1642 Depth=4
	s_or_b32 exec_lo, exec_lo, s14
	s_and_saveexec_b32 s14, s73
	s_cbranch_execz .LBB4_1934
.LBB4_1933:                             ;   in Loop: Header=BB4_1642 Depth=4
	v_and_b32_e32 v8, 3, v10
	v_bfe_u32 v12, v10, 2, 5
	s_delay_alu instid0(VALU_DEP_2) | instskip(NEXT) | instid1(VALU_DEP_2)
	v_clz_i32_u32_e32 v4, v8
	v_cmp_eq_u32_e64 s13, 0, v12
	s_delay_alu instid0(VALU_DEP_2) | instskip(NEXT) | instid1(VALU_DEP_1)
	v_min_u32_e32 v9, 32, v4
	v_subrev_nc_u32_e32 v4, 29, v9
	s_delay_alu instid0(VALU_DEP_1) | instskip(SKIP_1) | instid1(VALU_DEP_1)
	v_lshlrev_b64_e32 v[4:5], v4, v[10:11]
	v_dual_lshlrev_b32 v5, 24, v10 :: v_dual_sub_nc_u32 v9, 30, v9
	v_and_b32_e32 v5, 0x80000000, v5
	s_delay_alu instid0(VALU_DEP_2) | instskip(SKIP_1) | instid1(VALU_DEP_2)
	v_dual_cndmask_b32 v9, v12, v9, s13 :: v_dual_bitop2_b32 v4, 3, v4 bitop3:0x40
	v_bfe_i32 v12, v10, 0, 8
	v_cndmask_b32_e64 v4, v8, v4, s13
	s_delay_alu instid0(VALU_DEP_3) | instskip(NEXT) | instid1(VALU_DEP_3)
	v_lshl_add_u32 v5, v9, 23, v5
	v_cmp_lt_i16_e64 s13, -1, v12
	s_delay_alu instid0(VALU_DEP_2) | instskip(NEXT) | instid1(VALU_DEP_2)
	v_lshl_or_b32 v4, v4, 21, v5
	v_cndmask_b32_e64 v9, 0xff800000, v112, s13
	v_and_b32_e32 v5, 0x7c, v10
	v_cmp_eq_u32_e64 s13, 0, v8
	s_delay_alu instid0(VALU_DEP_4) | instskip(NEXT) | instid1(VALU_DEP_2)
	v_add_nc_u32_e32 v4, 0x38000000, v4
	v_cndmask_b32_e64 v8, 0x7f800001, v9, s13
	s_delay_alu instid0(VALU_DEP_4) | instskip(NEXT) | instid1(VALU_DEP_1)
	v_cmp_eq_u32_e64 s13, 0x7c, v5
	v_cndmask_b32_e64 v4, v4, v8, s13
.LBB4_1934:                             ;   in Loop: Header=BB4_1642 Depth=4
	s_or_b32 exec_lo, exec_lo, s14
	s_delay_alu instid0(VALU_DEP_1) | instskip(SKIP_1) | instid1(VALU_DEP_1)
	v_dual_mul_f32 v4, v2, v4 :: v_dual_mov_b32 v9, v3
                                        ; implicit-def: $vgpr100
	s_mov_b32 s14, exec_lo
	v_and_b32_e32 v8, 0x7f800000, v4
	v_and_b32_e32 v2, 0x7fffff, v4
	v_lshrrev_b32_e32 v5, 24, v4
	s_delay_alu instid0(VALU_DEP_3)
	v_cmpx_ne_u64_e32 0x7f800000, v[8:9]
	s_xor_b32 s73, exec_lo, s14
	s_cbranch_execz .LBB4_1948
; %bb.1935:                             ;   in Loop: Header=BB4_1642 Depth=4
	v_and_b32_e32 v8, 0x7fffffff, v4
	v_mov_b32_e32 v9, v3
	v_and_b32_e32 v12, 0x80, v5
                                        ; implicit-def: $vgpr100
	s_mov_b32 s14, exec_lo
	s_delay_alu instid0(VALU_DEP_2)
	v_cmpx_gt_u64_e32 0x47600001, v[8:9]
	s_xor_b32 s74, exec_lo, s14
	s_cbranch_execz .LBB4_1945
; %bb.1936:                             ;   in Loop: Header=BB4_1642 Depth=4
	v_mov_b32_e32 v100, 0
	s_mov_b32 s75, exec_lo
	v_cmpx_ne_u32_e32 0, v4
	s_cbranch_execz .LBB4_1944
; %bb.1937:                             ;   in Loop: Header=BB4_1642 Depth=4
	v_bfe_u32 v13, v4, 23, 8
	v_or_b32_e32 v8, 0x800000, v2
	s_delay_alu instid0(VALU_DEP_2) | instskip(SKIP_1) | instid1(VALU_DEP_1)
	v_sub_nc_u32_e32 v4, 0x71, v13
	v_cmp_gt_u32_e64 s13, 0x72, v13
	v_cndmask_b32_e64 v4, 0, v4, s13
	v_cmp_eq_u32_e64 s13, 0, v13
	s_delay_alu instid0(VALU_DEP_1) | instskip(NEXT) | instid1(VALU_DEP_3)
	v_cndmask_b32_e64 v2, v8, v2, s13
	v_cndmask_b32_e64 v100, v4, 0x70, s13
	s_delay_alu instid0(VALU_DEP_1) | instskip(NEXT) | instid1(VALU_DEP_1)
	v_dual_add_nc_u32 v4, 21, v100 :: v_dual_add_nc_u32 v9, 20, v100
	v_lshlrev_b64_e64 v[4:5], v4, -1
	s_delay_alu instid0(VALU_DEP_2) | instskip(NEXT) | instid1(VALU_DEP_2)
	v_lshlrev_b64_e64 v[8:9], v9, 1
	v_bfi_b32 v103, v5, 0, 0
	s_delay_alu instid0(VALU_DEP_3) | instskip(SKIP_1) | instid1(VALU_DEP_2)
	v_bfi_b32 v102, v4, 0, v2
	v_lshrrev_b64 v[4:5], v100, v[2:3]
	v_cmp_eq_u64_e64 s14, v[102:103], v[8:9]
	s_delay_alu instid0(VALU_DEP_2)
	v_mov_b64_e32 v[8:9], v[4:5]
	s_and_saveexec_b32 s76, s14
; %bb.1938:                             ;   in Loop: Header=BB4_1642 Depth=4
	v_bfe_u32 v2, v4, 21, 1
	s_delay_alu instid0(VALU_DEP_1) | instskip(NEXT) | instid1(VALU_DEP_1)
	v_add_nc_u64_e32 v[8:9], v[4:5], v[2:3]
	v_add_nc_u64_e32 v[8:9], -1, v[8:9]
; %bb.1939:                             ;   in Loop: Header=BB4_1642 Depth=4
	s_or_b32 exec_lo, exec_lo, s76
	v_add_nc_u32_e32 v2, 0xffffff81, v13
	v_lshrrev_b32_e32 v5, 23, v4
	s_mov_b32 s14, exec_lo
	s_delay_alu instid0(VALU_DEP_2) | instskip(NEXT) | instid1(VALU_DEP_1)
	v_cndmask_b32_e64 v2, v2, 0xffffff82, s13
	v_add3_u32 v9, v100, v2, v5
	v_and_b32_e32 v2, 0x1fffff, v8
                                        ; implicit-def: $vgpr8
	s_delay_alu instid0(VALU_DEP_1) | instskip(NEXT) | instid1(VALU_DEP_1)
	v_dual_add_nc_u32 v13, 14, v9 :: v_dual_add_nc_u32 v2, v2, v4
                                        ; implicit-def: $vgpr4_vgpr5
	v_cmpx_ne_u32_e32 0, v13
	s_xor_b32 s14, exec_lo, s14
; %bb.1940:                             ;   in Loop: Header=BB4_1642 Depth=4
	s_delay_alu instid0(VALU_DEP_2) | instskip(SKIP_1) | instid1(VALU_DEP_1)
	v_cmp_lt_u64_e64 s13, 0xffffff, v[2:3]
	v_add_nc_u32_e32 v4, 15, v9
	v_cndmask_b32_e64 v8, v13, v4, s13
	v_cndmask_b32_e64 v4, 0, 1, s13
	s_delay_alu instid0(VALU_DEP_1)
	v_lshrrev_b64 v[4:5], v4, v[2:3]
; %bb.1941:                             ;   in Loop: Header=BB4_1642 Depth=4
	s_and_not1_saveexec_b32 s13, s14
; %bb.1942:                             ;   in Loop: Header=BB4_1642 Depth=4
	v_mov_b64_e32 v[4:5], v[2:3]
	v_bfe_u32 v8, v2, 23, 1
; %bb.1943:                             ;   in Loop: Header=BB4_1642 Depth=4
	s_or_b32 exec_lo, exec_lo, s13
	s_delay_alu instid0(VALU_DEP_2) | instskip(NEXT) | instid1(VALU_DEP_2)
	v_lshrrev_b64 v[4:5], 21, v[4:5]
	v_cmp_gt_i32_e64 s13, 32, v8
	v_min_i32_e32 v2, 31, v8
	v_cmp_eq_u32_e64 s14, 0, v8
	s_delay_alu instid0(VALU_DEP_2) | instskip(SKIP_1) | instid1(VALU_DEP_2)
	v_dual_cndmask_b32 v5, 0, v5, s13 :: v_dual_lshlrev_b32 v2, 2, v2
	v_cndmask_b32_e64 v4, 3, v4, s13
	v_and_b32_e32 v2, 0xfc, v2
	s_delay_alu instid0(VALU_DEP_2) | instskip(NEXT) | instid1(VALU_DEP_2)
	v_cmp_eq_u64_e64 s13, 0, v[4:5]
	v_and_or_b32 v2, v4, 3, v2
	s_and_b32 s13, s14, s13
	s_delay_alu instid0(VALU_DEP_1) | instid1(SALU_CYCLE_1)
	v_cndmask_b32_e64 v2, v2, 0, s13
	s_delay_alu instid0(VALU_DEP_1)
	v_or_b32_e32 v100, v2, v12
.LBB4_1944:                             ;   in Loop: Header=BB4_1642 Depth=4
	s_or_b32 exec_lo, exec_lo, s75
                                        ; implicit-def: $vgpr12
.LBB4_1945:                             ;   in Loop: Header=BB4_1642 Depth=4
	s_and_not1_saveexec_b32 s13, s74
; %bb.1946:                             ;   in Loop: Header=BB4_1642 Depth=4
	v_or_b32_e32 v100, 0x7b, v12
; %bb.1947:                             ;   in Loop: Header=BB4_1642 Depth=4
	s_or_b32 exec_lo, exec_lo, s13
                                        ; implicit-def: $vgpr4
                                        ; implicit-def: $vgpr5
.LBB4_1948:                             ;   in Loop: Header=BB4_1642 Depth=4
	s_and_not1_saveexec_b32 s14, s73
	s_cbranch_execz .LBB4_1954
; %bb.1949:                             ;   in Loop: Header=BB4_1642 Depth=4
	v_cmp_ne_u64_e64 s13, 0, v[2:3]
                                        ; implicit-def: $vgpr100
	s_and_saveexec_b32 s73, s13
	s_delay_alu instid0(SALU_CYCLE_1)
	s_xor_b32 s13, exec_lo, s73
; %bb.1950:                             ;   in Loop: Header=BB4_1642 Depth=4
	v_or_b32_e32 v100, 0x7f, v5
                                        ; implicit-def: $vgpr4
; %bb.1951:                             ;   in Loop: Header=BB4_1642 Depth=4
	s_and_not1_saveexec_b32 s73, s13
; %bb.1952:                             ;   in Loop: Header=BB4_1642 Depth=4
	v_cmp_lt_i32_e64 s13, -1, v4
	s_delay_alu instid0(VALU_DEP_1)
	v_cndmask_b32_e64 v100, 0xfc, v113, s13
; %bb.1953:                             ;   in Loop: Header=BB4_1642 Depth=4
	s_or_b32 exec_lo, exec_lo, s73
.LBB4_1954:                             ;   in Loop: Header=BB4_1642 Depth=4
	s_delay_alu instid0(SALU_CYCLE_1) | instskip(SKIP_3) | instid1(VALU_DEP_2)
	s_or_b32 exec_lo, exec_lo, s14
	v_lshrrev_b16 v2, 8, v14
	v_mov_b32_e32 v4, 0
	s_mov_b32 s14, exec_lo
	v_cmpx_ne_u16_e32 0, v2
	s_cbranch_execz .LBB4_1964
; %bb.1955:                             ;   in Loop: Header=BB4_1642 Depth=4
	v_bfrev_b32_e32 v4, 1
	s_mov_b32 s73, exec_lo
	v_cmpx_ne_u16_e32 0x80, v2
	s_cbranch_execz .LBB4_1963
; %bb.1956:                             ;   in Loop: Header=BB4_1642 Depth=4
	v_and_b32_e32 v8, 0xffff, v2
	s_delay_alu instid0(VALU_DEP_1) | instskip(SKIP_1) | instid1(VALU_DEP_2)
	v_and_b32_e32 v4, 0x7c, v8
	v_and_b32_e32 v5, 3, v8
	v_cmp_ne_u32_e64 s13, 0x7c, v4
                                        ; implicit-def: $vgpr4
	s_and_saveexec_b32 s74, s13
	s_delay_alu instid0(SALU_CYCLE_1)
	s_xor_b32 s74, exec_lo, s74
	s_cbranch_execz .LBB4_1960
; %bb.1957:                             ;   in Loop: Header=BB4_1642 Depth=4
	v_bfe_u32 v4, v8, 2, 5
	s_mov_b32 s75, exec_lo
	s_delay_alu instid0(VALU_DEP_1)
	v_cmpx_eq_u32_e32 0, v4
; %bb.1958:                             ;   in Loop: Header=BB4_1642 Depth=4
	v_clz_i32_u32_e32 v4, v5
	s_delay_alu instid0(VALU_DEP_1) | instskip(NEXT) | instid1(VALU_DEP_1)
	v_min_u32_e32 v4, 32, v4
	v_subrev_nc_u32_e32 v5, 29, v4
	v_sub_nc_u32_e32 v4, 30, v4
	s_delay_alu instid0(VALU_DEP_2) | instskip(NEXT) | instid1(VALU_DEP_1)
	v_lshlrev_b64_e32 v[8:9], v5, v[2:3]
	v_and_b32_e32 v5, 3, v8
; %bb.1959:                             ;   in Loop: Header=BB4_1642 Depth=4
	s_or_b32 exec_lo, exec_lo, s75
	v_lshlrev_b32_e32 v2, 16, v14
	s_delay_alu instid0(VALU_DEP_1) | instskip(NEXT) | instid1(VALU_DEP_1)
	v_and_b32_e32 v2, 0x80000000, v2
	v_lshl_add_u32 v2, v4, 23, v2
	s_delay_alu instid0(VALU_DEP_1) | instskip(NEXT) | instid1(VALU_DEP_1)
	v_lshl_or_b32 v2, v5, 21, v2
                                        ; implicit-def: $vgpr5
	v_add_nc_u32_e32 v4, 0x38000000, v2
.LBB4_1960:                             ;   in Loop: Header=BB4_1642 Depth=4
	s_and_not1_saveexec_b32 s74, s74
; %bb.1961:                             ;   in Loop: Header=BB4_1642 Depth=4
	v_cmp_lt_i16_e64 s13, -1, v14
	s_delay_alu instid0(VALU_DEP_1) | instskip(SKIP_1) | instid1(VALU_DEP_1)
	v_cndmask_b32_e64 v2, 0xff800000, v112, s13
	v_cmp_eq_u32_e64 s13, 0, v5
	v_cndmask_b32_e64 v4, 0x7f800001, v2, s13
; %bb.1962:                             ;   in Loop: Header=BB4_1642 Depth=4
	s_or_b32 exec_lo, exec_lo, s74
.LBB4_1963:                             ;   in Loop: Header=BB4_1642 Depth=4
	s_delay_alu instid0(SALU_CYCLE_1)
	s_or_b32 exec_lo, exec_lo, s73
.LBB4_1964:                             ;   in Loop: Header=BB4_1642 Depth=4
	s_delay_alu instid0(SALU_CYCLE_1) | instskip(SKIP_3) | instid1(VALU_DEP_1)
	s_or_b32 exec_lo, exec_lo, s14
	v_lshrrev_b16 v2, 8, v10
	s_mov_b32 s73, 0
	s_mov_b32 s14, exec_lo
	v_cmpx_lt_i16_e32 0x7f, v2
	s_xor_b32 s14, exec_lo, s14
	s_cbranch_execz .LBB4_2207
; %bb.1965:                             ;   in Loop: Header=BB4_1642 Depth=4
	s_mov_b32 s73, -1
	s_mov_b32 s74, exec_lo
	v_cmpx_eq_u16_e32 0x80, v2
; %bb.1966:                             ;   in Loop: Header=BB4_1642 Depth=4
	s_xor_b32 s73, exec_lo, -1
; %bb.1967:                             ;   in Loop: Header=BB4_1642 Depth=4
	s_or_b32 exec_lo, exec_lo, s74
	s_delay_alu instid0(SALU_CYCLE_1)
	s_and_b32 s73, s73, exec_lo
	s_or_saveexec_b32 s14, s14
	v_bfrev_b32_e32 v5, 1
	s_xor_b32 exec_lo, exec_lo, s14
	s_cbranch_execnz .LBB4_2208
.LBB4_1968:                             ;   in Loop: Header=BB4_1642 Depth=4
	s_or_b32 exec_lo, exec_lo, s14
	s_and_saveexec_b32 s14, s73
	s_cbranch_execz .LBB4_1970
.LBB4_1969:                             ;   in Loop: Header=BB4_1642 Depth=4
	v_and_b32_e32 v5, 0xffff, v2
	s_delay_alu instid0(VALU_DEP_1) | instskip(NEXT) | instid1(VALU_DEP_1)
	v_and_b32_e32 v12, 3, v5
	v_clz_i32_u32_e32 v8, v12
	s_delay_alu instid0(VALU_DEP_1) | instskip(NEXT) | instid1(VALU_DEP_1)
	v_min_u32_e32 v13, 32, v8
	v_subrev_nc_u32_e32 v8, 29, v13
	s_delay_alu instid0(VALU_DEP_1) | instskip(SKIP_3) | instid1(VALU_DEP_3)
	v_lshlrev_b64_e32 v[8:9], v8, v[2:3]
	v_bfe_u32 v9, v5, 2, 5
	v_dual_lshlrev_b32 v2, 24, v2 :: v_dual_sub_nc_u32 v13, 30, v13
	v_and_b32_e32 v5, 0x7c, v5
	v_cmp_eq_u32_e64 s13, 0, v9
	s_delay_alu instid0(VALU_DEP_3) | instskip(NEXT) | instid1(VALU_DEP_2)
	v_and_b32_e32 v2, 0x80000000, v2
	v_dual_cndmask_b32 v9, v9, v13, s13 :: v_dual_bitop2_b32 v8, 3, v8 bitop3:0x40
	s_delay_alu instid0(VALU_DEP_1) | instskip(SKIP_1) | instid1(VALU_DEP_3)
	v_cndmask_b32_e64 v8, v12, v8, s13
	v_cmp_lt_i16_e64 s13, -1, v10
	v_lshl_add_u32 v2, v9, 23, v2
	s_delay_alu instid0(VALU_DEP_2) | instskip(SKIP_1) | instid1(VALU_DEP_3)
	v_cndmask_b32_e64 v9, 0xff800000, v112, s13
	v_cmp_eq_u32_e64 s13, 0, v12
	v_lshl_or_b32 v2, v8, 21, v2
	s_delay_alu instid0(VALU_DEP_2) | instskip(NEXT) | instid1(VALU_DEP_2)
	v_cndmask_b32_e64 v8, 0x7f800001, v9, s13
	v_add_nc_u32_e32 v2, 0x38000000, v2
	v_cmp_eq_u32_e64 s13, 0x7c, v5
	s_delay_alu instid0(VALU_DEP_1)
	v_cndmask_b32_e64 v5, v2, v8, s13
.LBB4_1970:                             ;   in Loop: Header=BB4_1642 Depth=4
	s_or_b32 exec_lo, exec_lo, s14
	s_delay_alu instid0(VALU_DEP_1) | instskip(SKIP_1) | instid1(VALU_DEP_1)
	v_dual_mul_f32 v4, v4, v5 :: v_dual_mov_b32 v9, v3
                                        ; implicit-def: $vgpr101
	s_mov_b32 s14, exec_lo
	v_and_b32_e32 v8, 0x7f800000, v4
	v_and_b32_e32 v2, 0x7fffff, v4
	v_lshrrev_b32_e32 v5, 24, v4
	s_delay_alu instid0(VALU_DEP_3)
	v_cmpx_ne_u64_e32 0x7f800000, v[8:9]
	s_xor_b32 s73, exec_lo, s14
	s_cbranch_execz .LBB4_1984
; %bb.1971:                             ;   in Loop: Header=BB4_1642 Depth=4
	v_and_b32_e32 v8, 0x7fffffff, v4
	v_mov_b32_e32 v9, v3
	v_and_b32_e32 v12, 0x80, v5
                                        ; implicit-def: $vgpr101
	s_mov_b32 s14, exec_lo
	s_delay_alu instid0(VALU_DEP_2)
	v_cmpx_gt_u64_e32 0x47600001, v[8:9]
	s_xor_b32 s74, exec_lo, s14
	s_cbranch_execz .LBB4_1981
; %bb.1972:                             ;   in Loop: Header=BB4_1642 Depth=4
	v_mov_b32_e32 v101, 0
	s_mov_b32 s75, exec_lo
	v_cmpx_ne_u32_e32 0, v4
	s_cbranch_execz .LBB4_1980
; %bb.1973:                             ;   in Loop: Header=BB4_1642 Depth=4
	v_bfe_u32 v13, v4, 23, 8
	v_or_b32_e32 v8, 0x800000, v2
	s_delay_alu instid0(VALU_DEP_2) | instskip(SKIP_1) | instid1(VALU_DEP_1)
	v_sub_nc_u32_e32 v4, 0x71, v13
	v_cmp_gt_u32_e64 s13, 0x72, v13
	v_cndmask_b32_e64 v4, 0, v4, s13
	v_cmp_eq_u32_e64 s13, 0, v13
	s_delay_alu instid0(VALU_DEP_1) | instskip(NEXT) | instid1(VALU_DEP_1)
	v_cndmask_b32_e64 v101, v4, 0x70, s13
	v_dual_cndmask_b32 v2, v8, v2, s13 :: v_dual_add_nc_u32 v4, 21, v101
	v_add_nc_u32_e32 v9, 20, v101
	s_delay_alu instid0(VALU_DEP_2) | instskip(NEXT) | instid1(VALU_DEP_2)
	v_lshlrev_b64_e64 v[4:5], v4, -1
	v_lshlrev_b64_e64 v[8:9], v9, 1
	s_delay_alu instid0(VALU_DEP_2) | instskip(NEXT) | instid1(VALU_DEP_3)
	v_bfi_b32 v103, v5, 0, 0
	v_bfi_b32 v102, v4, 0, v2
	v_lshrrev_b64 v[4:5], v101, v[2:3]
	s_delay_alu instid0(VALU_DEP_2) | instskip(NEXT) | instid1(VALU_DEP_2)
	v_cmp_eq_u64_e64 s14, v[102:103], v[8:9]
	v_mov_b64_e32 v[8:9], v[4:5]
	s_and_saveexec_b32 s76, s14
; %bb.1974:                             ;   in Loop: Header=BB4_1642 Depth=4
	v_bfe_u32 v2, v4, 21, 1
	s_delay_alu instid0(VALU_DEP_1) | instskip(NEXT) | instid1(VALU_DEP_1)
	v_add_nc_u64_e32 v[8:9], v[4:5], v[2:3]
	v_add_nc_u64_e32 v[8:9], -1, v[8:9]
; %bb.1975:                             ;   in Loop: Header=BB4_1642 Depth=4
	s_or_b32 exec_lo, exec_lo, s76
	v_add_nc_u32_e32 v2, 0xffffff81, v13
	v_lshrrev_b32_e32 v5, 23, v4
	s_mov_b32 s14, exec_lo
	s_delay_alu instid0(VALU_DEP_2) | instskip(NEXT) | instid1(VALU_DEP_1)
	v_cndmask_b32_e64 v2, v2, 0xffffff82, s13
	v_add3_u32 v9, v101, v2, v5
	v_and_b32_e32 v2, 0x1fffff, v8
                                        ; implicit-def: $vgpr8
	s_delay_alu instid0(VALU_DEP_1) | instskip(NEXT) | instid1(VALU_DEP_1)
	v_dual_add_nc_u32 v13, 14, v9 :: v_dual_add_nc_u32 v2, v2, v4
                                        ; implicit-def: $vgpr4_vgpr5
	v_cmpx_ne_u32_e32 0, v13
	s_xor_b32 s14, exec_lo, s14
; %bb.1976:                             ;   in Loop: Header=BB4_1642 Depth=4
	s_delay_alu instid0(VALU_DEP_2) | instskip(SKIP_1) | instid1(VALU_DEP_1)
	v_cmp_lt_u64_e64 s13, 0xffffff, v[2:3]
	v_add_nc_u32_e32 v4, 15, v9
	v_cndmask_b32_e64 v8, v13, v4, s13
	v_cndmask_b32_e64 v4, 0, 1, s13
	s_delay_alu instid0(VALU_DEP_1)
	v_lshrrev_b64 v[4:5], v4, v[2:3]
; %bb.1977:                             ;   in Loop: Header=BB4_1642 Depth=4
	s_and_not1_saveexec_b32 s13, s14
; %bb.1978:                             ;   in Loop: Header=BB4_1642 Depth=4
	v_mov_b64_e32 v[4:5], v[2:3]
	v_bfe_u32 v8, v2, 23, 1
; %bb.1979:                             ;   in Loop: Header=BB4_1642 Depth=4
	s_or_b32 exec_lo, exec_lo, s13
	s_delay_alu instid0(VALU_DEP_2) | instskip(NEXT) | instid1(VALU_DEP_2)
	v_lshrrev_b64 v[4:5], 21, v[4:5]
	v_cmp_gt_i32_e64 s13, 32, v8
	v_min_i32_e32 v2, 31, v8
	v_cmp_eq_u32_e64 s14, 0, v8
	s_delay_alu instid0(VALU_DEP_2) | instskip(SKIP_1) | instid1(VALU_DEP_2)
	v_dual_cndmask_b32 v5, 0, v5, s13 :: v_dual_lshlrev_b32 v2, 2, v2
	v_cndmask_b32_e64 v4, 3, v4, s13
	v_and_b32_e32 v2, 0xfc, v2
	s_delay_alu instid0(VALU_DEP_2) | instskip(NEXT) | instid1(VALU_DEP_2)
	v_cmp_eq_u64_e64 s13, 0, v[4:5]
	v_and_or_b32 v2, v4, 3, v2
	s_and_b32 s13, s14, s13
	s_delay_alu instid0(VALU_DEP_1) | instid1(SALU_CYCLE_1)
	v_cndmask_b32_e64 v2, v2, 0, s13
	s_delay_alu instid0(VALU_DEP_1)
	v_or_b32_e32 v101, v2, v12
.LBB4_1980:                             ;   in Loop: Header=BB4_1642 Depth=4
	s_or_b32 exec_lo, exec_lo, s75
                                        ; implicit-def: $vgpr12
.LBB4_1981:                             ;   in Loop: Header=BB4_1642 Depth=4
	s_and_not1_saveexec_b32 s13, s74
; %bb.1982:                             ;   in Loop: Header=BB4_1642 Depth=4
	v_or_b32_e32 v101, 0x7b, v12
; %bb.1983:                             ;   in Loop: Header=BB4_1642 Depth=4
	s_or_b32 exec_lo, exec_lo, s13
                                        ; implicit-def: $vgpr4
                                        ; implicit-def: $vgpr5
.LBB4_1984:                             ;   in Loop: Header=BB4_1642 Depth=4
	s_and_not1_saveexec_b32 s14, s73
	s_cbranch_execz .LBB4_1990
; %bb.1985:                             ;   in Loop: Header=BB4_1642 Depth=4
	v_cmp_ne_u64_e64 s13, 0, v[2:3]
                                        ; implicit-def: $vgpr101
	s_and_saveexec_b32 s73, s13
	s_delay_alu instid0(SALU_CYCLE_1)
	s_xor_b32 s13, exec_lo, s73
; %bb.1986:                             ;   in Loop: Header=BB4_1642 Depth=4
	v_or_b32_e32 v101, 0x7f, v5
                                        ; implicit-def: $vgpr4
; %bb.1987:                             ;   in Loop: Header=BB4_1642 Depth=4
	s_and_not1_saveexec_b32 s73, s13
; %bb.1988:                             ;   in Loop: Header=BB4_1642 Depth=4
	v_cmp_lt_i32_e64 s13, -1, v4
	s_delay_alu instid0(VALU_DEP_1)
	v_cndmask_b32_e64 v101, 0xfc, v113, s13
; %bb.1989:                             ;   in Loop: Header=BB4_1642 Depth=4
	s_or_b32 exec_lo, exec_lo, s73
.LBB4_1990:                             ;   in Loop: Header=BB4_1642 Depth=4
	s_delay_alu instid0(SALU_CYCLE_1) | instskip(SKIP_2) | instid1(VALU_DEP_1)
	s_or_b32 exec_lo, exec_lo, s14
	v_dual_lshrrev_b32 v2, 16, v14 :: v_dual_mov_b32 v4, 0
	s_mov_b32 s14, exec_lo
	v_and_b32_e32 v5, 0xff, v2
	s_delay_alu instid0(VALU_DEP_1)
	v_cmpx_ne_u16_e32 0, v5
	s_cbranch_execz .LBB4_2000
; %bb.1991:                             ;   in Loop: Header=BB4_1642 Depth=4
	v_bfrev_b32_e32 v4, 1
	s_mov_b32 s73, exec_lo
	v_cmpx_ne_u16_e32 0x80, v5
	s_cbranch_execz .LBB4_1999
; %bb.1992:                             ;   in Loop: Header=BB4_1642 Depth=4
	v_and_b32_e32 v4, 0x7c0000, v14
	v_bfe_u32 v5, v14, 16, 2
	s_delay_alu instid0(VALU_DEP_2) | instskip(SKIP_1) | instid1(SALU_CYCLE_1)
	v_cmp_ne_u32_e64 s13, 0x7c0000, v4
                                        ; implicit-def: $vgpr4
	s_and_saveexec_b32 s74, s13
	s_xor_b32 s74, exec_lo, s74
	s_cbranch_execz .LBB4_1996
; %bb.1993:                             ;   in Loop: Header=BB4_1642 Depth=4
	v_bfe_u32 v4, v14, 18, 5
	s_mov_b32 s75, exec_lo
	s_delay_alu instid0(VALU_DEP_1)
	v_cmpx_eq_u32_e32 0, v4
; %bb.1994:                             ;   in Loop: Header=BB4_1642 Depth=4
	v_clz_i32_u32_e32 v4, v5
	s_delay_alu instid0(VALU_DEP_1) | instskip(NEXT) | instid1(VALU_DEP_1)
	v_min_u32_e32 v4, 32, v4
	v_subrev_nc_u32_e32 v5, 29, v4
	v_sub_nc_u32_e32 v4, 30, v4
	s_delay_alu instid0(VALU_DEP_2) | instskip(NEXT) | instid1(VALU_DEP_1)
	v_lshlrev_b64_e32 v[8:9], v5, v[2:3]
	v_and_b32_e32 v5, 3, v8
; %bb.1995:                             ;   in Loop: Header=BB4_1642 Depth=4
	s_or_b32 exec_lo, exec_lo, s75
	v_lshlrev_b32_e32 v2, 24, v2
	s_delay_alu instid0(VALU_DEP_1) | instskip(NEXT) | instid1(VALU_DEP_1)
	v_and_b32_e32 v2, 0x80000000, v2
	v_lshl_add_u32 v2, v4, 23, v2
	s_delay_alu instid0(VALU_DEP_1) | instskip(NEXT) | instid1(VALU_DEP_1)
	v_lshl_or_b32 v2, v5, 21, v2
                                        ; implicit-def: $vgpr5
	v_add_nc_u32_e32 v4, 0x38000000, v2
                                        ; implicit-def: $vgpr2
.LBB4_1996:                             ;   in Loop: Header=BB4_1642 Depth=4
	s_and_not1_saveexec_b32 s74, s74
; %bb.1997:                             ;   in Loop: Header=BB4_1642 Depth=4
	v_bfe_i32 v2, v2, 0, 8
	s_delay_alu instid0(VALU_DEP_1) | instskip(NEXT) | instid1(VALU_DEP_1)
	v_cmp_lt_i16_e64 s13, -1, v2
	v_cndmask_b32_e64 v2, 0xff800000, v112, s13
	v_cmp_eq_u32_e64 s13, 0, v5
	s_delay_alu instid0(VALU_DEP_1)
	v_cndmask_b32_e64 v4, 0x7f800001, v2, s13
; %bb.1998:                             ;   in Loop: Header=BB4_1642 Depth=4
	s_or_b32 exec_lo, exec_lo, s74
.LBB4_1999:                             ;   in Loop: Header=BB4_1642 Depth=4
	s_delay_alu instid0(SALU_CYCLE_1)
	s_or_b32 exec_lo, exec_lo, s73
.LBB4_2000:                             ;   in Loop: Header=BB4_1642 Depth=4
	s_delay_alu instid0(SALU_CYCLE_1) | instskip(SKIP_3) | instid1(VALU_DEP_1)
	s_or_b32 exec_lo, exec_lo, s14
	v_lshrrev_b32_e32 v2, 16, v10
	s_mov_b32 s73, 0
	s_mov_b32 s14, exec_lo
	v_and_b32_e32 v8, 0xff, v2
	s_delay_alu instid0(VALU_DEP_1)
	v_cmpx_lt_i16_e32 0x7f, v8
	s_xor_b32 s14, exec_lo, s14
	s_cbranch_execz .LBB4_2209
; %bb.2001:                             ;   in Loop: Header=BB4_1642 Depth=4
	s_mov_b32 s73, -1
	s_mov_b32 s74, exec_lo
	v_cmpx_eq_u16_e32 0x80, v8
; %bb.2002:                             ;   in Loop: Header=BB4_1642 Depth=4
	s_xor_b32 s73, exec_lo, -1
; %bb.2003:                             ;   in Loop: Header=BB4_1642 Depth=4
	s_or_b32 exec_lo, exec_lo, s74
	s_delay_alu instid0(SALU_CYCLE_1)
	s_and_b32 s73, s73, exec_lo
                                        ; implicit-def: $vgpr8
	s_or_saveexec_b32 s14, s14
	v_bfrev_b32_e32 v5, 1
	s_xor_b32 exec_lo, exec_lo, s14
	s_cbranch_execnz .LBB4_2210
.LBB4_2004:                             ;   in Loop: Header=BB4_1642 Depth=4
	s_or_b32 exec_lo, exec_lo, s14
	s_and_saveexec_b32 s14, s73
	s_cbranch_execz .LBB4_2006
.LBB4_2005:                             ;   in Loop: Header=BB4_1642 Depth=4
	v_and_b32_e32 v5, 3, v2
	v_bfe_u32 v13, v10, 18, 5
	s_delay_alu instid0(VALU_DEP_2) | instskip(NEXT) | instid1(VALU_DEP_2)
	v_clz_i32_u32_e32 v8, v5
	v_cmp_eq_u32_e64 s13, 0, v13
	s_delay_alu instid0(VALU_DEP_2) | instskip(NEXT) | instid1(VALU_DEP_1)
	v_min_u32_e32 v12, 32, v8
	v_subrev_nc_u32_e32 v8, 29, v12
	v_sub_nc_u32_e32 v12, 30, v12
	s_delay_alu instid0(VALU_DEP_2) | instskip(NEXT) | instid1(VALU_DEP_2)
	v_lshlrev_b64_e32 v[8:9], v8, v[2:3]
	v_dual_lshlrev_b32 v9, 24, v2 :: v_dual_cndmask_b32 v12, v13, v12, s13
	v_bfe_i32 v2, v2, 0, 8
	s_delay_alu instid0(VALU_DEP_2) | instskip(NEXT) | instid1(VALU_DEP_4)
	v_and_b32_e32 v9, 0x80000000, v9
	v_and_b32_e32 v8, 3, v8
	s_delay_alu instid0(VALU_DEP_2) | instskip(NEXT) | instid1(VALU_DEP_2)
	v_lshl_add_u32 v9, v12, 23, v9
	v_cndmask_b32_e64 v8, v5, v8, s13
	v_cmp_lt_i16_e64 s13, -1, v2
	s_delay_alu instid0(VALU_DEP_2) | instskip(NEXT) | instid1(VALU_DEP_2)
	v_lshl_or_b32 v8, v8, 21, v9
	v_cndmask_b32_e64 v2, 0xff800000, v112, s13
	v_and_b32_e32 v9, 0x7c0000, v10
	v_cmp_eq_u32_e64 s13, 0, v5
	s_delay_alu instid0(VALU_DEP_4) | instskip(NEXT) | instid1(VALU_DEP_2)
	v_add_nc_u32_e32 v5, 0x38000000, v8
	v_cndmask_b32_e64 v2, 0x7f800001, v2, s13
	s_delay_alu instid0(VALU_DEP_4) | instskip(NEXT) | instid1(VALU_DEP_1)
	v_cmp_eq_u32_e64 s13, 0x7c0000, v9
	v_cndmask_b32_e64 v5, v5, v2, s13
.LBB4_2006:                             ;   in Loop: Header=BB4_1642 Depth=4
	s_or_b32 exec_lo, exec_lo, s14
	s_delay_alu instid0(VALU_DEP_1) | instskip(SKIP_1) | instid1(VALU_DEP_1)
	v_dual_mul_f32 v4, v4, v5 :: v_dual_mov_b32 v9, v3
                                        ; implicit-def: $vgpr102
	s_mov_b32 s14, exec_lo
	v_and_b32_e32 v8, 0x7f800000, v4
	v_and_b32_e32 v2, 0x7fffff, v4
	v_lshrrev_b32_e32 v5, 24, v4
	s_delay_alu instid0(VALU_DEP_3)
	v_cmpx_ne_u64_e32 0x7f800000, v[8:9]
	s_xor_b32 s73, exec_lo, s14
	s_cbranch_execz .LBB4_2020
; %bb.2007:                             ;   in Loop: Header=BB4_1642 Depth=4
	v_and_b32_e32 v8, 0x7fffffff, v4
	v_mov_b32_e32 v9, v3
	v_and_b32_e32 v12, 0x80, v5
                                        ; implicit-def: $vgpr102
	s_mov_b32 s14, exec_lo
	s_delay_alu instid0(VALU_DEP_2)
	v_cmpx_gt_u64_e32 0x47600001, v[8:9]
	s_xor_b32 s74, exec_lo, s14
	s_cbranch_execz .LBB4_2017
; %bb.2008:                             ;   in Loop: Header=BB4_1642 Depth=4
	v_mov_b32_e32 v102, 0
	s_mov_b32 s75, exec_lo
	v_cmpx_ne_u32_e32 0, v4
	s_cbranch_execz .LBB4_2016
; %bb.2009:                             ;   in Loop: Header=BB4_1642 Depth=4
	v_bfe_u32 v13, v4, 23, 8
	v_or_b32_e32 v8, 0x800000, v2
	s_delay_alu instid0(VALU_DEP_2) | instskip(SKIP_1) | instid1(VALU_DEP_1)
	v_sub_nc_u32_e32 v4, 0x71, v13
	v_cmp_gt_u32_e64 s13, 0x72, v13
	v_cndmask_b32_e64 v4, 0, v4, s13
	v_cmp_eq_u32_e64 s13, 0, v13
	s_delay_alu instid0(VALU_DEP_1) | instskip(SKIP_1) | instid1(VALU_DEP_2)
	v_cndmask_b32_e64 v102, v4, 0x70, s13
	v_cndmask_b32_e64 v2, v8, v2, s13
	v_dual_add_nc_u32 v4, 21, v102 :: v_dual_add_nc_u32 v9, 20, v102
	s_delay_alu instid0(VALU_DEP_1) | instskip(NEXT) | instid1(VALU_DEP_2)
	v_lshlrev_b64_e64 v[4:5], v4, -1
	v_lshlrev_b64_e64 v[8:9], v9, 1
	s_delay_alu instid0(VALU_DEP_2) | instskip(NEXT) | instid1(VALU_DEP_3)
	v_bfi_b32 v117, v5, 0, 0
	v_bfi_b32 v116, v4, 0, v2
	v_lshrrev_b64 v[4:5], v102, v[2:3]
	s_delay_alu instid0(VALU_DEP_2) | instskip(NEXT) | instid1(VALU_DEP_2)
	v_cmp_eq_u64_e64 s14, v[116:117], v[8:9]
	v_mov_b64_e32 v[8:9], v[4:5]
	s_and_saveexec_b32 s76, s14
; %bb.2010:                             ;   in Loop: Header=BB4_1642 Depth=4
	v_bfe_u32 v2, v4, 21, 1
	s_delay_alu instid0(VALU_DEP_1) | instskip(NEXT) | instid1(VALU_DEP_1)
	v_add_nc_u64_e32 v[8:9], v[4:5], v[2:3]
	v_add_nc_u64_e32 v[8:9], -1, v[8:9]
; %bb.2011:                             ;   in Loop: Header=BB4_1642 Depth=4
	s_or_b32 exec_lo, exec_lo, s76
	v_add_nc_u32_e32 v2, 0xffffff81, v13
	v_lshrrev_b32_e32 v5, 23, v4
	s_mov_b32 s14, exec_lo
	s_delay_alu instid0(VALU_DEP_2) | instskip(NEXT) | instid1(VALU_DEP_1)
	v_cndmask_b32_e64 v2, v2, 0xffffff82, s13
	v_add3_u32 v9, v102, v2, v5
	v_and_b32_e32 v2, 0x1fffff, v8
                                        ; implicit-def: $vgpr8
	s_delay_alu instid0(VALU_DEP_1) | instskip(NEXT) | instid1(VALU_DEP_1)
	v_dual_add_nc_u32 v13, 14, v9 :: v_dual_add_nc_u32 v2, v2, v4
                                        ; implicit-def: $vgpr4_vgpr5
	v_cmpx_ne_u32_e32 0, v13
	s_xor_b32 s14, exec_lo, s14
; %bb.2012:                             ;   in Loop: Header=BB4_1642 Depth=4
	s_delay_alu instid0(VALU_DEP_2) | instskip(SKIP_1) | instid1(VALU_DEP_1)
	v_cmp_lt_u64_e64 s13, 0xffffff, v[2:3]
	v_add_nc_u32_e32 v4, 15, v9
	v_cndmask_b32_e64 v8, v13, v4, s13
	v_cndmask_b32_e64 v4, 0, 1, s13
	s_delay_alu instid0(VALU_DEP_1)
	v_lshrrev_b64 v[4:5], v4, v[2:3]
; %bb.2013:                             ;   in Loop: Header=BB4_1642 Depth=4
	s_and_not1_saveexec_b32 s13, s14
; %bb.2014:                             ;   in Loop: Header=BB4_1642 Depth=4
	v_mov_b64_e32 v[4:5], v[2:3]
	v_bfe_u32 v8, v2, 23, 1
; %bb.2015:                             ;   in Loop: Header=BB4_1642 Depth=4
	s_or_b32 exec_lo, exec_lo, s13
	s_delay_alu instid0(VALU_DEP_2) | instskip(NEXT) | instid1(VALU_DEP_2)
	v_lshrrev_b64 v[4:5], 21, v[4:5]
	v_cmp_gt_i32_e64 s13, 32, v8
	v_min_i32_e32 v2, 31, v8
	v_cmp_eq_u32_e64 s14, 0, v8
	s_delay_alu instid0(VALU_DEP_2) | instskip(SKIP_1) | instid1(VALU_DEP_2)
	v_dual_cndmask_b32 v5, 0, v5, s13 :: v_dual_lshlrev_b32 v2, 2, v2
	v_cndmask_b32_e64 v4, 3, v4, s13
	v_and_b32_e32 v2, 0xfc, v2
	s_delay_alu instid0(VALU_DEP_2) | instskip(NEXT) | instid1(VALU_DEP_2)
	v_cmp_eq_u64_e64 s13, 0, v[4:5]
	v_and_or_b32 v2, v4, 3, v2
	s_and_b32 s13, s14, s13
	s_delay_alu instid0(VALU_DEP_1) | instid1(SALU_CYCLE_1)
	v_cndmask_b32_e64 v2, v2, 0, s13
	s_delay_alu instid0(VALU_DEP_1)
	v_or_b32_e32 v102, v2, v12
.LBB4_2016:                             ;   in Loop: Header=BB4_1642 Depth=4
	s_or_b32 exec_lo, exec_lo, s75
                                        ; implicit-def: $vgpr12
.LBB4_2017:                             ;   in Loop: Header=BB4_1642 Depth=4
	s_and_not1_saveexec_b32 s13, s74
; %bb.2018:                             ;   in Loop: Header=BB4_1642 Depth=4
	v_or_b32_e32 v102, 0x7b, v12
; %bb.2019:                             ;   in Loop: Header=BB4_1642 Depth=4
	s_or_b32 exec_lo, exec_lo, s13
                                        ; implicit-def: $vgpr4
                                        ; implicit-def: $vgpr5
.LBB4_2020:                             ;   in Loop: Header=BB4_1642 Depth=4
	s_and_not1_saveexec_b32 s14, s73
	s_cbranch_execz .LBB4_2026
; %bb.2021:                             ;   in Loop: Header=BB4_1642 Depth=4
	v_cmp_ne_u64_e64 s13, 0, v[2:3]
                                        ; implicit-def: $vgpr102
	s_and_saveexec_b32 s73, s13
	s_delay_alu instid0(SALU_CYCLE_1)
	s_xor_b32 s13, exec_lo, s73
; %bb.2022:                             ;   in Loop: Header=BB4_1642 Depth=4
	v_or_b32_e32 v102, 0x7f, v5
                                        ; implicit-def: $vgpr4
; %bb.2023:                             ;   in Loop: Header=BB4_1642 Depth=4
	s_and_not1_saveexec_b32 s73, s13
; %bb.2024:                             ;   in Loop: Header=BB4_1642 Depth=4
	v_cmp_lt_i32_e64 s13, -1, v4
	s_delay_alu instid0(VALU_DEP_1)
	v_cndmask_b32_e64 v102, 0xfc, v113, s13
; %bb.2025:                             ;   in Loop: Header=BB4_1642 Depth=4
	s_or_b32 exec_lo, exec_lo, s73
.LBB4_2026:                             ;   in Loop: Header=BB4_1642 Depth=4
	s_delay_alu instid0(SALU_CYCLE_1)
	s_or_b32 exec_lo, exec_lo, s14
	v_mov_b32_e32 v4, 0
	s_mov_b32 s14, exec_lo
	v_cmpx_lt_u32_e32 0xffffff, v14
	s_cbranch_execz .LBB4_2036
; %bb.2027:                             ;   in Loop: Header=BB4_1642 Depth=4
	v_lshrrev_b32_e32 v2, 24, v14
	v_bfrev_b32_e32 v4, 1
	s_mov_b32 s73, exec_lo
	s_delay_alu instid0(VALU_DEP_2)
	v_cmpx_ne_u32_e32 0x80, v2
	s_cbranch_execz .LBB4_2035
; %bb.2028:                             ;   in Loop: Header=BB4_1642 Depth=4
	v_and_b32_e32 v4, 0x7c000000, v14
	v_bfe_u32 v5, v14, 24, 2
	s_delay_alu instid0(VALU_DEP_2) | instskip(SKIP_1) | instid1(SALU_CYCLE_1)
	v_cmp_ne_u32_e64 s13, 0x7c000000, v4
                                        ; implicit-def: $vgpr4
	s_and_saveexec_b32 s74, s13
	s_xor_b32 s74, exec_lo, s74
	s_cbranch_execz .LBB4_2032
; %bb.2029:                             ;   in Loop: Header=BB4_1642 Depth=4
	v_bfe_u32 v4, v14, 26, 5
	s_mov_b32 s75, exec_lo
	s_delay_alu instid0(VALU_DEP_1)
	v_cmpx_eq_u32_e32 0, v4
; %bb.2030:                             ;   in Loop: Header=BB4_1642 Depth=4
	v_clz_i32_u32_e32 v4, v5
	s_delay_alu instid0(VALU_DEP_1) | instskip(NEXT) | instid1(VALU_DEP_1)
	v_min_u32_e32 v4, 32, v4
	v_subrev_nc_u32_e32 v5, 29, v4
	v_sub_nc_u32_e32 v4, 30, v4
	s_delay_alu instid0(VALU_DEP_2) | instskip(NEXT) | instid1(VALU_DEP_1)
	v_lshlrev_b64_e32 v[8:9], v5, v[2:3]
	v_and_b32_e32 v5, 3, v8
; %bb.2031:                             ;   in Loop: Header=BB4_1642 Depth=4
	s_or_b32 exec_lo, exec_lo, s75
	v_and_b32_e32 v2, 0x80000000, v14
	s_delay_alu instid0(VALU_DEP_1) | instskip(NEXT) | instid1(VALU_DEP_1)
	v_lshl_add_u32 v2, v4, 23, v2
	v_lshl_or_b32 v2, v5, 21, v2
                                        ; implicit-def: $vgpr5
	s_delay_alu instid0(VALU_DEP_1)
	v_add_nc_u32_e32 v4, 0x38000000, v2
.LBB4_2032:                             ;   in Loop: Header=BB4_1642 Depth=4
	s_and_not1_saveexec_b32 s74, s74
; %bb.2033:                             ;   in Loop: Header=BB4_1642 Depth=4
	v_cmp_lt_i32_e64 s13, -1, v14
	s_delay_alu instid0(VALU_DEP_1) | instskip(SKIP_1) | instid1(VALU_DEP_1)
	v_cndmask_b32_e64 v2, 0xff800000, v112, s13
	v_cmp_eq_u32_e64 s13, 0, v5
	v_cndmask_b32_e64 v4, 0x7f800001, v2, s13
; %bb.2034:                             ;   in Loop: Header=BB4_1642 Depth=4
	s_or_b32 exec_lo, exec_lo, s74
.LBB4_2035:                             ;   in Loop: Header=BB4_1642 Depth=4
	s_delay_alu instid0(SALU_CYCLE_1)
	s_or_b32 exec_lo, exec_lo, s73
.LBB4_2036:                             ;   in Loop: Header=BB4_1642 Depth=4
	s_delay_alu instid0(SALU_CYCLE_1) | instskip(SKIP_3) | instid1(VALU_DEP_2)
	s_or_b32 exec_lo, exec_lo, s14
	v_bfe_u32 v5, v10, 24, 2
	v_bfe_u32 v13, v10, 26, 5
                                        ; implicit-def: $vgpr103
	s_mov_b32 s14, exec_lo
	v_clz_i32_u32_e32 v2, v5
	s_delay_alu instid0(VALU_DEP_2) | instskip(NEXT) | instid1(VALU_DEP_2)
	v_cmp_eq_u32_e64 s13, 0, v13
	v_min_u32_e32 v12, 32, v2
	v_lshrrev_b32_e32 v2, 24, v10
	s_delay_alu instid0(VALU_DEP_2) | instskip(NEXT) | instid1(VALU_DEP_1)
	v_subrev_nc_u32_e32 v8, 29, v12
	v_lshlrev_b64_e32 v[8:9], v8, v[2:3]
	v_sub_nc_u32_e32 v9, 30, v12
	v_and_b32_e32 v12, 0x80000000, v10
	s_delay_alu instid0(VALU_DEP_2) | instskip(NEXT) | instid1(VALU_DEP_1)
	v_dual_cndmask_b32 v9, v13, v9, s13 :: v_dual_bitop2_b32 v8, 3, v8 bitop3:0x40
	v_lshl_add_u32 v9, v9, 23, v12
	s_delay_alu instid0(VALU_DEP_2) | instskip(SKIP_1) | instid1(VALU_DEP_2)
	v_cndmask_b32_e64 v8, v5, v8, s13
	v_cmp_lt_i32_e64 s13, -1, v10
	v_lshl_or_b32 v8, v8, 21, v9
	s_delay_alu instid0(VALU_DEP_2) | instskip(SKIP_2) | instid1(VALU_DEP_4)
	v_cndmask_b32_e64 v12, 0xff800000, v112, s13
	v_and_b32_e32 v9, 0x7c000000, v10
	v_cmp_eq_u32_e64 s13, 0, v5
	v_add_nc_u32_e32 v8, 0x38000000, v8
	s_delay_alu instid0(VALU_DEP_2) | instskip(NEXT) | instid1(VALU_DEP_4)
	v_cndmask_b32_e64 v5, 0x7f800001, v12, s13
	v_cmp_eq_u32_e64 s13, 0x7c000000, v9
	s_delay_alu instid0(VALU_DEP_1) | instskip(SKIP_1) | instid1(VALU_DEP_1)
	v_dual_mov_b32 v9, v3 :: v_dual_cndmask_b32 v5, v8, v5, s13
	v_cmp_ne_u32_e64 s13, 0x80, v2
	v_cndmask_b32_e64 v2, 0x80000000, v5, s13
	v_cmp_lt_u32_e64 s13, 0xffffff, v10
	s_delay_alu instid0(VALU_DEP_1) | instskip(NEXT) | instid1(VALU_DEP_1)
	v_cndmask_b32_e64 v2, 0, v2, s13
	v_mul_f32_e32 v4, v2, v4
	s_delay_alu instid0(VALU_DEP_1) | instskip(SKIP_2) | instid1(VALU_DEP_3)
	v_and_b32_e32 v8, 0x7f800000, v4
	v_and_b32_e32 v2, 0x7fffff, v4
	v_lshrrev_b32_e32 v5, 24, v4
	v_cmpx_ne_u64_e32 0x7f800000, v[8:9]
	s_xor_b32 s73, exec_lo, s14
	s_cbranch_execz .LBB4_2050
; %bb.2037:                             ;   in Loop: Header=BB4_1642 Depth=4
	v_and_b32_e32 v8, 0x7fffffff, v4
	v_mov_b32_e32 v9, v3
	v_and_b32_e32 v12, 0x80, v5
                                        ; implicit-def: $vgpr103
	s_mov_b32 s14, exec_lo
	s_delay_alu instid0(VALU_DEP_2)
	v_cmpx_gt_u64_e32 0x47600001, v[8:9]
	s_xor_b32 s74, exec_lo, s14
	s_cbranch_execz .LBB4_2047
; %bb.2038:                             ;   in Loop: Header=BB4_1642 Depth=4
	v_mov_b32_e32 v103, 0
	s_mov_b32 s75, exec_lo
	v_cmpx_ne_u32_e32 0, v4
	s_cbranch_execz .LBB4_2046
; %bb.2039:                             ;   in Loop: Header=BB4_1642 Depth=4
	v_bfe_u32 v13, v4, 23, 8
	v_or_b32_e32 v8, 0x800000, v2
	s_delay_alu instid0(VALU_DEP_2) | instskip(SKIP_1) | instid1(VALU_DEP_1)
	v_sub_nc_u32_e32 v4, 0x71, v13
	v_cmp_gt_u32_e64 s13, 0x72, v13
	v_cndmask_b32_e64 v4, 0, v4, s13
	v_cmp_eq_u32_e64 s13, 0, v13
	s_delay_alu instid0(VALU_DEP_1) | instskip(NEXT) | instid1(VALU_DEP_1)
	v_cndmask_b32_e64 v103, v4, 0x70, s13
	v_dual_cndmask_b32 v2, v8, v2, s13 :: v_dual_add_nc_u32 v4, 21, v103
	v_add_nc_u32_e32 v9, 20, v103
	s_delay_alu instid0(VALU_DEP_2) | instskip(NEXT) | instid1(VALU_DEP_2)
	v_lshlrev_b64_e64 v[4:5], v4, -1
	v_lshlrev_b64_e64 v[8:9], v9, 1
	s_delay_alu instid0(VALU_DEP_2) | instskip(NEXT) | instid1(VALU_DEP_3)
	v_bfi_b32 v117, v5, 0, 0
	v_bfi_b32 v116, v4, 0, v2
	v_lshrrev_b64 v[4:5], v103, v[2:3]
	s_delay_alu instid0(VALU_DEP_2) | instskip(NEXT) | instid1(VALU_DEP_2)
	v_cmp_eq_u64_e64 s14, v[116:117], v[8:9]
	v_mov_b64_e32 v[8:9], v[4:5]
	s_and_saveexec_b32 s76, s14
; %bb.2040:                             ;   in Loop: Header=BB4_1642 Depth=4
	v_bfe_u32 v2, v4, 21, 1
	s_delay_alu instid0(VALU_DEP_1) | instskip(NEXT) | instid1(VALU_DEP_1)
	v_add_nc_u64_e32 v[8:9], v[4:5], v[2:3]
	v_add_nc_u64_e32 v[8:9], -1, v[8:9]
; %bb.2041:                             ;   in Loop: Header=BB4_1642 Depth=4
	s_or_b32 exec_lo, exec_lo, s76
	v_add_nc_u32_e32 v2, 0xffffff81, v13
	v_lshrrev_b32_e32 v5, 23, v4
	s_mov_b32 s14, exec_lo
	s_delay_alu instid0(VALU_DEP_2) | instskip(NEXT) | instid1(VALU_DEP_1)
	v_cndmask_b32_e64 v2, v2, 0xffffff82, s13
	v_add3_u32 v9, v103, v2, v5
	v_and_b32_e32 v2, 0x1fffff, v8
                                        ; implicit-def: $vgpr8
	s_delay_alu instid0(VALU_DEP_1) | instskip(NEXT) | instid1(VALU_DEP_1)
	v_dual_add_nc_u32 v13, 14, v9 :: v_dual_add_nc_u32 v2, v2, v4
                                        ; implicit-def: $vgpr4_vgpr5
	v_cmpx_ne_u32_e32 0, v13
	s_xor_b32 s14, exec_lo, s14
; %bb.2042:                             ;   in Loop: Header=BB4_1642 Depth=4
	s_delay_alu instid0(VALU_DEP_2) | instskip(SKIP_1) | instid1(VALU_DEP_1)
	v_cmp_lt_u64_e64 s13, 0xffffff, v[2:3]
	v_add_nc_u32_e32 v4, 15, v9
	v_cndmask_b32_e64 v8, v13, v4, s13
	v_cndmask_b32_e64 v4, 0, 1, s13
	s_delay_alu instid0(VALU_DEP_1)
	v_lshrrev_b64 v[4:5], v4, v[2:3]
; %bb.2043:                             ;   in Loop: Header=BB4_1642 Depth=4
	s_and_not1_saveexec_b32 s13, s14
; %bb.2044:                             ;   in Loop: Header=BB4_1642 Depth=4
	v_mov_b64_e32 v[4:5], v[2:3]
	v_bfe_u32 v8, v2, 23, 1
; %bb.2045:                             ;   in Loop: Header=BB4_1642 Depth=4
	s_or_b32 exec_lo, exec_lo, s13
	s_delay_alu instid0(VALU_DEP_2) | instskip(NEXT) | instid1(VALU_DEP_2)
	v_lshrrev_b64 v[4:5], 21, v[4:5]
	v_cmp_gt_i32_e64 s13, 32, v8
	v_min_i32_e32 v2, 31, v8
	v_cmp_eq_u32_e64 s14, 0, v8
	s_delay_alu instid0(VALU_DEP_2) | instskip(SKIP_1) | instid1(VALU_DEP_2)
	v_dual_cndmask_b32 v5, 0, v5, s13 :: v_dual_lshlrev_b32 v2, 2, v2
	v_cndmask_b32_e64 v4, 3, v4, s13
	v_and_b32_e32 v2, 0xfc, v2
	s_delay_alu instid0(VALU_DEP_2) | instskip(NEXT) | instid1(VALU_DEP_2)
	v_cmp_eq_u64_e64 s13, 0, v[4:5]
	v_and_or_b32 v2, v4, 3, v2
	s_and_b32 s13, s14, s13
	s_delay_alu instid0(VALU_DEP_1) | instid1(SALU_CYCLE_1)
	v_cndmask_b32_e64 v2, v2, 0, s13
	s_delay_alu instid0(VALU_DEP_1)
	v_or_b32_e32 v103, v2, v12
.LBB4_2046:                             ;   in Loop: Header=BB4_1642 Depth=4
	s_or_b32 exec_lo, exec_lo, s75
                                        ; implicit-def: $vgpr12
.LBB4_2047:                             ;   in Loop: Header=BB4_1642 Depth=4
	s_and_not1_saveexec_b32 s13, s74
; %bb.2048:                             ;   in Loop: Header=BB4_1642 Depth=4
	v_or_b32_e32 v103, 0x7b, v12
; %bb.2049:                             ;   in Loop: Header=BB4_1642 Depth=4
	s_or_b32 exec_lo, exec_lo, s13
                                        ; implicit-def: $vgpr4
                                        ; implicit-def: $vgpr5
.LBB4_2050:                             ;   in Loop: Header=BB4_1642 Depth=4
	s_and_not1_saveexec_b32 s14, s73
	s_cbranch_execz .LBB4_2056
; %bb.2051:                             ;   in Loop: Header=BB4_1642 Depth=4
	v_cmp_ne_u64_e64 s13, 0, v[2:3]
                                        ; implicit-def: $vgpr103
	s_and_saveexec_b32 s73, s13
	s_delay_alu instid0(SALU_CYCLE_1)
	s_xor_b32 s13, exec_lo, s73
; %bb.2052:                             ;   in Loop: Header=BB4_1642 Depth=4
	v_or_b32_e32 v103, 0x7f, v5
                                        ; implicit-def: $vgpr4
; %bb.2053:                             ;   in Loop: Header=BB4_1642 Depth=4
	s_and_not1_saveexec_b32 s73, s13
; %bb.2054:                             ;   in Loop: Header=BB4_1642 Depth=4
	v_cmp_lt_i32_e64 s13, -1, v4
	s_delay_alu instid0(VALU_DEP_1)
	v_cndmask_b32_e64 v103, 0xfc, v113, s13
; %bb.2055:                             ;   in Loop: Header=BB4_1642 Depth=4
	s_or_b32 exec_lo, exec_lo, s73
.LBB4_2056:                             ;   in Loop: Header=BB4_1642 Depth=4
	s_delay_alu instid0(SALU_CYCLE_1) | instskip(SKIP_3) | instid1(VALU_DEP_2)
	s_or_b32 exec_lo, exec_lo, s14
	v_and_b32_e32 v4, 0xff, v15
	v_dual_mov_b32 v2, v15 :: v_dual_mov_b32 v8, 0
	s_mov_b32 s14, exec_lo
	v_cmpx_ne_u16_e32 0, v4
	s_cbranch_execz .LBB4_2066
; %bb.2057:                             ;   in Loop: Header=BB4_1642 Depth=4
	v_bfrev_b32_e32 v8, 1
	s_mov_b32 s73, exec_lo
	v_cmpx_ne_u16_e32 0x80, v4
	s_cbranch_execz .LBB4_2065
; %bb.2058:                             ;   in Loop: Header=BB4_1642 Depth=4
	v_and_b32_e32 v5, 0x7c, v15
	v_and_b32_e32 v4, 3, v15
	s_mov_b32 s74, exec_lo
                                        ; implicit-def: $vgpr8
	s_delay_alu instid0(VALU_DEP_2)
	v_cmpx_ne_u32_e32 0x7c, v5
	s_xor_b32 s74, exec_lo, s74
	s_cbranch_execz .LBB4_2062
; %bb.2059:                             ;   in Loop: Header=BB4_1642 Depth=4
	v_bfe_u32 v5, v15, 2, 5
	s_mov_b32 s75, exec_lo
	s_delay_alu instid0(VALU_DEP_1)
	v_cmpx_eq_u32_e32 0, v5
; %bb.2060:                             ;   in Loop: Header=BB4_1642 Depth=4
	v_clz_i32_u32_e32 v4, v4
	s_delay_alu instid0(VALU_DEP_1) | instskip(NEXT) | instid1(VALU_DEP_1)
	v_min_u32_e32 v8, 32, v4
	v_subrev_nc_u32_e32 v4, 29, v8
	s_delay_alu instid0(VALU_DEP_1) | instskip(SKIP_1) | instid1(VALU_DEP_2)
	v_lshlrev_b64_e32 v[4:5], v4, v[2:3]
	v_sub_nc_u32_e32 v5, 30, v8
	v_and_b32_e32 v4, 3, v4
; %bb.2061:                             ;   in Loop: Header=BB4_1642 Depth=4
	s_or_b32 exec_lo, exec_lo, s75
	v_lshlrev_b32_e32 v8, 24, v15
	s_delay_alu instid0(VALU_DEP_1) | instskip(NEXT) | instid1(VALU_DEP_1)
	v_and_b32_e32 v8, 0x80000000, v8
	v_lshl_add_u32 v5, v5, 23, v8
	s_delay_alu instid0(VALU_DEP_1) | instskip(NEXT) | instid1(VALU_DEP_1)
	v_lshl_or_b32 v4, v4, 21, v5
	v_add_nc_u32_e32 v8, 0x38000000, v4
                                        ; implicit-def: $vgpr4
.LBB4_2062:                             ;   in Loop: Header=BB4_1642 Depth=4
	s_and_not1_saveexec_b32 s74, s74
; %bb.2063:                             ;   in Loop: Header=BB4_1642 Depth=4
	v_bfe_i32 v5, v15, 0, 8
	s_delay_alu instid0(VALU_DEP_1) | instskip(NEXT) | instid1(VALU_DEP_1)
	v_cmp_lt_i16_e64 s13, -1, v5
	v_cndmask_b32_e64 v5, 0xff800000, v112, s13
	v_cmp_eq_u32_e64 s13, 0, v4
	s_delay_alu instid0(VALU_DEP_1)
	v_cndmask_b32_e64 v8, 0x7f800001, v5, s13
; %bb.2064:                             ;   in Loop: Header=BB4_1642 Depth=4
	s_or_b32 exec_lo, exec_lo, s74
.LBB4_2065:                             ;   in Loop: Header=BB4_1642 Depth=4
	s_delay_alu instid0(SALU_CYCLE_1)
	s_or_b32 exec_lo, exec_lo, s73
.LBB4_2066:                             ;   in Loop: Header=BB4_1642 Depth=4
	s_delay_alu instid0(SALU_CYCLE_1) | instskip(SKIP_4) | instid1(VALU_DEP_2)
	s_or_b32 exec_lo, exec_lo, s14
	v_and_b32_e32 v5, 0xff, v11
	v_mov_b32_e32 v4, v11
	s_mov_b32 s73, 0
	s_mov_b32 s14, exec_lo
	v_cmpx_lt_i16_e32 0x7f, v5
	s_xor_b32 s14, exec_lo, s14
	s_cbranch_execz .LBB4_2211
; %bb.2067:                             ;   in Loop: Header=BB4_1642 Depth=4
	s_mov_b32 s73, -1
	s_mov_b32 s74, exec_lo
	v_cmpx_eq_u16_e32 0x80, v5
; %bb.2068:                             ;   in Loop: Header=BB4_1642 Depth=4
	s_xor_b32 s73, exec_lo, -1
; %bb.2069:                             ;   in Loop: Header=BB4_1642 Depth=4
	s_or_b32 exec_lo, exec_lo, s74
	s_delay_alu instid0(SALU_CYCLE_1)
	s_and_b32 s73, s73, exec_lo
                                        ; implicit-def: $vgpr5
	s_or_saveexec_b32 s14, s14
	v_bfrev_b32_e32 v9, 1
	s_xor_b32 exec_lo, exec_lo, s14
	s_cbranch_execnz .LBB4_2212
.LBB4_2070:                             ;   in Loop: Header=BB4_1642 Depth=4
	s_or_b32 exec_lo, exec_lo, s14
	v_mov_b32_e32 v5, v3
	s_and_saveexec_b32 s14, s73
	s_cbranch_execz .LBB4_2072
.LBB4_2071:                             ;   in Loop: Header=BB4_1642 Depth=4
	v_and_b32_e32 v9, 3, v11
	s_delay_alu instid0(VALU_DEP_1) | instskip(NEXT) | instid1(VALU_DEP_1)
	v_clz_i32_u32_e32 v12, v9
	v_min_u32_e32 v116, 32, v12
	s_delay_alu instid0(VALU_DEP_1) | instskip(SKIP_1) | instid1(VALU_DEP_2)
	v_subrev_nc_u32_e32 v12, 29, v116
	v_sub_nc_u32_e32 v116, 30, v116
	v_lshlrev_b64_e32 v[12:13], v12, v[4:5]
	v_bfe_u32 v13, v11, 2, 5
	v_lshlrev_b32_e32 v5, 24, v11
	s_delay_alu instid0(VALU_DEP_2) | instskip(NEXT) | instid1(VALU_DEP_2)
	v_cmp_eq_u32_e64 s13, 0, v13
	v_and_b32_e32 v5, 0x80000000, v5
	v_and_b32_e32 v12, 3, v12
	s_delay_alu instid0(VALU_DEP_3) | instskip(SKIP_1) | instid1(VALU_DEP_3)
	v_cndmask_b32_e64 v13, v13, v116, s13
	v_bfe_i32 v116, v11, 0, 8
	v_cndmask_b32_e64 v12, v9, v12, s13
	s_delay_alu instid0(VALU_DEP_3) | instskip(NEXT) | instid1(VALU_DEP_3)
	v_lshl_add_u32 v5, v13, 23, v5
	v_cmp_lt_i16_e64 s13, -1, v116
	s_delay_alu instid0(VALU_DEP_2) | instskip(NEXT) | instid1(VALU_DEP_2)
	v_lshl_or_b32 v5, v12, 21, v5
	v_cndmask_b32_e64 v13, 0xff800000, v112, s13
	v_and_b32_e32 v12, 0x7c, v11
	v_cmp_eq_u32_e64 s13, 0, v9
	s_delay_alu instid0(VALU_DEP_4) | instskip(NEXT) | instid1(VALU_DEP_2)
	v_add_nc_u32_e32 v5, 0x38000000, v5
	v_cndmask_b32_e64 v9, 0x7f800001, v13, s13
	s_delay_alu instid0(VALU_DEP_4) | instskip(NEXT) | instid1(VALU_DEP_1)
	v_cmp_eq_u32_e64 s13, 0x7c, v12
	v_cndmask_b32_e64 v9, v5, v9, s13
.LBB4_2072:                             ;   in Loop: Header=BB4_1642 Depth=4
	s_or_b32 exec_lo, exec_lo, s14
	s_delay_alu instid0(VALU_DEP_1) | instskip(SKIP_2) | instid1(VALU_DEP_2)
	v_dual_mul_f32 v13, v8, v9 :: v_dual_mov_b32 v117, v3
	v_mov_b32_e32 v9, v3
                                        ; implicit-def: $vgpr12
	s_mov_b32 s14, exec_lo
	v_and_b32_e32 v116, 0x7f800000, v13
	v_and_b32_e32 v8, 0x7fffff, v13
	v_lshrrev_b32_e32 v5, 24, v13
	s_delay_alu instid0(VALU_DEP_3)
	v_cmpx_ne_u64_e32 0x7f800000, v[116:117]
	s_xor_b32 s73, exec_lo, s14
	s_cbranch_execz .LBB4_2086
; %bb.2073:                             ;   in Loop: Header=BB4_1642 Depth=4
	v_and_b32_e32 v116, 0x7fffffff, v13
	v_mov_b32_e32 v117, v3
	v_and_b32_e32 v5, 0x80, v5
                                        ; implicit-def: $vgpr12
	s_mov_b32 s14, exec_lo
	s_delay_alu instid0(VALU_DEP_2)
	v_cmpx_gt_u64_e32 0x47600001, v[116:117]
	s_xor_b32 s74, exec_lo, s14
	s_cbranch_execz .LBB4_2083
; %bb.2074:                             ;   in Loop: Header=BB4_1642 Depth=4
	v_mov_b32_e32 v12, 0
	s_mov_b32 s75, exec_lo
	v_cmpx_ne_u32_e32 0, v13
	s_cbranch_execz .LBB4_2082
; %bb.2075:                             ;   in Loop: Header=BB4_1642 Depth=4
	v_bfe_u32 v116, v13, 23, 8
	v_or_b32_e32 v43, 0x800000, v8
	s_delay_alu instid0(VALU_DEP_2) | instskip(SKIP_1) | instid1(VALU_DEP_1)
	v_sub_nc_u32_e32 v12, 0x71, v116
	v_cmp_gt_u32_e64 s13, 0x72, v116
	v_cndmask_b32_e64 v12, 0, v12, s13
	v_cmp_eq_u32_e64 s13, 0, v116
	s_delay_alu instid0(VALU_DEP_1) | instskip(NEXT) | instid1(VALU_DEP_1)
	v_cndmask_b32_e64 v117, v12, 0x70, s13
	v_dual_cndmask_b32 v8, v43, v8, s13 :: v_dual_add_nc_u32 v12, 21, v117
	v_add_nc_u32_e32 v58, 20, v117
	s_delay_alu instid0(VALU_DEP_2) | instskip(NEXT) | instid1(VALU_DEP_2)
	v_lshlrev_b64_e64 v[12:13], v12, -1
	v_lshlrev_b64_e64 v[58:59], v58, 1
	s_delay_alu instid0(VALU_DEP_2) | instskip(SKIP_1) | instid1(VALU_DEP_4)
	v_bfi_b32 v12, v12, 0, v8
	v_lshrrev_b64 v[8:9], v117, v[8:9]
	v_bfi_b32 v13, v13, 0, 0
	s_delay_alu instid0(VALU_DEP_1) | instskip(NEXT) | instid1(VALU_DEP_3)
	v_cmp_eq_u64_e64 s14, v[12:13], v[58:59]
	v_mov_b64_e32 v[12:13], v[8:9]
	s_and_saveexec_b32 s76, s14
; %bb.2076:                             ;   in Loop: Header=BB4_1642 Depth=4
	v_bfe_u32 v12, v8, 21, 1
	v_mov_b32_e32 v13, v3
	s_delay_alu instid0(VALU_DEP_1) | instskip(NEXT) | instid1(VALU_DEP_1)
	v_add_nc_u64_e32 v[12:13], v[8:9], v[12:13]
	v_add_nc_u64_e32 v[12:13], -1, v[12:13]
; %bb.2077:                             ;   in Loop: Header=BB4_1642 Depth=4
	s_or_b32 exec_lo, exec_lo, s76
	v_add_nc_u32_e32 v9, 0xffffff81, v116
	v_lshrrev_b32_e32 v13, 23, v8
	s_mov_b32 s14, exec_lo
	s_delay_alu instid0(VALU_DEP_2) | instskip(NEXT) | instid1(VALU_DEP_1)
	v_cndmask_b32_e64 v9, v9, 0xffffff82, s13
	v_add3_u32 v13, v117, v9, v13
	v_and_b32_e32 v9, 0x1fffff, v12
                                        ; implicit-def: $vgpr12
	s_delay_alu instid0(VALU_DEP_1) | instskip(SKIP_1) | instid1(VALU_DEP_2)
	v_dual_add_nc_u32 v116, 14, v13 :: v_dual_add_nc_u32 v8, v9, v8
	v_mov_b32_e32 v9, v3
	v_cmpx_ne_u32_e32 0, v116
	s_xor_b32 s14, exec_lo, s14
; %bb.2078:                             ;   in Loop: Header=BB4_1642 Depth=4
	s_delay_alu instid0(VALU_DEP_2) | instskip(SKIP_1) | instid1(VALU_DEP_2)
	v_cmp_lt_u64_e64 s13, 0xffffff, v[8:9]
	v_add_nc_u32_e32 v12, 15, v13
	v_cndmask_b32_e64 v13, 0, 1, s13
	s_delay_alu instid0(VALU_DEP_2) | instskip(NEXT) | instid1(VALU_DEP_2)
	v_cndmask_b32_e64 v12, v116, v12, s13
	v_lshrrev_b64 v[8:9], v13, v[8:9]
; %bb.2079:                             ;   in Loop: Header=BB4_1642 Depth=4
	s_and_not1_saveexec_b32 s13, s14
; %bb.2080:                             ;   in Loop: Header=BB4_1642 Depth=4
	s_delay_alu instid0(VALU_DEP_1)
	v_bfe_u32 v12, v8, 23, 1
; %bb.2081:                             ;   in Loop: Header=BB4_1642 Depth=4
	s_or_b32 exec_lo, exec_lo, s13
	s_delay_alu instid0(VALU_DEP_2) | instskip(NEXT) | instid1(VALU_DEP_2)
	v_lshrrev_b64 v[8:9], 21, v[8:9]
	v_cmp_gt_i32_e64 s13, 32, v12
	v_min_i32_e32 v13, 31, v12
	v_cmp_eq_u32_e64 s14, 0, v12
	s_delay_alu instid0(VALU_DEP_3) | instskip(NEXT) | instid1(VALU_DEP_3)
	v_cndmask_b32_e64 v9, 0, v9, s13
	v_dual_lshlrev_b32 v13, 2, v13 :: v_dual_cndmask_b32 v8, 3, v8, s13
	s_delay_alu instid0(VALU_DEP_1) | instskip(NEXT) | instid1(VALU_DEP_2)
	v_and_b32_e32 v13, 0xfc, v13
	v_cmp_eq_u64_e64 s13, 0, v[8:9]
	s_delay_alu instid0(VALU_DEP_2)
	v_and_or_b32 v8, v8, 3, v13
	s_and_b32 s13, s14, s13
	s_delay_alu instid0(VALU_DEP_1) | instid1(SALU_CYCLE_1)
	v_cndmask_b32_e64 v8, v8, 0, s13
	s_delay_alu instid0(VALU_DEP_1)
	v_or_b32_e32 v12, v8, v5
.LBB4_2082:                             ;   in Loop: Header=BB4_1642 Depth=4
	s_or_b32 exec_lo, exec_lo, s75
                                        ; implicit-def: $vgpr5
.LBB4_2083:                             ;   in Loop: Header=BB4_1642 Depth=4
	s_and_not1_saveexec_b32 s13, s74
; %bb.2084:                             ;   in Loop: Header=BB4_1642 Depth=4
	v_or_b32_e32 v12, 0x7b, v5
; %bb.2085:                             ;   in Loop: Header=BB4_1642 Depth=4
	s_or_b32 exec_lo, exec_lo, s13
                                        ; implicit-def: $vgpr13
                                        ; implicit-def: $vgpr8_vgpr9
                                        ; implicit-def: $vgpr5
.LBB4_2086:                             ;   in Loop: Header=BB4_1642 Depth=4
	s_and_not1_saveexec_b32 s14, s73
	s_cbranch_execz .LBB4_2092
; %bb.2087:                             ;   in Loop: Header=BB4_1642 Depth=4
	v_cmp_ne_u64_e64 s13, 0, v[8:9]
                                        ; implicit-def: $vgpr12
	s_and_saveexec_b32 s73, s13
	s_delay_alu instid0(SALU_CYCLE_1)
	s_xor_b32 s13, exec_lo, s73
; %bb.2088:                             ;   in Loop: Header=BB4_1642 Depth=4
	v_or_b32_e32 v12, 0x7f, v5
                                        ; implicit-def: $vgpr13
; %bb.2089:                             ;   in Loop: Header=BB4_1642 Depth=4
	s_and_not1_saveexec_b32 s73, s13
; %bb.2090:                             ;   in Loop: Header=BB4_1642 Depth=4
	v_cmp_lt_i32_e64 s13, -1, v13
	s_delay_alu instid0(VALU_DEP_1)
	v_cndmask_b32_e64 v12, 0xfc, v113, s13
; %bb.2091:                             ;   in Loop: Header=BB4_1642 Depth=4
	s_or_b32 exec_lo, exec_lo, s73
.LBB4_2092:                             ;   in Loop: Header=BB4_1642 Depth=4
	s_delay_alu instid0(SALU_CYCLE_1) | instskip(SKIP_3) | instid1(VALU_DEP_2)
	s_or_b32 exec_lo, exec_lo, s14
	v_lshrrev_b16 v8, 8, v2
	v_mov_b32_e32 v5, 0
	s_mov_b32 s14, exec_lo
	v_cmpx_ne_u16_e32 0, v8
	s_cbranch_execz .LBB4_2102
; %bb.2093:                             ;   in Loop: Header=BB4_1642 Depth=4
	v_bfrev_b32_e32 v5, 1
	s_mov_b32 s73, exec_lo
	v_cmpx_ne_u16_e32 0x80, v8
	s_cbranch_execz .LBB4_2101
; %bb.2094:                             ;   in Loop: Header=BB4_1642 Depth=4
	v_and_b32_e32 v13, 0xffff, v8
	s_delay_alu instid0(VALU_DEP_1) | instskip(SKIP_1) | instid1(VALU_DEP_2)
	v_and_b32_e32 v5, 0x7c, v13
	v_and_b32_e32 v9, 3, v13
	v_cmp_ne_u32_e64 s13, 0x7c, v5
                                        ; implicit-def: $vgpr5
	s_and_saveexec_b32 s74, s13
	s_delay_alu instid0(SALU_CYCLE_1)
	s_xor_b32 s74, exec_lo, s74
	s_cbranch_execz .LBB4_2098
; %bb.2095:                             ;   in Loop: Header=BB4_1642 Depth=4
	v_bfe_u32 v5, v13, 2, 5
	s_mov_b32 s75, exec_lo
	s_delay_alu instid0(VALU_DEP_1)
	v_cmpx_eq_u32_e32 0, v5
	s_cbranch_execz .LBB4_2097
; %bb.2096:                             ;   in Loop: Header=BB4_1642 Depth=4
	v_clz_i32_u32_e32 v5, v9
	s_delay_alu instid0(VALU_DEP_1) | instskip(SKIP_1) | instid1(VALU_DEP_2)
	v_min_u32_e32 v5, 32, v5
	v_mov_b32_e32 v9, v3
	v_subrev_nc_u32_e32 v13, 29, v5
	v_sub_nc_u32_e32 v5, 30, v5
	s_delay_alu instid0(VALU_DEP_2) | instskip(NEXT) | instid1(VALU_DEP_1)
	v_lshlrev_b64_e32 v[8:9], v13, v[8:9]
	v_and_b32_e32 v9, 3, v8
.LBB4_2097:                             ;   in Loop: Header=BB4_1642 Depth=4
	s_or_b32 exec_lo, exec_lo, s75
	v_lshlrev_b32_e32 v2, 16, v2
	s_delay_alu instid0(VALU_DEP_1) | instskip(NEXT) | instid1(VALU_DEP_1)
	v_and_b32_e32 v2, 0x80000000, v2
	v_lshl_add_u32 v2, v5, 23, v2
	s_delay_alu instid0(VALU_DEP_1) | instskip(NEXT) | instid1(VALU_DEP_1)
	v_lshl_or_b32 v2, v9, 21, v2
                                        ; implicit-def: $vgpr9
	v_add_nc_u32_e32 v5, 0x38000000, v2
.LBB4_2098:                             ;   in Loop: Header=BB4_1642 Depth=4
	s_and_not1_saveexec_b32 s74, s74
; %bb.2099:                             ;   in Loop: Header=BB4_1642 Depth=4
	v_cmp_lt_i16_e64 s13, -1, v2
	s_delay_alu instid0(VALU_DEP_1) | instskip(SKIP_1) | instid1(VALU_DEP_1)
	v_cndmask_b32_e64 v2, 0xff800000, v112, s13
	v_cmp_eq_u32_e64 s13, 0, v9
	v_cndmask_b32_e64 v5, 0x7f800001, v2, s13
; %bb.2100:                             ;   in Loop: Header=BB4_1642 Depth=4
	s_or_b32 exec_lo, exec_lo, s74
.LBB4_2101:                             ;   in Loop: Header=BB4_1642 Depth=4
	s_delay_alu instid0(SALU_CYCLE_1)
	s_or_b32 exec_lo, exec_lo, s73
.LBB4_2102:                             ;   in Loop: Header=BB4_1642 Depth=4
	s_delay_alu instid0(SALU_CYCLE_1) | instskip(SKIP_3) | instid1(VALU_DEP_1)
	s_or_b32 exec_lo, exec_lo, s14
	v_lshrrev_b16 v2, 8, v4
	s_mov_b32 s73, 0
	s_mov_b32 s14, exec_lo
	v_cmpx_lt_i16_e32 0x7f, v2
	s_xor_b32 s14, exec_lo, s14
	s_cbranch_execz .LBB4_2213
; %bb.2103:                             ;   in Loop: Header=BB4_1642 Depth=4
	s_mov_b32 s73, -1
	s_mov_b32 s74, exec_lo
	v_cmpx_eq_u16_e32 0x80, v2
; %bb.2104:                             ;   in Loop: Header=BB4_1642 Depth=4
	s_xor_b32 s73, exec_lo, -1
; %bb.2105:                             ;   in Loop: Header=BB4_1642 Depth=4
	s_or_b32 exec_lo, exec_lo, s74
	s_delay_alu instid0(SALU_CYCLE_1)
	s_and_b32 s73, s73, exec_lo
	s_or_saveexec_b32 s14, s14
	v_bfrev_b32_e32 v8, 1
	s_xor_b32 exec_lo, exec_lo, s14
	s_cbranch_execnz .LBB4_2214
.LBB4_2106:                             ;   in Loop: Header=BB4_1642 Depth=4
	s_or_b32 exec_lo, exec_lo, s14
	s_and_saveexec_b32 s14, s73
	s_cbranch_execz .LBB4_2108
.LBB4_2107:                             ;   in Loop: Header=BB4_1642 Depth=4
	v_and_b32_e32 v13, 0xffff, v2
	s_delay_alu instid0(VALU_DEP_1) | instskip(NEXT) | instid1(VALU_DEP_1)
	v_and_b32_e32 v116, 3, v13
	v_clz_i32_u32_e32 v8, v116
	s_delay_alu instid0(VALU_DEP_1) | instskip(NEXT) | instid1(VALU_DEP_1)
	v_min_u32_e32 v117, 32, v8
	v_subrev_nc_u32_e32 v8, 29, v117
	s_delay_alu instid0(VALU_DEP_1) | instskip(SKIP_2) | instid1(VALU_DEP_2)
	v_lshlrev_b64_e32 v[8:9], v8, v[2:3]
	v_bfe_u32 v9, v13, 2, 5
	v_dual_lshlrev_b32 v2, 24, v2 :: v_dual_sub_nc_u32 v117, 30, v117
	v_cmp_eq_u32_e64 s13, 0, v9
	s_delay_alu instid0(VALU_DEP_2) | instskip(NEXT) | instid1(VALU_DEP_2)
	v_and_b32_e32 v2, 0x80000000, v2
	v_dual_cndmask_b32 v9, v9, v117, s13 :: v_dual_bitop2_b32 v8, 3, v8 bitop3:0x40
	s_delay_alu instid0(VALU_DEP_1) | instskip(SKIP_1) | instid1(VALU_DEP_3)
	v_cndmask_b32_e64 v8, v116, v8, s13
	v_cmp_lt_i16_e64 s13, -1, v4
	v_lshl_add_u32 v2, v9, 23, v2
	s_delay_alu instid0(VALU_DEP_2) | instskip(SKIP_1) | instid1(VALU_DEP_3)
	v_cndmask_b32_e64 v4, 0xff800000, v112, s13
	v_cmp_eq_u32_e64 s13, 0, v116
	v_lshl_or_b32 v2, v8, 21, v2
	v_and_b32_e32 v8, 0x7c, v13
	s_delay_alu instid0(VALU_DEP_3) | instskip(NEXT) | instid1(VALU_DEP_3)
	v_cndmask_b32_e64 v4, 0x7f800001, v4, s13
	v_add_nc_u32_e32 v2, 0x38000000, v2
	s_delay_alu instid0(VALU_DEP_3) | instskip(NEXT) | instid1(VALU_DEP_1)
	v_cmp_eq_u32_e64 s13, 0x7c, v8
	v_cndmask_b32_e64 v8, v2, v4, s13
.LBB4_2108:                             ;   in Loop: Header=BB4_1642 Depth=4
	s_or_b32 exec_lo, exec_lo, s14
	s_delay_alu instid0(VALU_DEP_1) | instskip(SKIP_1) | instid1(VALU_DEP_1)
	v_dual_mul_f32 v4, v5, v8 :: v_dual_mov_b32 v9, v3
                                        ; implicit-def: $vgpr13
	s_mov_b32 s14, exec_lo
	v_and_b32_e32 v8, 0x7f800000, v4
	v_and_b32_e32 v2, 0x7fffff, v4
	v_lshrrev_b32_e32 v5, 24, v4
	s_delay_alu instid0(VALU_DEP_3)
	v_cmpx_ne_u64_e32 0x7f800000, v[8:9]
	s_xor_b32 s73, exec_lo, s14
	s_cbranch_execz .LBB4_2122
; %bb.2109:                             ;   in Loop: Header=BB4_1642 Depth=4
	v_and_b32_e32 v8, 0x7fffffff, v4
	v_mov_b32_e32 v9, v3
	v_and_b32_e32 v116, 0x80, v5
                                        ; implicit-def: $vgpr13
	s_mov_b32 s14, exec_lo
	s_delay_alu instid0(VALU_DEP_2)
	v_cmpx_gt_u64_e32 0x47600001, v[8:9]
	s_xor_b32 s74, exec_lo, s14
	s_cbranch_execz .LBB4_2119
; %bb.2110:                             ;   in Loop: Header=BB4_1642 Depth=4
	v_mov_b32_e32 v13, 0
	s_mov_b32 s75, exec_lo
	v_cmpx_ne_u32_e32 0, v4
	s_cbranch_execz .LBB4_2118
; %bb.2111:                             ;   in Loop: Header=BB4_1642 Depth=4
	v_bfe_u32 v13, v4, 23, 8
	v_or_b32_e32 v8, 0x800000, v2
	s_delay_alu instid0(VALU_DEP_2) | instskip(SKIP_1) | instid1(VALU_DEP_1)
	v_sub_nc_u32_e32 v4, 0x71, v13
	v_cmp_gt_u32_e64 s13, 0x72, v13
	v_cndmask_b32_e64 v4, 0, v4, s13
	v_cmp_eq_u32_e64 s13, 0, v13
	s_delay_alu instid0(VALU_DEP_1) | instskip(NEXT) | instid1(VALU_DEP_1)
	v_cndmask_b32_e64 v117, v4, 0x70, s13
	v_dual_cndmask_b32 v2, v8, v2, s13 :: v_dual_add_nc_u32 v4, 21, v117
	v_add_nc_u32_e32 v9, 20, v117
	s_delay_alu instid0(VALU_DEP_2) | instskip(NEXT) | instid1(VALU_DEP_2)
	v_lshlrev_b64_e64 v[4:5], v4, -1
	v_lshlrev_b64_e64 v[8:9], v9, 1
	s_delay_alu instid0(VALU_DEP_2) | instskip(NEXT) | instid1(VALU_DEP_3)
	v_bfi_b32 v59, v5, 0, 0
	v_bfi_b32 v58, v4, 0, v2
	v_lshrrev_b64 v[4:5], v117, v[2:3]
	s_delay_alu instid0(VALU_DEP_2) | instskip(NEXT) | instid1(VALU_DEP_2)
	v_cmp_eq_u64_e64 s14, v[58:59], v[8:9]
	v_mov_b64_e32 v[8:9], v[4:5]
	s_and_saveexec_b32 s76, s14
; %bb.2112:                             ;   in Loop: Header=BB4_1642 Depth=4
	v_bfe_u32 v2, v4, 21, 1
	s_delay_alu instid0(VALU_DEP_1) | instskip(NEXT) | instid1(VALU_DEP_1)
	v_add_nc_u64_e32 v[8:9], v[4:5], v[2:3]
	v_add_nc_u64_e32 v[8:9], -1, v[8:9]
; %bb.2113:                             ;   in Loop: Header=BB4_1642 Depth=4
	s_or_b32 exec_lo, exec_lo, s76
	v_add_nc_u32_e32 v2, 0xffffff81, v13
	v_lshrrev_b32_e32 v5, 23, v4
	s_mov_b32 s14, exec_lo
	s_delay_alu instid0(VALU_DEP_2) | instskip(NEXT) | instid1(VALU_DEP_1)
	v_cndmask_b32_e64 v2, v2, 0xffffff82, s13
	v_add3_u32 v9, v117, v2, v5
	v_and_b32_e32 v2, 0x1fffff, v8
                                        ; implicit-def: $vgpr8
	s_delay_alu instid0(VALU_DEP_1) | instskip(NEXT) | instid1(VALU_DEP_1)
	v_dual_add_nc_u32 v13, 14, v9 :: v_dual_add_nc_u32 v2, v2, v4
                                        ; implicit-def: $vgpr4_vgpr5
	v_cmpx_ne_u32_e32 0, v13
	s_xor_b32 s14, exec_lo, s14
; %bb.2114:                             ;   in Loop: Header=BB4_1642 Depth=4
	s_delay_alu instid0(VALU_DEP_2) | instskip(SKIP_1) | instid1(VALU_DEP_1)
	v_cmp_lt_u64_e64 s13, 0xffffff, v[2:3]
	v_add_nc_u32_e32 v4, 15, v9
	v_cndmask_b32_e64 v8, v13, v4, s13
	v_cndmask_b32_e64 v4, 0, 1, s13
	s_delay_alu instid0(VALU_DEP_1)
	v_lshrrev_b64 v[4:5], v4, v[2:3]
; %bb.2115:                             ;   in Loop: Header=BB4_1642 Depth=4
	s_and_not1_saveexec_b32 s13, s14
; %bb.2116:                             ;   in Loop: Header=BB4_1642 Depth=4
	v_mov_b64_e32 v[4:5], v[2:3]
	v_bfe_u32 v8, v2, 23, 1
; %bb.2117:                             ;   in Loop: Header=BB4_1642 Depth=4
	s_or_b32 exec_lo, exec_lo, s13
	s_delay_alu instid0(VALU_DEP_2) | instskip(NEXT) | instid1(VALU_DEP_2)
	v_lshrrev_b64 v[4:5], 21, v[4:5]
	v_cmp_gt_i32_e64 s13, 32, v8
	v_min_i32_e32 v2, 31, v8
	v_cmp_eq_u32_e64 s14, 0, v8
	s_delay_alu instid0(VALU_DEP_2) | instskip(SKIP_1) | instid1(VALU_DEP_2)
	v_dual_cndmask_b32 v5, 0, v5, s13 :: v_dual_lshlrev_b32 v2, 2, v2
	v_cndmask_b32_e64 v4, 3, v4, s13
	v_and_b32_e32 v2, 0xfc, v2
	s_delay_alu instid0(VALU_DEP_2) | instskip(NEXT) | instid1(VALU_DEP_2)
	v_cmp_eq_u64_e64 s13, 0, v[4:5]
	v_and_or_b32 v2, v4, 3, v2
	s_and_b32 s13, s14, s13
	s_delay_alu instid0(VALU_DEP_1) | instid1(SALU_CYCLE_1)
	v_cndmask_b32_e64 v2, v2, 0, s13
	s_delay_alu instid0(VALU_DEP_1)
	v_or_b32_e32 v13, v2, v116
.LBB4_2118:                             ;   in Loop: Header=BB4_1642 Depth=4
	s_or_b32 exec_lo, exec_lo, s75
                                        ; implicit-def: $vgpr116
.LBB4_2119:                             ;   in Loop: Header=BB4_1642 Depth=4
	s_and_not1_saveexec_b32 s13, s74
; %bb.2120:                             ;   in Loop: Header=BB4_1642 Depth=4
	v_or_b32_e32 v13, 0x7b, v116
; %bb.2121:                             ;   in Loop: Header=BB4_1642 Depth=4
	s_or_b32 exec_lo, exec_lo, s13
                                        ; implicit-def: $vgpr4
                                        ; implicit-def: $vgpr5
.LBB4_2122:                             ;   in Loop: Header=BB4_1642 Depth=4
	s_and_not1_saveexec_b32 s14, s73
	s_cbranch_execz .LBB4_2128
; %bb.2123:                             ;   in Loop: Header=BB4_1642 Depth=4
	v_cmp_ne_u64_e64 s13, 0, v[2:3]
                                        ; implicit-def: $vgpr13
	s_and_saveexec_b32 s73, s13
	s_delay_alu instid0(SALU_CYCLE_1)
	s_xor_b32 s13, exec_lo, s73
; %bb.2124:                             ;   in Loop: Header=BB4_1642 Depth=4
	v_or_b32_e32 v13, 0x7f, v5
                                        ; implicit-def: $vgpr4
; %bb.2125:                             ;   in Loop: Header=BB4_1642 Depth=4
	s_and_not1_saveexec_b32 s73, s13
; %bb.2126:                             ;   in Loop: Header=BB4_1642 Depth=4
	v_cmp_lt_i32_e64 s13, -1, v4
	s_delay_alu instid0(VALU_DEP_1)
	v_cndmask_b32_e64 v13, 0xfc, v113, s13
; %bb.2127:                             ;   in Loop: Header=BB4_1642 Depth=4
	s_or_b32 exec_lo, exec_lo, s73
.LBB4_2128:                             ;   in Loop: Header=BB4_1642 Depth=4
	s_delay_alu instid0(SALU_CYCLE_1) | instskip(SKIP_2) | instid1(VALU_DEP_1)
	s_or_b32 exec_lo, exec_lo, s14
	v_dual_lshrrev_b32 v2, 16, v15 :: v_dual_mov_b32 v4, 0
	s_mov_b32 s14, exec_lo
	v_and_b32_e32 v5, 0xff, v2
	s_delay_alu instid0(VALU_DEP_1)
	v_cmpx_ne_u16_e32 0, v5
	s_cbranch_execz .LBB4_2138
; %bb.2129:                             ;   in Loop: Header=BB4_1642 Depth=4
	v_bfrev_b32_e32 v4, 1
	s_mov_b32 s73, exec_lo
	v_cmpx_ne_u16_e32 0x80, v5
	s_cbranch_execz .LBB4_2137
; %bb.2130:                             ;   in Loop: Header=BB4_1642 Depth=4
	v_and_b32_e32 v4, 0x7c0000, v15
	v_bfe_u32 v5, v15, 16, 2
	s_delay_alu instid0(VALU_DEP_2) | instskip(SKIP_1) | instid1(SALU_CYCLE_1)
	v_cmp_ne_u32_e64 s13, 0x7c0000, v4
                                        ; implicit-def: $vgpr4
	s_and_saveexec_b32 s74, s13
	s_xor_b32 s74, exec_lo, s74
	s_cbranch_execz .LBB4_2134
; %bb.2131:                             ;   in Loop: Header=BB4_1642 Depth=4
	v_bfe_u32 v4, v15, 18, 5
	s_mov_b32 s75, exec_lo
	s_delay_alu instid0(VALU_DEP_1)
	v_cmpx_eq_u32_e32 0, v4
; %bb.2132:                             ;   in Loop: Header=BB4_1642 Depth=4
	v_clz_i32_u32_e32 v4, v5
	s_delay_alu instid0(VALU_DEP_1) | instskip(NEXT) | instid1(VALU_DEP_1)
	v_min_u32_e32 v4, 32, v4
	v_subrev_nc_u32_e32 v5, 29, v4
	v_sub_nc_u32_e32 v4, 30, v4
	s_delay_alu instid0(VALU_DEP_2) | instskip(NEXT) | instid1(VALU_DEP_1)
	v_lshlrev_b64_e32 v[8:9], v5, v[2:3]
	v_and_b32_e32 v5, 3, v8
; %bb.2133:                             ;   in Loop: Header=BB4_1642 Depth=4
	s_or_b32 exec_lo, exec_lo, s75
	v_lshlrev_b32_e32 v2, 24, v2
	s_delay_alu instid0(VALU_DEP_1) | instskip(NEXT) | instid1(VALU_DEP_1)
	v_and_b32_e32 v2, 0x80000000, v2
	v_lshl_add_u32 v2, v4, 23, v2
	s_delay_alu instid0(VALU_DEP_1) | instskip(NEXT) | instid1(VALU_DEP_1)
	v_lshl_or_b32 v2, v5, 21, v2
                                        ; implicit-def: $vgpr5
	v_add_nc_u32_e32 v4, 0x38000000, v2
                                        ; implicit-def: $vgpr2
.LBB4_2134:                             ;   in Loop: Header=BB4_1642 Depth=4
	s_and_not1_saveexec_b32 s74, s74
; %bb.2135:                             ;   in Loop: Header=BB4_1642 Depth=4
	v_bfe_i32 v2, v2, 0, 8
	s_delay_alu instid0(VALU_DEP_1) | instskip(NEXT) | instid1(VALU_DEP_1)
	v_cmp_lt_i16_e64 s13, -1, v2
	v_cndmask_b32_e64 v2, 0xff800000, v112, s13
	v_cmp_eq_u32_e64 s13, 0, v5
	s_delay_alu instid0(VALU_DEP_1)
	v_cndmask_b32_e64 v4, 0x7f800001, v2, s13
; %bb.2136:                             ;   in Loop: Header=BB4_1642 Depth=4
	s_or_b32 exec_lo, exec_lo, s74
.LBB4_2137:                             ;   in Loop: Header=BB4_1642 Depth=4
	s_delay_alu instid0(SALU_CYCLE_1)
	s_or_b32 exec_lo, exec_lo, s73
.LBB4_2138:                             ;   in Loop: Header=BB4_1642 Depth=4
	s_delay_alu instid0(SALU_CYCLE_1) | instskip(SKIP_3) | instid1(VALU_DEP_1)
	s_or_b32 exec_lo, exec_lo, s14
	v_lshrrev_b32_e32 v2, 16, v11
	s_mov_b32 s73, 0
	s_mov_b32 s14, exec_lo
	v_and_b32_e32 v8, 0xff, v2
	s_delay_alu instid0(VALU_DEP_1)
	v_cmpx_lt_i16_e32 0x7f, v8
	s_xor_b32 s14, exec_lo, s14
	s_cbranch_execz .LBB4_2215
; %bb.2139:                             ;   in Loop: Header=BB4_1642 Depth=4
	s_mov_b32 s73, -1
	s_mov_b32 s74, exec_lo
	v_cmpx_eq_u16_e32 0x80, v8
; %bb.2140:                             ;   in Loop: Header=BB4_1642 Depth=4
	s_xor_b32 s73, exec_lo, -1
; %bb.2141:                             ;   in Loop: Header=BB4_1642 Depth=4
	s_or_b32 exec_lo, exec_lo, s74
	s_delay_alu instid0(SALU_CYCLE_1)
	s_and_b32 s73, s73, exec_lo
                                        ; implicit-def: $vgpr8
	s_or_saveexec_b32 s14, s14
	v_bfrev_b32_e32 v5, 1
	s_xor_b32 exec_lo, exec_lo, s14
	s_cbranch_execnz .LBB4_2216
.LBB4_2142:                             ;   in Loop: Header=BB4_1642 Depth=4
	s_or_b32 exec_lo, exec_lo, s14
	s_and_saveexec_b32 s14, s73
	s_cbranch_execz .LBB4_2144
.LBB4_2143:                             ;   in Loop: Header=BB4_1642 Depth=4
	v_and_b32_e32 v5, 3, v2
	v_bfe_u32 v117, v11, 18, 5
	s_delay_alu instid0(VALU_DEP_2) | instskip(NEXT) | instid1(VALU_DEP_2)
	v_clz_i32_u32_e32 v8, v5
	v_cmp_eq_u32_e64 s13, 0, v117
	s_delay_alu instid0(VALU_DEP_2) | instskip(NEXT) | instid1(VALU_DEP_1)
	v_min_u32_e32 v116, 32, v8
	v_subrev_nc_u32_e32 v8, 29, v116
	v_sub_nc_u32_e32 v116, 30, v116
	s_delay_alu instid0(VALU_DEP_2) | instskip(NEXT) | instid1(VALU_DEP_2)
	v_lshlrev_b64_e32 v[8:9], v8, v[2:3]
	v_dual_lshlrev_b32 v9, 24, v2 :: v_dual_cndmask_b32 v116, v117, v116, s13
	v_bfe_i32 v2, v2, 0, 8
	s_delay_alu instid0(VALU_DEP_2) | instskip(NEXT) | instid1(VALU_DEP_4)
	v_and_b32_e32 v9, 0x80000000, v9
	v_and_b32_e32 v8, 3, v8
	s_delay_alu instid0(VALU_DEP_2) | instskip(NEXT) | instid1(VALU_DEP_2)
	v_lshl_add_u32 v9, v116, 23, v9
	v_cndmask_b32_e64 v8, v5, v8, s13
	v_cmp_lt_i16_e64 s13, -1, v2
	s_delay_alu instid0(VALU_DEP_2) | instskip(NEXT) | instid1(VALU_DEP_2)
	v_lshl_or_b32 v8, v8, 21, v9
	v_cndmask_b32_e64 v2, 0xff800000, v112, s13
	v_and_b32_e32 v9, 0x7c0000, v11
	v_cmp_eq_u32_e64 s13, 0, v5
	s_delay_alu instid0(VALU_DEP_4) | instskip(NEXT) | instid1(VALU_DEP_2)
	v_add_nc_u32_e32 v5, 0x38000000, v8
	v_cndmask_b32_e64 v2, 0x7f800001, v2, s13
	s_delay_alu instid0(VALU_DEP_4) | instskip(NEXT) | instid1(VALU_DEP_1)
	v_cmp_eq_u32_e64 s13, 0x7c0000, v9
	v_cndmask_b32_e64 v5, v5, v2, s13
.LBB4_2144:                             ;   in Loop: Header=BB4_1642 Depth=4
	s_or_b32 exec_lo, exec_lo, s14
	s_delay_alu instid0(VALU_DEP_1) | instskip(SKIP_1) | instid1(VALU_DEP_1)
	v_dual_mul_f32 v4, v4, v5 :: v_dual_mov_b32 v9, v3
                                        ; implicit-def: $vgpr116
	s_mov_b32 s14, exec_lo
	v_and_b32_e32 v8, 0x7f800000, v4
	v_and_b32_e32 v2, 0x7fffff, v4
	v_lshrrev_b32_e32 v5, 24, v4
	s_delay_alu instid0(VALU_DEP_3)
	v_cmpx_ne_u64_e32 0x7f800000, v[8:9]
	s_xor_b32 s73, exec_lo, s14
	s_cbranch_execz .LBB4_2158
; %bb.2145:                             ;   in Loop: Header=BB4_1642 Depth=4
	v_and_b32_e32 v8, 0x7fffffff, v4
	v_mov_b32_e32 v9, v3
	v_and_b32_e32 v117, 0x80, v5
                                        ; implicit-def: $vgpr116
	s_mov_b32 s14, exec_lo
	s_delay_alu instid0(VALU_DEP_2)
	v_cmpx_gt_u64_e32 0x47600001, v[8:9]
	s_xor_b32 s74, exec_lo, s14
	s_cbranch_execz .LBB4_2155
; %bb.2146:                             ;   in Loop: Header=BB4_1642 Depth=4
	v_mov_b32_e32 v116, 0
	s_mov_b32 s75, exec_lo
	v_cmpx_ne_u32_e32 0, v4
	s_cbranch_execz .LBB4_2154
; %bb.2147:                             ;   in Loop: Header=BB4_1642 Depth=4
	v_bfe_u32 v116, v4, 23, 8
	v_or_b32_e32 v8, 0x800000, v2
	s_delay_alu instid0(VALU_DEP_2) | instskip(SKIP_1) | instid1(VALU_DEP_1)
	v_sub_nc_u32_e32 v4, 0x71, v116
	v_cmp_gt_u32_e64 s13, 0x72, v116
	v_cndmask_b32_e64 v4, 0, v4, s13
	v_cmp_eq_u32_e64 s13, 0, v116
	s_delay_alu instid0(VALU_DEP_1) | instskip(NEXT) | instid1(VALU_DEP_1)
	v_cndmask_b32_e64 v43, v4, 0x70, s13
	v_dual_cndmask_b32 v2, v8, v2, s13 :: v_dual_add_nc_u32 v4, 21, v43
	v_add_nc_u32_e32 v9, 20, v43
	s_delay_alu instid0(VALU_DEP_2) | instskip(NEXT) | instid1(VALU_DEP_2)
	v_lshlrev_b64_e64 v[4:5], v4, -1
	v_lshlrev_b64_e64 v[8:9], v9, 1
	s_delay_alu instid0(VALU_DEP_2) | instskip(NEXT) | instid1(VALU_DEP_3)
	v_bfi_b32 v59, v5, 0, 0
	v_bfi_b32 v58, v4, 0, v2
	v_lshrrev_b64 v[4:5], v43, v[2:3]
	s_delay_alu instid0(VALU_DEP_2) | instskip(NEXT) | instid1(VALU_DEP_2)
	v_cmp_eq_u64_e64 s14, v[58:59], v[8:9]
	v_mov_b64_e32 v[8:9], v[4:5]
	s_and_saveexec_b32 s76, s14
; %bb.2148:                             ;   in Loop: Header=BB4_1642 Depth=4
	v_bfe_u32 v2, v4, 21, 1
	s_delay_alu instid0(VALU_DEP_1) | instskip(NEXT) | instid1(VALU_DEP_1)
	v_add_nc_u64_e32 v[8:9], v[4:5], v[2:3]
	v_add_nc_u64_e32 v[8:9], -1, v[8:9]
; %bb.2149:                             ;   in Loop: Header=BB4_1642 Depth=4
	s_or_b32 exec_lo, exec_lo, s76
	v_add_nc_u32_e32 v2, 0xffffff81, v116
	v_lshrrev_b32_e32 v5, 23, v4
	s_mov_b32 s14, exec_lo
	s_delay_alu instid0(VALU_DEP_2) | instskip(NEXT) | instid1(VALU_DEP_1)
	v_cndmask_b32_e64 v2, v2, 0xffffff82, s13
	v_add3_u32 v9, v43, v2, v5
	v_and_b32_e32 v2, 0x1fffff, v8
                                        ; implicit-def: $vgpr8
	s_delay_alu instid0(VALU_DEP_1) | instskip(NEXT) | instid1(VALU_DEP_1)
	v_dual_add_nc_u32 v116, 14, v9 :: v_dual_add_nc_u32 v2, v2, v4
                                        ; implicit-def: $vgpr4_vgpr5
	v_cmpx_ne_u32_e32 0, v116
	s_xor_b32 s14, exec_lo, s14
; %bb.2150:                             ;   in Loop: Header=BB4_1642 Depth=4
	s_delay_alu instid0(VALU_DEP_2) | instskip(SKIP_1) | instid1(VALU_DEP_1)
	v_cmp_lt_u64_e64 s13, 0xffffff, v[2:3]
	v_add_nc_u32_e32 v4, 15, v9
	v_cndmask_b32_e64 v8, v116, v4, s13
	v_cndmask_b32_e64 v4, 0, 1, s13
	s_delay_alu instid0(VALU_DEP_1)
	v_lshrrev_b64 v[4:5], v4, v[2:3]
; %bb.2151:                             ;   in Loop: Header=BB4_1642 Depth=4
	s_and_not1_saveexec_b32 s13, s14
; %bb.2152:                             ;   in Loop: Header=BB4_1642 Depth=4
	v_mov_b64_e32 v[4:5], v[2:3]
	v_bfe_u32 v8, v2, 23, 1
; %bb.2153:                             ;   in Loop: Header=BB4_1642 Depth=4
	s_or_b32 exec_lo, exec_lo, s13
	s_delay_alu instid0(VALU_DEP_2) | instskip(NEXT) | instid1(VALU_DEP_2)
	v_lshrrev_b64 v[4:5], 21, v[4:5]
	v_cmp_gt_i32_e64 s13, 32, v8
	v_min_i32_e32 v2, 31, v8
	v_cmp_eq_u32_e64 s14, 0, v8
	s_delay_alu instid0(VALU_DEP_2) | instskip(SKIP_1) | instid1(VALU_DEP_2)
	v_dual_cndmask_b32 v5, 0, v5, s13 :: v_dual_lshlrev_b32 v2, 2, v2
	v_cndmask_b32_e64 v4, 3, v4, s13
	v_and_b32_e32 v2, 0xfc, v2
	s_delay_alu instid0(VALU_DEP_2) | instskip(NEXT) | instid1(VALU_DEP_2)
	v_cmp_eq_u64_e64 s13, 0, v[4:5]
	v_and_or_b32 v2, v4, 3, v2
	s_and_b32 s13, s14, s13
	s_delay_alu instid0(VALU_DEP_1) | instid1(SALU_CYCLE_1)
	v_cndmask_b32_e64 v2, v2, 0, s13
	s_delay_alu instid0(VALU_DEP_1)
	v_or_b32_e32 v116, v2, v117
.LBB4_2154:                             ;   in Loop: Header=BB4_1642 Depth=4
	s_or_b32 exec_lo, exec_lo, s75
                                        ; implicit-def: $vgpr117
.LBB4_2155:                             ;   in Loop: Header=BB4_1642 Depth=4
	s_and_not1_saveexec_b32 s13, s74
; %bb.2156:                             ;   in Loop: Header=BB4_1642 Depth=4
	v_or_b32_e32 v116, 0x7b, v117
; %bb.2157:                             ;   in Loop: Header=BB4_1642 Depth=4
	s_or_b32 exec_lo, exec_lo, s13
                                        ; implicit-def: $vgpr4
                                        ; implicit-def: $vgpr5
.LBB4_2158:                             ;   in Loop: Header=BB4_1642 Depth=4
	s_and_not1_saveexec_b32 s14, s73
	s_cbranch_execz .LBB4_2164
; %bb.2159:                             ;   in Loop: Header=BB4_1642 Depth=4
	v_cmp_ne_u64_e64 s13, 0, v[2:3]
                                        ; implicit-def: $vgpr116
	s_and_saveexec_b32 s73, s13
	s_delay_alu instid0(SALU_CYCLE_1)
	s_xor_b32 s13, exec_lo, s73
; %bb.2160:                             ;   in Loop: Header=BB4_1642 Depth=4
	v_or_b32_e32 v116, 0x7f, v5
                                        ; implicit-def: $vgpr4
; %bb.2161:                             ;   in Loop: Header=BB4_1642 Depth=4
	s_and_not1_saveexec_b32 s73, s13
; %bb.2162:                             ;   in Loop: Header=BB4_1642 Depth=4
	v_cmp_lt_i32_e64 s13, -1, v4
	s_delay_alu instid0(VALU_DEP_1)
	v_cndmask_b32_e64 v116, 0xfc, v113, s13
; %bb.2163:                             ;   in Loop: Header=BB4_1642 Depth=4
	s_or_b32 exec_lo, exec_lo, s73
.LBB4_2164:                             ;   in Loop: Header=BB4_1642 Depth=4
	s_delay_alu instid0(SALU_CYCLE_1)
	s_or_b32 exec_lo, exec_lo, s14
	v_mov_b32_e32 v4, 0
	s_mov_b32 s14, exec_lo
	v_cmpx_lt_u64_e64 s[22:23], v[14:15]
	s_cbranch_execz .LBB4_2174
; %bb.2165:                             ;   in Loop: Header=BB4_1642 Depth=4
	v_lshrrev_b32_e32 v2, 24, v15
	v_bfrev_b32_e32 v4, 1
	s_mov_b32 s73, exec_lo
	s_delay_alu instid0(VALU_DEP_2)
	v_cmpx_ne_u32_e32 0x80, v2
	s_cbranch_execz .LBB4_2173
; %bb.2166:                             ;   in Loop: Header=BB4_1642 Depth=4
	v_and_b32_e32 v4, 0x7c000000, v15
	v_bfe_u32 v5, v15, 24, 2
	s_delay_alu instid0(VALU_DEP_2) | instskip(SKIP_1) | instid1(SALU_CYCLE_1)
	v_cmp_ne_u32_e64 s13, 0x7c000000, v4
                                        ; implicit-def: $vgpr4
	s_and_saveexec_b32 s74, s13
	s_xor_b32 s74, exec_lo, s74
	s_cbranch_execz .LBB4_2170
; %bb.2167:                             ;   in Loop: Header=BB4_1642 Depth=4
	v_bfe_u32 v4, v15, 26, 5
	s_mov_b32 s75, exec_lo
	s_delay_alu instid0(VALU_DEP_1)
	v_cmpx_eq_u32_e32 0, v4
; %bb.2168:                             ;   in Loop: Header=BB4_1642 Depth=4
	v_clz_i32_u32_e32 v4, v5
	s_delay_alu instid0(VALU_DEP_1) | instskip(NEXT) | instid1(VALU_DEP_1)
	v_min_u32_e32 v4, 32, v4
	v_subrev_nc_u32_e32 v5, 29, v4
	v_sub_nc_u32_e32 v4, 30, v4
	s_delay_alu instid0(VALU_DEP_2) | instskip(NEXT) | instid1(VALU_DEP_1)
	v_lshlrev_b64_e32 v[8:9], v5, v[2:3]
	v_and_b32_e32 v5, 3, v8
; %bb.2169:                             ;   in Loop: Header=BB4_1642 Depth=4
	s_or_b32 exec_lo, exec_lo, s75
	v_and_b32_e32 v2, 0x80000000, v15
                                        ; implicit-def: $vgpr14_vgpr15
	s_delay_alu instid0(VALU_DEP_1) | instskip(NEXT) | instid1(VALU_DEP_1)
	v_lshl_add_u32 v2, v4, 23, v2
	v_lshl_or_b32 v2, v5, 21, v2
                                        ; implicit-def: $vgpr5
	s_delay_alu instid0(VALU_DEP_1)
	v_add_nc_u32_e32 v4, 0x38000000, v2
.LBB4_2170:                             ;   in Loop: Header=BB4_1642 Depth=4
	s_and_not1_saveexec_b32 s74, s74
; %bb.2171:                             ;   in Loop: Header=BB4_1642 Depth=4
	v_cmp_lt_i64_e64 s13, -1, v[14:15]
	s_delay_alu instid0(VALU_DEP_1) | instskip(SKIP_1) | instid1(VALU_DEP_1)
	v_cndmask_b32_e64 v2, 0xff800000, v112, s13
	v_cmp_eq_u32_e64 s13, 0, v5
	v_cndmask_b32_e64 v4, 0x7f800001, v2, s13
; %bb.2172:                             ;   in Loop: Header=BB4_1642 Depth=4
	s_or_b32 exec_lo, exec_lo, s74
.LBB4_2173:                             ;   in Loop: Header=BB4_1642 Depth=4
	s_delay_alu instid0(SALU_CYCLE_1)
	s_or_b32 exec_lo, exec_lo, s73
.LBB4_2174:                             ;   in Loop: Header=BB4_1642 Depth=4
	s_delay_alu instid0(SALU_CYCLE_1) | instskip(SKIP_2) | instid1(VALU_DEP_2)
	s_or_b32 exec_lo, exec_lo, s14
	v_bfe_u32 v5, v11, 24, 2
	v_bfe_u32 v15, v11, 26, 5
	v_clz_i32_u32_e32 v2, v5
	s_delay_alu instid0(VALU_DEP_2) | instskip(NEXT) | instid1(VALU_DEP_2)
	v_cmp_eq_u32_e64 s13, 0, v15
	v_min_u32_e32 v14, 32, v2
	v_lshrrev_b32_e32 v2, 24, v11
	s_delay_alu instid0(VALU_DEP_2) | instskip(NEXT) | instid1(VALU_DEP_1)
	v_subrev_nc_u32_e32 v8, 29, v14
	v_lshlrev_b64_e32 v[8:9], v8, v[2:3]
	v_sub_nc_u32_e32 v9, 30, v14
	v_and_b32_e32 v14, 0x80000000, v11
	s_delay_alu instid0(VALU_DEP_2) | instskip(NEXT) | instid1(VALU_DEP_1)
	v_dual_cndmask_b32 v9, v15, v9, s13 :: v_dual_bitop2_b32 v8, 3, v8 bitop3:0x40
	v_lshl_add_u32 v9, v9, 23, v14
	s_delay_alu instid0(VALU_DEP_2) | instskip(SKIP_1) | instid1(VALU_DEP_2)
	v_cndmask_b32_e64 v8, v5, v8, s13
	v_cmp_lt_i64_e64 s13, -1, v[10:11]
	v_lshl_or_b32 v8, v8, 21, v9
	v_and_b32_e32 v9, 0x7c000000, v11
	s_delay_alu instid0(VALU_DEP_3) | instskip(SKIP_1) | instid1(VALU_DEP_4)
	v_cndmask_b32_e64 v14, 0xff800000, v112, s13
	v_cmp_eq_u32_e64 s13, 0, v5
	v_add_nc_u32_e32 v8, 0x38000000, v8
	s_delay_alu instid0(VALU_DEP_2) | instskip(SKIP_1) | instid1(VALU_DEP_1)
	v_cndmask_b32_e64 v5, 0x7f800001, v14, s13
	v_cmp_eq_u32_e64 s13, 0x7c000000, v9
	v_dual_mov_b32 v9, v3 :: v_dual_cndmask_b32 v5, v8, v5, s13
	v_cmp_ne_u32_e64 s13, 0x80, v2
	s_delay_alu instid0(VALU_DEP_1) | instskip(SKIP_1) | instid1(VALU_DEP_1)
	v_cndmask_b32_e64 v2, 0x80000000, v5, s13
	v_cmp_lt_u64_e64 s13, s[22:23], v[10:11]
	v_cndmask_b32_e64 v2, 0, v2, s13
	s_delay_alu instid0(VALU_DEP_1) | instskip(NEXT) | instid1(VALU_DEP_1)
	v_mul_f32_e32 v5, v2, v4
                                        ; implicit-def: $vgpr4
	v_and_b32_e32 v8, 0x7f800000, v5
	v_and_b32_e32 v2, 0x7fffff, v5
	s_delay_alu instid0(VALU_DEP_2) | instskip(SKIP_2) | instid1(SALU_CYCLE_1)
	v_cmp_ne_u64_e64 s13, 0x7f800000, v[8:9]
	v_lshrrev_b32_e32 v8, 24, v5
	s_and_saveexec_b32 s14, s13
	s_xor_b32 s73, exec_lo, s14
	s_cbranch_execz .LBB4_2188
; %bb.2175:                             ;   in Loop: Header=BB4_1642 Depth=4
	v_and_b32_e32 v10, 0x7fffffff, v5
	v_mov_b32_e32 v11, v3
                                        ; implicit-def: $vgpr4
	s_delay_alu instid0(VALU_DEP_1) | instskip(SKIP_2) | instid1(SALU_CYCLE_1)
	v_cmp_gt_u64_e64 s13, 0x47600001, v[10:11]
	v_and_b32_e32 v10, 0x80, v8
	s_and_saveexec_b32 s14, s13
	s_xor_b32 s74, exec_lo, s14
	s_cbranch_execz .LBB4_2185
; %bb.2176:                             ;   in Loop: Header=BB4_1642 Depth=4
	v_mov_b32_e32 v4, 0
	s_mov_b32 s75, exec_lo
	v_cmpx_ne_u32_e32 0, v5
	s_cbranch_execz .LBB4_2184
; %bb.2177:                             ;   in Loop: Header=BB4_1642 Depth=4
	v_bfe_u32 v11, v5, 23, 8
	v_or_b32_e32 v8, 0x800000, v2
	s_delay_alu instid0(VALU_DEP_2) | instskip(SKIP_1) | instid1(VALU_DEP_1)
	v_sub_nc_u32_e32 v4, 0x71, v11
	v_cmp_gt_u32_e64 s13, 0x72, v11
	v_cndmask_b32_e64 v4, 0, v4, s13
	v_cmp_eq_u32_e64 s13, 0, v11
	s_delay_alu instid0(VALU_DEP_1) | instskip(SKIP_1) | instid1(VALU_DEP_2)
	v_cndmask_b32_e64 v14, v4, 0x70, s13
	v_cndmask_b32_e64 v2, v8, v2, s13
	v_dual_add_nc_u32 v4, 21, v14 :: v_dual_add_nc_u32 v9, 20, v14
	s_delay_alu instid0(VALU_DEP_1) | instskip(NEXT) | instid1(VALU_DEP_2)
	v_lshlrev_b64_e64 v[4:5], v4, -1
	v_lshlrev_b64_e64 v[8:9], v9, 1
	s_delay_alu instid0(VALU_DEP_2) | instskip(NEXT) | instid1(VALU_DEP_3)
	v_bfi_b32 v59, v5, 0, 0
	v_bfi_b32 v58, v4, 0, v2
	v_lshrrev_b64 v[4:5], v14, v[2:3]
	s_delay_alu instid0(VALU_DEP_2) | instskip(NEXT) | instid1(VALU_DEP_2)
	v_cmp_eq_u64_e64 s14, v[58:59], v[8:9]
	v_mov_b64_e32 v[8:9], v[4:5]
	s_and_saveexec_b32 s76, s14
; %bb.2178:                             ;   in Loop: Header=BB4_1642 Depth=4
	v_bfe_u32 v2, v4, 21, 1
	s_delay_alu instid0(VALU_DEP_1) | instskip(NEXT) | instid1(VALU_DEP_1)
	v_add_nc_u64_e32 v[8:9], v[4:5], v[2:3]
	v_add_nc_u64_e32 v[8:9], -1, v[8:9]
; %bb.2179:                             ;   in Loop: Header=BB4_1642 Depth=4
	s_or_b32 exec_lo, exec_lo, s76
	v_add_nc_u32_e32 v2, 0xffffff81, v11
	v_lshrrev_b32_e32 v5, 23, v4
	s_mov_b32 s14, exec_lo
	s_delay_alu instid0(VALU_DEP_2) | instskip(NEXT) | instid1(VALU_DEP_1)
	v_cndmask_b32_e64 v2, v2, 0xffffff82, s13
	v_add3_u32 v9, v14, v2, v5
	v_and_b32_e32 v2, 0x1fffff, v8
                                        ; implicit-def: $vgpr8
	s_delay_alu instid0(VALU_DEP_1) | instskip(NEXT) | instid1(VALU_DEP_1)
	v_dual_add_nc_u32 v11, 14, v9 :: v_dual_add_nc_u32 v2, v2, v4
                                        ; implicit-def: $vgpr4_vgpr5
	v_cmpx_ne_u32_e32 0, v11
	s_xor_b32 s14, exec_lo, s14
; %bb.2180:                             ;   in Loop: Header=BB4_1642 Depth=4
	s_delay_alu instid0(VALU_DEP_2) | instskip(SKIP_1) | instid1(VALU_DEP_1)
	v_cmp_lt_u64_e64 s13, 0xffffff, v[2:3]
	v_add_nc_u32_e32 v4, 15, v9
	v_cndmask_b32_e64 v8, v11, v4, s13
	v_cndmask_b32_e64 v4, 0, 1, s13
	s_delay_alu instid0(VALU_DEP_1)
	v_lshrrev_b64 v[4:5], v4, v[2:3]
; %bb.2181:                             ;   in Loop: Header=BB4_1642 Depth=4
	s_and_not1_saveexec_b32 s13, s14
; %bb.2182:                             ;   in Loop: Header=BB4_1642 Depth=4
	v_mov_b64_e32 v[4:5], v[2:3]
	v_bfe_u32 v8, v2, 23, 1
; %bb.2183:                             ;   in Loop: Header=BB4_1642 Depth=4
	s_or_b32 exec_lo, exec_lo, s13
	s_delay_alu instid0(VALU_DEP_2) | instskip(NEXT) | instid1(VALU_DEP_2)
	v_lshrrev_b64 v[4:5], 21, v[4:5]
	v_cmp_gt_i32_e64 s13, 32, v8
	v_min_i32_e32 v2, 31, v8
	v_cmp_eq_u32_e64 s14, 0, v8
	s_delay_alu instid0(VALU_DEP_2) | instskip(SKIP_1) | instid1(VALU_DEP_2)
	v_dual_cndmask_b32 v5, 0, v5, s13 :: v_dual_lshlrev_b32 v2, 2, v2
	v_cndmask_b32_e64 v4, 3, v4, s13
	v_and_b32_e32 v2, 0xfc, v2
	s_delay_alu instid0(VALU_DEP_2) | instskip(NEXT) | instid1(VALU_DEP_2)
	v_cmp_eq_u64_e64 s13, 0, v[4:5]
	v_and_or_b32 v2, v4, 3, v2
	s_and_b32 s13, s14, s13
	s_delay_alu instid0(VALU_DEP_1) | instid1(SALU_CYCLE_1)
	v_cndmask_b32_e64 v2, v2, 0, s13
	s_delay_alu instid0(VALU_DEP_1)
	v_or_b32_e32 v4, v2, v10
.LBB4_2184:                             ;   in Loop: Header=BB4_1642 Depth=4
	s_or_b32 exec_lo, exec_lo, s75
                                        ; implicit-def: $vgpr10
.LBB4_2185:                             ;   in Loop: Header=BB4_1642 Depth=4
	s_and_not1_saveexec_b32 s13, s74
; %bb.2186:                             ;   in Loop: Header=BB4_1642 Depth=4
	v_or_b32_e32 v4, 0x7b, v10
; %bb.2187:                             ;   in Loop: Header=BB4_1642 Depth=4
	s_or_b32 exec_lo, exec_lo, s13
                                        ; implicit-def: $vgpr5
                                        ; implicit-def: $vgpr8
.LBB4_2188:                             ;   in Loop: Header=BB4_1642 Depth=4
	s_and_not1_saveexec_b32 s14, s73
	s_cbranch_execz .LBB4_1641
; %bb.2189:                             ;   in Loop: Header=BB4_1642 Depth=4
	v_cmp_ne_u64_e64 s13, 0, v[2:3]
                                        ; implicit-def: $vgpr4
	s_and_saveexec_b32 s73, s13
	s_delay_alu instid0(SALU_CYCLE_1)
	s_xor_b32 s13, exec_lo, s73
; %bb.2190:                             ;   in Loop: Header=BB4_1642 Depth=4
	v_or_b32_e32 v4, 0x7f, v8
                                        ; implicit-def: $vgpr5
; %bb.2191:                             ;   in Loop: Header=BB4_1642 Depth=4
	s_and_not1_saveexec_b32 s73, s13
	s_cbranch_execz .LBB4_1640
; %bb.2192:                             ;   in Loop: Header=BB4_1642 Depth=4
	v_cmp_lt_i32_e64 s13, -1, v5
	s_delay_alu instid0(VALU_DEP_1)
	v_cndmask_b32_e64 v4, 0xfc, v113, s13
	s_branch .LBB4_1640
.LBB4_2193:                             ;   in Loop: Header=BB4_1642 Depth=4
	s_or_saveexec_b32 s14, s14
	v_bfrev_b32_e32 v4, 1
	s_xor_b32 exec_lo, exec_lo, s14
	s_cbranch_execz .LBB4_1656
.LBB4_2194:                             ;   in Loop: Header=BB4_1642 Depth=4
	v_cmp_ne_u16_e64 s13, 0, v5
	v_mov_b32_e32 v4, 0
	s_and_not1_b32 s73, s73, exec_lo
	s_and_b32 s13, s13, exec_lo
	s_delay_alu instid0(SALU_CYCLE_1)
	s_or_b32 s73, s73, s13
	s_or_b32 exec_lo, exec_lo, s14
	s_and_saveexec_b32 s14, s73
	s_cbranch_execnz .LBB4_1657
	s_branch .LBB4_1658
.LBB4_2195:                             ;   in Loop: Header=BB4_1642 Depth=4
	s_or_saveexec_b32 s14, s14
	v_bfrev_b32_e32 v5, 1
	s_xor_b32 exec_lo, exec_lo, s14
	s_cbranch_execz .LBB4_1692
.LBB4_2196:                             ;   in Loop: Header=BB4_1642 Depth=4
	v_cmp_ne_u16_e64 s13, 0, v2
	v_mov_b32_e32 v5, 0
	s_and_not1_b32 s73, s73, exec_lo
	s_and_b32 s13, s13, exec_lo
	s_delay_alu instid0(SALU_CYCLE_1)
	s_or_b32 s73, s73, s13
	s_or_b32 exec_lo, exec_lo, s14
	s_and_saveexec_b32 s14, s73
	s_cbranch_execnz .LBB4_1693
	s_branch .LBB4_1694
.LBB4_2197:                             ;   in Loop: Header=BB4_1642 Depth=4
	s_or_saveexec_b32 s14, s14
	v_bfrev_b32_e32 v5, 1
	s_xor_b32 exec_lo, exec_lo, s14
	s_cbranch_execz .LBB4_1728
.LBB4_2198:                             ;   in Loop: Header=BB4_1642 Depth=4
	v_cmp_ne_u16_e64 s13, 0, v22
	v_mov_b32_e32 v5, 0
	s_and_not1_b32 s73, s73, exec_lo
	s_and_b32 s13, s13, exec_lo
	s_delay_alu instid0(SALU_CYCLE_1)
	s_or_b32 s73, s73, s13
	s_or_b32 exec_lo, exec_lo, s14
	s_and_saveexec_b32 s14, s73
	s_cbranch_execnz .LBB4_1729
	s_branch .LBB4_1730
.LBB4_2199:                             ;   in Loop: Header=BB4_1642 Depth=4
	s_or_saveexec_b32 s14, s14
	v_bfrev_b32_e32 v23, 1
	s_xor_b32 exec_lo, exec_lo, s14
	s_cbranch_execz .LBB4_1794
.LBB4_2200:                             ;   in Loop: Header=BB4_1642 Depth=4
	v_cmp_ne_u16_e64 s13, 0, v5
	v_mov_b32_e32 v23, 0
	s_and_not1_b32 s73, s73, exec_lo
	s_and_b32 s13, s13, exec_lo
	s_delay_alu instid0(SALU_CYCLE_1)
	s_or_b32 s73, s73, s13
	s_or_b32 exec_lo, exec_lo, s14
	v_mov_b32_e32 v5, v3
	s_and_saveexec_b32 s14, s73
	s_cbranch_execnz .LBB4_1795
	s_branch .LBB4_1796
.LBB4_2201:                             ;   in Loop: Header=BB4_1642 Depth=4
	s_or_saveexec_b32 s14, s14
	v_bfrev_b32_e32 v22, 1
	s_xor_b32 exec_lo, exec_lo, s14
	s_cbranch_execz .LBB4_1830
.LBB4_2202:                             ;   in Loop: Header=BB4_1642 Depth=4
	v_cmp_ne_u16_e64 s13, 0, v2
	v_mov_b32_e32 v22, 0
	s_and_not1_b32 s73, s73, exec_lo
	s_and_b32 s13, s13, exec_lo
	s_delay_alu instid0(SALU_CYCLE_1)
	s_or_b32 s73, s73, s13
	s_or_b32 exec_lo, exec_lo, s14
	s_and_saveexec_b32 s14, s73
	s_cbranch_execnz .LBB4_1831
	s_branch .LBB4_1832
.LBB4_2203:                             ;   in Loop: Header=BB4_1642 Depth=4
	s_or_saveexec_b32 s14, s14
	v_bfrev_b32_e32 v5, 1
	s_xor_b32 exec_lo, exec_lo, s14
	s_cbranch_execz .LBB4_1866
.LBB4_2204:                             ;   in Loop: Header=BB4_1642 Depth=4
	v_cmp_ne_u16_e64 s13, 0, v22
	v_mov_b32_e32 v5, 0
	s_and_not1_b32 s73, s73, exec_lo
	s_and_b32 s13, s13, exec_lo
	s_delay_alu instid0(SALU_CYCLE_1)
	s_or_b32 s73, s73, s13
	s_or_b32 exec_lo, exec_lo, s14
	s_and_saveexec_b32 s14, s73
	s_cbranch_execnz .LBB4_1867
	s_branch .LBB4_1868
.LBB4_2205:                             ;   in Loop: Header=BB4_1642 Depth=4
	s_or_saveexec_b32 s14, s14
	v_bfrev_b32_e32 v4, 1
	s_xor_b32 exec_lo, exec_lo, s14
	s_cbranch_execz .LBB4_1932
.LBB4_2206:                             ;   in Loop: Header=BB4_1642 Depth=4
	v_cmp_ne_u16_e64 s13, 0, v5
	v_mov_b32_e32 v4, 0
	s_and_not1_b32 s73, s73, exec_lo
	s_and_b32 s13, s13, exec_lo
	s_delay_alu instid0(SALU_CYCLE_1)
	s_or_b32 s73, s73, s13
	s_or_b32 exec_lo, exec_lo, s14
	s_and_saveexec_b32 s14, s73
	s_cbranch_execnz .LBB4_1933
	s_branch .LBB4_1934
.LBB4_2207:                             ;   in Loop: Header=BB4_1642 Depth=4
	s_or_saveexec_b32 s14, s14
	v_bfrev_b32_e32 v5, 1
	s_xor_b32 exec_lo, exec_lo, s14
	s_cbranch_execz .LBB4_1968
.LBB4_2208:                             ;   in Loop: Header=BB4_1642 Depth=4
	v_cmp_ne_u16_e64 s13, 0, v2
	v_mov_b32_e32 v5, 0
	s_and_not1_b32 s73, s73, exec_lo
	s_and_b32 s13, s13, exec_lo
	s_delay_alu instid0(SALU_CYCLE_1)
	s_or_b32 s73, s73, s13
	s_or_b32 exec_lo, exec_lo, s14
	s_and_saveexec_b32 s14, s73
	s_cbranch_execnz .LBB4_1969
	s_branch .LBB4_1970
.LBB4_2209:                             ;   in Loop: Header=BB4_1642 Depth=4
	s_or_saveexec_b32 s14, s14
	v_bfrev_b32_e32 v5, 1
	s_xor_b32 exec_lo, exec_lo, s14
	s_cbranch_execz .LBB4_2004
.LBB4_2210:                             ;   in Loop: Header=BB4_1642 Depth=4
	v_cmp_ne_u16_e64 s13, 0, v8
	v_mov_b32_e32 v5, 0
	s_and_not1_b32 s73, s73, exec_lo
	s_and_b32 s13, s13, exec_lo
	s_delay_alu instid0(SALU_CYCLE_1)
	s_or_b32 s73, s73, s13
	s_or_b32 exec_lo, exec_lo, s14
	s_and_saveexec_b32 s14, s73
	s_cbranch_execnz .LBB4_2005
	s_branch .LBB4_2006
.LBB4_2211:                             ;   in Loop: Header=BB4_1642 Depth=4
	s_or_saveexec_b32 s14, s14
	v_bfrev_b32_e32 v9, 1
	s_xor_b32 exec_lo, exec_lo, s14
	s_cbranch_execz .LBB4_2070
.LBB4_2212:                             ;   in Loop: Header=BB4_1642 Depth=4
	v_cmp_ne_u16_e64 s13, 0, v5
	v_mov_b32_e32 v9, 0
	s_and_not1_b32 s73, s73, exec_lo
	s_and_b32 s13, s13, exec_lo
	s_delay_alu instid0(SALU_CYCLE_1)
	s_or_b32 s73, s73, s13
	s_or_b32 exec_lo, exec_lo, s14
	v_mov_b32_e32 v5, v3
	s_and_saveexec_b32 s14, s73
	s_cbranch_execnz .LBB4_2071
	s_branch .LBB4_2072
.LBB4_2213:                             ;   in Loop: Header=BB4_1642 Depth=4
	s_or_saveexec_b32 s14, s14
	v_bfrev_b32_e32 v8, 1
	s_xor_b32 exec_lo, exec_lo, s14
	s_cbranch_execz .LBB4_2106
.LBB4_2214:                             ;   in Loop: Header=BB4_1642 Depth=4
	v_cmp_ne_u16_e64 s13, 0, v2
	v_mov_b32_e32 v8, 0
	s_and_not1_b32 s73, s73, exec_lo
	s_and_b32 s13, s13, exec_lo
	s_delay_alu instid0(SALU_CYCLE_1)
	s_or_b32 s73, s73, s13
	s_or_b32 exec_lo, exec_lo, s14
	s_and_saveexec_b32 s14, s73
	s_cbranch_execnz .LBB4_2107
	s_branch .LBB4_2108
.LBB4_2215:                             ;   in Loop: Header=BB4_1642 Depth=4
	s_or_saveexec_b32 s14, s14
	v_bfrev_b32_e32 v5, 1
	s_xor_b32 exec_lo, exec_lo, s14
	s_cbranch_execz .LBB4_2142
.LBB4_2216:                             ;   in Loop: Header=BB4_1642 Depth=4
	v_cmp_ne_u16_e64 s13, 0, v8
	v_mov_b32_e32 v5, 0
	s_and_not1_b32 s73, s73, exec_lo
	s_and_b32 s13, s13, exec_lo
	s_delay_alu instid0(SALU_CYCLE_1)
	s_or_b32 s73, s73, s13
	s_or_b32 exec_lo, exec_lo, s14
	s_and_saveexec_b32 s14, s73
	s_cbranch_execnz .LBB4_2143
	s_branch .LBB4_2144
.LBB4_2217:                             ;   in Loop: Header=BB4_274 Depth=3
	s_or_b32 exec_lo, exec_lo, s72
.LBB4_2218:                             ;   in Loop: Header=BB4_274 Depth=3
	s_delay_alu instid0(SALU_CYCLE_1) | instskip(SKIP_3) | instid1(VALU_DEP_1)
	s_or_b32 exec_lo, exec_lo, s63
	v_dual_mov_b32 v43, 0 :: v_dual_bitop2_b32 v4, 15, v41 bitop3:0x40
	s_mov_b32 s14, 0
	s_mov_b32 s63, exec_lo
                                        ; implicit-def: $vgpr125
                                        ; implicit-def: $vgpr2
	v_cndmask_b32_e32 v124, v29, v4, vcc_lo
	s_delay_alu instid0(VALU_DEP_1)
	v_cmpx_ne_u32_e32 0, v124
	s_cbranch_execz .LBB4_2220
; %bb.2219:                             ;   in Loop: Header=BB4_274 Depth=3
	v_cmp_lt_i32_e64 s13, 0, v30
	s_mov_b32 s14, exec_lo
	v_sub_nc_u32_e32 v4, v29, v4
	v_cndmask_b32_e64 v2, 0, v52, s13
	s_delay_alu instid0(VALU_DEP_1) | instskip(NEXT) | instid1(VALU_DEP_1)
	v_dual_cndmask_b32 v4, 0, v4, vcc_lo :: v_dual_sub_nc_u32 v2, v2, v30
	v_add3_u32 v43, v26, v27, v4
	s_delay_alu instid0(VALU_DEP_2) | instskip(NEXT) | instid1(VALU_DEP_1)
	v_lshl_add_u32 v125, v2, 5, v28
	v_ashrrev_i32_e32 v2, 31, v125
	s_delay_alu instid0(VALU_DEP_1) | instskip(NEXT) | instid1(VALU_DEP_1)
	v_lshrrev_b32_e32 v2, 27, v2
	v_add_nc_u32_e32 v2, v125, v2
	s_delay_alu instid0(VALU_DEP_1)
	v_ashrrev_i32_e32 v2, 5, v2
.LBB4_2220:                             ;   in Loop: Header=BB4_274 Depth=3
	s_or_b32 exec_lo, exec_lo, s63
	s_delay_alu instid0(SALU_CYCLE_1)
	s_and_b32 s13, s14, exec_lo
.LBB4_2221:                             ;   in Loop: Header=BB4_274 Depth=3
	s_or_b32 exec_lo, exec_lo, s62
	s_and_saveexec_b32 s14, s13
	s_cbranch_execz .LBB4_2978
.LBB4_2222:                             ;   in Loop: Header=BB4_274 Depth=3
	v_ashrrev_i32_e32 v4, 31, v124
	s_mov_b32 s62, exec_lo
	s_delay_alu instid0(VALU_DEP_1) | instskip(NEXT) | instid1(VALU_DEP_1)
	v_lshrrev_b32_e32 v4, 23, v4
	v_add_nc_u32_e32 v4, v124, v4
	s_delay_alu instid0(VALU_DEP_1) | instskip(NEXT) | instid1(VALU_DEP_1)
	v_dual_ashrrev_i32 v100, 9, v4 :: v_dual_ashrrev_i32 v4, 31, v125
	v_dual_sub_nc_u32 v102, v100, v2 :: v_dual_lshrrev_b32 v103, 27, v4
	s_delay_alu instid0(VALU_DEP_1)
	v_cmpx_lt_i32_e32 0, v102
	s_cbranch_execz .LBB4_2930
; %bb.2223:                             ;   in Loop: Header=BB4_274 Depth=3
	s_delay_alu instid0(VALU_DEP_2) | instskip(SKIP_3) | instid1(VALU_DEP_2)
	v_dual_add_nc_u32 v4, v125, v103 :: v_dual_lshlrev_b32 v2, 9, v2
	s_trap 2
	v_add_nc_u64_e32 v[14:15], 0x1e0, v[56:57]
	s_mov_b32 s63, 0
	v_and_b32_e32 v8, 0xffffffe0, v4
	ds_load_b64 v[4:5], v0
	v_sub_nc_u32_e32 v8, v125, v8
	s_delay_alu instid0(VALU_DEP_1) | instskip(NEXT) | instid1(VALU_DEP_1)
	v_add3_u32 v12, v43, v8, v2
	v_ashrrev_i32_e32 v13, 31, v12
	s_delay_alu instid0(VALU_DEP_1)
	v_add_nc_u64_e32 v[8:9], v[12:13], v[46:47]
	s_wait_dscnt 0x0
	v_add_nc_u64_e32 v[10:11], v[4:5], v[12:13]
	v_add_nc_u64_e32 v[12:13], v[14:15], v[12:13]
	s_branch .LBB4_2226
.LBB4_2224:                             ;   in Loop: Header=BB4_2226 Depth=4
	s_or_b32 exec_lo, exec_lo, s72
.LBB4_2225:                             ;   in Loop: Header=BB4_2226 Depth=4
	s_delay_alu instid0(SALU_CYCLE_1)
	s_or_b32 exec_lo, exec_lo, s13
	v_sub_nc_u32_e32 v102, v102, v52
	s_clause 0xf
	flat_store_b8 v[12:13], v101 offset:-480 th:TH_STORE_NT
	flat_store_b8 v[12:13], v116 offset:-448 th:TH_STORE_NT
	;; [unrolled: 1-line block ×15, first 2 shown]
	flat_store_b8 v[12:13], v5 th:TH_STORE_NT
	v_add_nc_u64_e32 v[8:9], v[8:9], v[70:71]
	v_add_nc_u64_e32 v[10:11], v[10:11], v[70:71]
	v_cmp_gt_i32_e32 vcc_lo, 1, v102
	s_wait_xcnt 0x0
	v_add_nc_u64_e32 v[12:13], v[12:13], v[70:71]
	s_or_b32 s63, vcc_lo, s63
	s_delay_alu instid0(SALU_CYCLE_1)
	s_and_not1_b32 exec_lo, exec_lo, s63
	s_cbranch_execz .LBB4_2929
.LBB4_2226:                             ;   Parent Loop BB4_47 Depth=1
                                        ;     Parent Loop BB4_271 Depth=2
                                        ;       Parent Loop BB4_274 Depth=3
                                        ; =>      This Inner Loop Header: Depth=4
	s_clause 0xf
	flat_load_i8 v2, v[8:9] th:TH_LOAD_NT
	flat_load_i8 v116, v[8:9] offset:32 th:TH_LOAD_NT
	flat_load_i8 v4, v[8:9] offset:64 th:TH_LOAD_NT
	;; [unrolled: 1-line block ×15, first 2 shown]
	s_clause 0xf
	flat_load_i8 v120, v[10:11] th:TH_LOAD_NT
	flat_load_i8 v66, v[10:11] offset:32 th:TH_LOAD_NT
	flat_load_i8 v84, v[10:11] offset:64 th:TH_LOAD_NT
	;; [unrolled: 1-line block ×15, first 2 shown]
	v_dual_mov_b32 v5, 0 :: v_dual_mov_b32 v15, 0
	s_mov_b32 s13, exec_lo
	s_wait_loadcnt_dscnt 0x1f1f
	s_wait_xcnt 0x0
	v_cmpx_ne_u16_e32 0, v2
	s_cbranch_execz .LBB4_2236
; %bb.2227:                             ;   in Loop: Header=BB4_2226 Depth=4
	v_bfrev_b32_e32 v15, 1
	s_mov_b32 s72, exec_lo
	v_cmpx_ne_u16_e32 0xff80, v2
	s_cbranch_execz .LBB4_2235
; %bb.2228:                             ;   in Loop: Header=BB4_2226 Depth=4
	v_and_b32_e32 v15, 0x7c, v2
	v_and_b32_e32 v17, 3, v2
	s_delay_alu instid0(VALU_DEP_2) | instskip(SKIP_1) | instid1(SALU_CYCLE_1)
	v_cmp_ne_u32_e32 vcc_lo, 0x7c, v15
                                        ; implicit-def: $vgpr15
	s_and_saveexec_b32 s73, vcc_lo
	s_xor_b32 s73, exec_lo, s73
	s_cbranch_execz .LBB4_2232
; %bb.2229:                             ;   in Loop: Header=BB4_2226 Depth=4
	v_and_b32_e32 v15, 0xff, v2
	s_mov_b32 s74, exec_lo
	s_delay_alu instid0(VALU_DEP_1) | instskip(NEXT) | instid1(VALU_DEP_1)
	v_bfe_u32 v15, v15, 2, 5
	v_cmpx_eq_u32_e32 0, v15
; %bb.2230:                             ;   in Loop: Header=BB4_2226 Depth=4
	v_clz_i32_u32_e32 v15, v17
	s_delay_alu instid0(VALU_DEP_1) | instskip(NEXT) | instid1(VALU_DEP_1)
	v_min_u32_e32 v15, 32, v15
	v_subrev_nc_u32_e32 v17, 29, v15
	s_delay_alu instid0(VALU_DEP_1) | instskip(NEXT) | instid1(VALU_DEP_1)
	v_lshlrev_b64_e32 v[122:123], v17, v[2:3]
	v_dual_sub_nc_u32 v15, 30, v15 :: v_dual_bitop2_b32 v17, 3, v122 bitop3:0x40
; %bb.2231:                             ;   in Loop: Header=BB4_2226 Depth=4
	s_or_b32 exec_lo, exec_lo, s74
	v_bfe_i32 v2, v2, 0, 16
	s_delay_alu instid0(VALU_DEP_1) | instskip(NEXT) | instid1(VALU_DEP_1)
	v_and_b32_e32 v2, 0x80000000, v2
	v_lshl_add_u32 v2, v15, 23, v2
	s_delay_alu instid0(VALU_DEP_1) | instskip(NEXT) | instid1(VALU_DEP_1)
	v_lshl_or_b32 v2, v17, 21, v2
                                        ; implicit-def: $vgpr17
	v_add_nc_u32_e32 v15, 0x38000000, v2
.LBB4_2232:                             ;   in Loop: Header=BB4_2226 Depth=4
	s_and_not1_saveexec_b32 s73, s73
; %bb.2233:                             ;   in Loop: Header=BB4_2226 Depth=4
	v_cmp_lt_i16_e32 vcc_lo, -1, v2
	v_cndmask_b32_e32 v2, 0xff800000, v112, vcc_lo
	v_cmp_eq_u32_e32 vcc_lo, 0, v17
	s_delay_alu instid0(VALU_DEP_2)
	v_cndmask_b32_e32 v15, 0x7f800001, v2, vcc_lo
; %bb.2234:                             ;   in Loop: Header=BB4_2226 Depth=4
	s_or_b32 exec_lo, exec_lo, s73
.LBB4_2235:                             ;   in Loop: Header=BB4_2226 Depth=4
	s_delay_alu instid0(SALU_CYCLE_1)
	s_or_b32 exec_lo, exec_lo, s72
.LBB4_2236:                             ;   in Loop: Header=BB4_2226 Depth=4
	s_delay_alu instid0(SALU_CYCLE_1) | instskip(NEXT) | instid1(SALU_CYCLE_1)
	s_or_b32 exec_lo, exec_lo, s13
	s_mov_b32 s13, exec_lo
	s_wait_loadcnt_dscnt 0xf0f
	v_cmpx_ne_u16_e32 0, v120
	s_cbranch_execz .LBB4_2246
; %bb.2237:                             ;   in Loop: Header=BB4_2226 Depth=4
	v_bfrev_b32_e32 v5, 1
	s_mov_b32 s72, exec_lo
	v_cmpx_ne_u16_e32 0xff80, v120
	s_cbranch_execz .LBB4_2245
; %bb.2238:                             ;   in Loop: Header=BB4_2226 Depth=4
	v_and_b32_e32 v5, 0x7c, v120
	v_and_b32_e32 v2, 3, v120
	s_delay_alu instid0(VALU_DEP_2) | instskip(SKIP_1) | instid1(SALU_CYCLE_1)
	v_cmp_ne_u32_e32 vcc_lo, 0x7c, v5
                                        ; implicit-def: $vgpr5
	s_and_saveexec_b32 s73, vcc_lo
	s_xor_b32 s73, exec_lo, s73
	s_cbranch_execz .LBB4_2242
; %bb.2239:                             ;   in Loop: Header=BB4_2226 Depth=4
	v_and_b32_e32 v5, 0xff, v120
	s_mov_b32 s74, exec_lo
	s_delay_alu instid0(VALU_DEP_1) | instskip(NEXT) | instid1(VALU_DEP_1)
	v_bfe_u32 v5, v5, 2, 5
	v_cmpx_eq_u32_e32 0, v5
	s_cbranch_execz .LBB4_2241
; %bb.2240:                             ;   in Loop: Header=BB4_2226 Depth=4
	v_clz_i32_u32_e32 v2, v2
	s_delay_alu instid0(VALU_DEP_1) | instskip(SKIP_1) | instid1(VALU_DEP_2)
	v_min_u32_e32 v2, 32, v2
	v_mov_b32_e32 v121, v3
	v_subrev_nc_u32_e32 v5, 29, v2
	s_delay_alu instid0(VALU_DEP_1) | instskip(SKIP_1) | instid1(VALU_DEP_2)
	v_lshlrev_b64_e32 v[122:123], v5, v[120:121]
	v_sub_nc_u32_e32 v5, 30, v2
	v_and_b32_e32 v2, 3, v122
.LBB4_2241:                             ;   in Loop: Header=BB4_2226 Depth=4
	s_or_b32 exec_lo, exec_lo, s74
	v_bfe_i32 v17, v120, 0, 16
                                        ; implicit-def: $vgpr120
	s_delay_alu instid0(VALU_DEP_1) | instskip(NEXT) | instid1(VALU_DEP_1)
	v_and_b32_e32 v17, 0x80000000, v17
	v_lshl_add_u32 v5, v5, 23, v17
	s_delay_alu instid0(VALU_DEP_1) | instskip(NEXT) | instid1(VALU_DEP_1)
	v_lshl_or_b32 v2, v2, 21, v5
	v_add_nc_u32_e32 v5, 0x38000000, v2
                                        ; implicit-def: $vgpr2
.LBB4_2242:                             ;   in Loop: Header=BB4_2226 Depth=4
	s_and_not1_saveexec_b32 s73, s73
; %bb.2243:                             ;   in Loop: Header=BB4_2226 Depth=4
	v_cmp_lt_i16_e32 vcc_lo, -1, v120
	v_cndmask_b32_e32 v5, 0xff800000, v112, vcc_lo
	v_cmp_eq_u32_e32 vcc_lo, 0, v2
	s_delay_alu instid0(VALU_DEP_2)
	v_cndmask_b32_e32 v5, 0x7f800001, v5, vcc_lo
; %bb.2244:                             ;   in Loop: Header=BB4_2226 Depth=4
	s_or_b32 exec_lo, exec_lo, s73
.LBB4_2245:                             ;   in Loop: Header=BB4_2226 Depth=4
	s_delay_alu instid0(SALU_CYCLE_1)
	s_or_b32 exec_lo, exec_lo, s72
.LBB4_2246:                             ;   in Loop: Header=BB4_2226 Depth=4
	s_delay_alu instid0(SALU_CYCLE_1) | instskip(NEXT) | instid1(VALU_DEP_1)
	s_or_b32 exec_lo, exec_lo, s13
	v_mul_f32_e32 v15, v15, v5
	v_mov_b32_e32 v121, v3
                                        ; implicit-def: $vgpr101
	s_mov_b32 s13, exec_lo
	s_delay_alu instid0(VALU_DEP_2) | instskip(SKIP_1) | instid1(VALU_DEP_2)
	v_and_b32_e32 v120, 0x7f800000, v15
	v_and_b32_e32 v2, 0x7fffff, v15
	v_cmpx_ne_u64_e32 0x7f800000, v[120:121]
	s_xor_b32 s72, exec_lo, s13
	s_cbranch_execz .LBB4_2264
; %bb.2247:                             ;   in Loop: Header=BB4_2226 Depth=4
	v_dual_mov_b32 v121, v3 :: v_dual_lshrrev_b32 v5, 24, v15
	v_and_b32_e32 v120, 0x7fffffff, v15
                                        ; implicit-def: $vgpr101
	s_mov_b32 s13, exec_lo
	s_delay_alu instid0(VALU_DEP_2) | instskip(NEXT) | instid1(VALU_DEP_2)
	v_and_b32_e32 v5, 0x80, v5
	v_cmpx_gt_u64_e32 0x47600001, v[120:121]
	s_xor_b32 s73, exec_lo, s13
	s_cbranch_execz .LBB4_2261
; %bb.2248:                             ;   in Loop: Header=BB4_2226 Depth=4
	v_mov_b32_e32 v101, 0
	s_mov_b32 s74, exec_lo
	v_cmpx_ne_u32_e32 0, v15
	s_cbranch_execz .LBB4_2260
; %bb.2249:                             ;   in Loop: Header=BB4_2226 Depth=4
	v_bfe_u32 v15, v15, 23, 8
	v_or_b32_e32 v19, 0x800000, v2
	s_delay_alu instid0(VALU_DEP_2) | instskip(SKIP_1) | instid1(VALU_DEP_3)
	v_cmp_eq_u32_e32 vcc_lo, 0, v15
	v_cmp_gt_u32_e64 s13, 0x72, v15
	v_dual_cndmask_b32 v2, v19, v2 :: v_dual_sub_nc_u32 v17, 0x71, v15
	s_delay_alu instid0(VALU_DEP_1) | instskip(NEXT) | instid1(VALU_DEP_1)
	v_cndmask_b32_e64 v17, 0, v17, s13
	v_cndmask_b32_e64 v17, v17, 0x70, vcc_lo
	s_delay_alu instid0(VALU_DEP_1) | instskip(NEXT) | instid1(VALU_DEP_1)
	v_add_nc_u32_e32 v19, 21, v17
	v_lshlrev_b64_e64 v[120:121], v19, -1
	v_add_nc_u32_e32 v19, 20, v17
	s_delay_alu instid0(VALU_DEP_1) | instskip(NEXT) | instid1(VALU_DEP_3)
	v_lshlrev_b64_e64 v[122:123], v19, 1
	v_bfi_b32 v121, v121, 0, 0
	s_delay_alu instid0(VALU_DEP_4) | instskip(NEXT) | instid1(VALU_DEP_1)
	v_bfi_b32 v120, v120, 0, v2
	v_cmp_eq_u64_e64 s13, v[120:121], v[122:123]
	v_lshrrev_b64 v[120:121], v17, v[2:3]
	s_delay_alu instid0(VALU_DEP_1)
	v_mov_b64_e32 v[122:123], v[120:121]
	s_and_saveexec_b32 s75, s13
; %bb.2250:                             ;   in Loop: Header=BB4_2226 Depth=4
	v_bfe_u32 v2, v120, 21, 1
	s_delay_alu instid0(VALU_DEP_1) | instskip(NEXT) | instid1(VALU_DEP_1)
	v_add_nc_u64_e32 v[122:123], v[120:121], v[2:3]
	v_add_nc_u64_e32 v[122:123], -1, v[122:123]
; %bb.2251:                             ;   in Loop: Header=BB4_2226 Depth=4
	s_or_b32 exec_lo, exec_lo, s75
	v_add_nc_u32_e32 v2, 0xffffff81, v15
	v_lshrrev_b32_e32 v15, 23, v120
	s_mov_b32 s13, exec_lo
	s_delay_alu instid0(VALU_DEP_2) | instskip(NEXT) | instid1(VALU_DEP_1)
	v_cndmask_b32_e64 v2, v2, 0xffffff82, vcc_lo
	v_add3_u32 v17, v17, v2, v15
	v_and_b32_e32 v2, 0x1fffff, v122
                                        ; implicit-def: $vgpr15
	s_delay_alu instid0(VALU_DEP_1) | instskip(NEXT) | instid1(VALU_DEP_1)
	v_dual_add_nc_u32 v19, 14, v17 :: v_dual_add_nc_u32 v2, v2, v120
                                        ; implicit-def: $vgpr120_vgpr121
	v_cmpx_ne_u32_e32 0, v19
	s_xor_b32 s13, exec_lo, s13
; %bb.2252:                             ;   in Loop: Header=BB4_2226 Depth=4
	s_delay_alu instid0(VALU_DEP_2) | instskip(SKIP_2) | instid1(VALU_DEP_2)
	v_cmp_lt_u64_e32 vcc_lo, 0xffffff, v[2:3]
	v_add_nc_u32_e32 v15, 15, v17
	v_cndmask_b32_e64 v17, 0, 1, vcc_lo
	v_cndmask_b32_e32 v15, v19, v15, vcc_lo
	s_delay_alu instid0(VALU_DEP_2)
	v_lshrrev_b64 v[120:121], v17, v[2:3]
; %bb.2253:                             ;   in Loop: Header=BB4_2226 Depth=4
	s_and_not1_saveexec_b32 s13, s13
; %bb.2254:                             ;   in Loop: Header=BB4_2226 Depth=4
	v_mov_b64_e32 v[120:121], v[2:3]
	v_bfe_u32 v15, v2, 23, 1
; %bb.2255:                             ;   in Loop: Header=BB4_2226 Depth=4
	s_or_b32 exec_lo, exec_lo, s13
	s_delay_alu instid0(VALU_DEP_2) | instskip(NEXT) | instid1(VALU_DEP_2)
	v_lshrrev_b64 v[120:121], 21, v[120:121]
	v_cmp_gt_i32_e32 vcc_lo, 32, v15
	v_cmp_ne_u32_e64 s13, 0, v15
                                        ; implicit-def: $vgpr101
	s_delay_alu instid0(VALU_DEP_3) | instskip(NEXT) | instid1(VALU_DEP_1)
	v_dual_cndmask_b32 v121, 0, v121 :: v_dual_cndmask_b32 v120, 3, v120
	v_cmp_ne_u64_e32 vcc_lo, 0, v[120:121]
	s_or_b32 s13, s13, vcc_lo
	s_delay_alu instid0(SALU_CYCLE_1) | instskip(NEXT) | instid1(SALU_CYCLE_1)
	s_and_saveexec_b32 s75, s13
	s_xor_b32 s13, exec_lo, s75
; %bb.2256:                             ;   in Loop: Header=BB4_2226 Depth=4
	v_min_i32_e32 v2, 31, v15
	s_delay_alu instid0(VALU_DEP_1) | instskip(NEXT) | instid1(VALU_DEP_1)
	v_lshl_or_b32 v2, v2, 2, v5
                                        ; implicit-def: $vgpr5
	v_and_or_b32 v101, v120, 3, v2
; %bb.2257:                             ;   in Loop: Header=BB4_2226 Depth=4
	s_and_not1_saveexec_b32 s13, s13
; %bb.2258:                             ;   in Loop: Header=BB4_2226 Depth=4
	v_mov_b32_e32 v101, v5
; %bb.2259:                             ;   in Loop: Header=BB4_2226 Depth=4
	s_or_b32 exec_lo, exec_lo, s13
.LBB4_2260:                             ;   in Loop: Header=BB4_2226 Depth=4
	s_delay_alu instid0(SALU_CYCLE_1)
	s_or_b32 exec_lo, exec_lo, s74
                                        ; implicit-def: $vgpr5
.LBB4_2261:                             ;   in Loop: Header=BB4_2226 Depth=4
	s_and_not1_saveexec_b32 s13, s73
; %bb.2262:                             ;   in Loop: Header=BB4_2226 Depth=4
	v_or_b32_e32 v101, 0x7b, v5
; %bb.2263:                             ;   in Loop: Header=BB4_2226 Depth=4
	s_or_b32 exec_lo, exec_lo, s13
                                        ; implicit-def: $vgpr15
.LBB4_2264:                             ;   in Loop: Header=BB4_2226 Depth=4
	s_and_not1_saveexec_b32 s13, s72
	s_cbranch_execz .LBB4_2270
; %bb.2265:                             ;   in Loop: Header=BB4_2226 Depth=4
	s_mov_b32 s72, exec_lo
                                        ; implicit-def: $vgpr101
	v_cmpx_ne_u64_e32 0, v[2:3]
	s_xor_b32 s72, exec_lo, s72
; %bb.2266:                             ;   in Loop: Header=BB4_2226 Depth=4
	v_lshrrev_b32_e32 v2, 24, v15
                                        ; implicit-def: $vgpr15
	s_delay_alu instid0(VALU_DEP_1)
	v_or_b32_e32 v101, 0x7f, v2
; %bb.2267:                             ;   in Loop: Header=BB4_2226 Depth=4
	s_and_not1_saveexec_b32 s72, s72
; %bb.2268:                             ;   in Loop: Header=BB4_2226 Depth=4
	v_cmp_lt_i32_e32 vcc_lo, -1, v15
	v_cndmask_b32_e64 v101, -4, 0x7c, vcc_lo
; %bb.2269:                             ;   in Loop: Header=BB4_2226 Depth=4
	s_or_b32 exec_lo, exec_lo, s72
.LBB4_2270:                             ;   in Loop: Header=BB4_2226 Depth=4
	s_delay_alu instid0(SALU_CYCLE_1)
	s_or_b32 exec_lo, exec_lo, s13
	v_dual_mov_b32 v2, 0 :: v_dual_mov_b32 v5, 0
	s_mov_b32 s13, exec_lo
	v_cmpx_ne_u16_e32 0, v116
	s_cbranch_execz .LBB4_2280
; %bb.2271:                             ;   in Loop: Header=BB4_2226 Depth=4
	v_bfrev_b32_e32 v5, 1
	s_mov_b32 s72, exec_lo
	v_cmpx_ne_u16_e32 0xff80, v116
	s_cbranch_execz .LBB4_2279
; %bb.2272:                             ;   in Loop: Header=BB4_2226 Depth=4
	v_and_b32_e32 v5, 0x7c, v116
	v_and_b32_e32 v15, 3, v116
	s_delay_alu instid0(VALU_DEP_2) | instskip(SKIP_1) | instid1(SALU_CYCLE_1)
	v_cmp_ne_u32_e32 vcc_lo, 0x7c, v5
                                        ; implicit-def: $vgpr5
	s_and_saveexec_b32 s73, vcc_lo
	s_xor_b32 s73, exec_lo, s73
	s_cbranch_execz .LBB4_2276
; %bb.2273:                             ;   in Loop: Header=BB4_2226 Depth=4
	v_and_b32_e32 v5, 0xff, v116
	s_mov_b32 s74, exec_lo
	s_delay_alu instid0(VALU_DEP_1) | instskip(NEXT) | instid1(VALU_DEP_1)
	v_bfe_u32 v5, v5, 2, 5
	v_cmpx_eq_u32_e32 0, v5
	s_cbranch_execz .LBB4_2275
; %bb.2274:                             ;   in Loop: Header=BB4_2226 Depth=4
	v_clz_i32_u32_e32 v5, v15
	s_delay_alu instid0(VALU_DEP_1) | instskip(SKIP_1) | instid1(VALU_DEP_2)
	v_min_u32_e32 v5, 32, v5
	v_mov_b32_e32 v117, v3
	v_subrev_nc_u32_e32 v15, 29, v5
	v_sub_nc_u32_e32 v5, 30, v5
	s_delay_alu instid0(VALU_DEP_2) | instskip(NEXT) | instid1(VALU_DEP_1)
	v_lshlrev_b64_e32 v[120:121], v15, v[116:117]
	v_and_b32_e32 v15, 3, v120
.LBB4_2275:                             ;   in Loop: Header=BB4_2226 Depth=4
	s_or_b32 exec_lo, exec_lo, s74
	v_bfe_i32 v17, v116, 0, 16
                                        ; implicit-def: $vgpr116
	s_delay_alu instid0(VALU_DEP_1) | instskip(NEXT) | instid1(VALU_DEP_1)
	v_and_b32_e32 v17, 0x80000000, v17
	v_lshl_add_u32 v5, v5, 23, v17
	s_delay_alu instid0(VALU_DEP_1) | instskip(NEXT) | instid1(VALU_DEP_1)
	v_lshl_or_b32 v5, v15, 21, v5
                                        ; implicit-def: $vgpr15
	v_add_nc_u32_e32 v5, 0x38000000, v5
.LBB4_2276:                             ;   in Loop: Header=BB4_2226 Depth=4
	s_and_not1_saveexec_b32 s73, s73
; %bb.2277:                             ;   in Loop: Header=BB4_2226 Depth=4
	v_cmp_lt_i16_e32 vcc_lo, -1, v116
	v_cndmask_b32_e32 v5, 0xff800000, v112, vcc_lo
	v_cmp_eq_u32_e32 vcc_lo, 0, v15
	s_delay_alu instid0(VALU_DEP_2)
	v_cndmask_b32_e32 v5, 0x7f800001, v5, vcc_lo
; %bb.2278:                             ;   in Loop: Header=BB4_2226 Depth=4
	s_or_b32 exec_lo, exec_lo, s73
.LBB4_2279:                             ;   in Loop: Header=BB4_2226 Depth=4
	s_delay_alu instid0(SALU_CYCLE_1)
	s_or_b32 exec_lo, exec_lo, s72
.LBB4_2280:                             ;   in Loop: Header=BB4_2226 Depth=4
	s_delay_alu instid0(SALU_CYCLE_1) | instskip(NEXT) | instid1(SALU_CYCLE_1)
	s_or_b32 exec_lo, exec_lo, s13
	s_mov_b32 s13, exec_lo
	s_wait_loadcnt_dscnt 0xe0e
	v_cmpx_ne_u16_e32 0, v66
	s_cbranch_execz .LBB4_2290
; %bb.2281:                             ;   in Loop: Header=BB4_2226 Depth=4
	v_bfrev_b32_e32 v2, 1
	s_mov_b32 s72, exec_lo
	v_cmpx_ne_u16_e32 0xff80, v66
	s_cbranch_execz .LBB4_2289
; %bb.2282:                             ;   in Loop: Header=BB4_2226 Depth=4
	v_and_b32_e32 v2, 0x7c, v66
	v_and_b32_e32 v15, 3, v66
	s_delay_alu instid0(VALU_DEP_2) | instskip(SKIP_1) | instid1(SALU_CYCLE_1)
	v_cmp_ne_u32_e32 vcc_lo, 0x7c, v2
                                        ; implicit-def: $vgpr2
	s_and_saveexec_b32 s73, vcc_lo
	s_xor_b32 s73, exec_lo, s73
	s_cbranch_execz .LBB4_2286
; %bb.2283:                             ;   in Loop: Header=BB4_2226 Depth=4
	v_and_b32_e32 v2, 0xff, v66
	s_mov_b32 s74, exec_lo
	s_delay_alu instid0(VALU_DEP_1) | instskip(NEXT) | instid1(VALU_DEP_1)
	v_bfe_u32 v2, v2, 2, 5
	v_cmpx_eq_u32_e32 0, v2
	s_cbranch_execz .LBB4_2285
; %bb.2284:                             ;   in Loop: Header=BB4_2226 Depth=4
	v_clz_i32_u32_e32 v2, v15
	s_delay_alu instid0(VALU_DEP_1) | instskip(SKIP_1) | instid1(VALU_DEP_2)
	v_min_u32_e32 v2, 32, v2
	v_mov_b32_e32 v67, v3
	v_subrev_nc_u32_e32 v15, 29, v2
	v_sub_nc_u32_e32 v2, 30, v2
	s_delay_alu instid0(VALU_DEP_2) | instskip(NEXT) | instid1(VALU_DEP_1)
	v_lshlrev_b64_e32 v[116:117], v15, v[66:67]
	v_and_b32_e32 v15, 3, v116
.LBB4_2285:                             ;   in Loop: Header=BB4_2226 Depth=4
	s_or_b32 exec_lo, exec_lo, s74
	v_bfe_i32 v17, v66, 0, 16
                                        ; implicit-def: $vgpr66
	s_delay_alu instid0(VALU_DEP_1) | instskip(NEXT) | instid1(VALU_DEP_1)
	v_and_b32_e32 v17, 0x80000000, v17
	v_lshl_add_u32 v2, v2, 23, v17
	s_delay_alu instid0(VALU_DEP_1) | instskip(NEXT) | instid1(VALU_DEP_1)
	v_lshl_or_b32 v2, v15, 21, v2
                                        ; implicit-def: $vgpr15
	v_add_nc_u32_e32 v2, 0x38000000, v2
.LBB4_2286:                             ;   in Loop: Header=BB4_2226 Depth=4
	s_and_not1_saveexec_b32 s73, s73
; %bb.2287:                             ;   in Loop: Header=BB4_2226 Depth=4
	v_cmp_lt_i16_e32 vcc_lo, -1, v66
	v_cndmask_b32_e32 v2, 0xff800000, v112, vcc_lo
	v_cmp_eq_u32_e32 vcc_lo, 0, v15
	s_delay_alu instid0(VALU_DEP_2)
	v_cndmask_b32_e32 v2, 0x7f800001, v2, vcc_lo
; %bb.2288:                             ;   in Loop: Header=BB4_2226 Depth=4
	s_or_b32 exec_lo, exec_lo, s73
.LBB4_2289:                             ;   in Loop: Header=BB4_2226 Depth=4
	s_delay_alu instid0(SALU_CYCLE_1)
	s_or_b32 exec_lo, exec_lo, s72
.LBB4_2290:                             ;   in Loop: Header=BB4_2226 Depth=4
	s_delay_alu instid0(SALU_CYCLE_1) | instskip(NEXT) | instid1(VALU_DEP_1)
	s_or_b32 exec_lo, exec_lo, s13
	v_dual_mul_f32 v15, v5, v2 :: v_dual_mov_b32 v67, v3
                                        ; implicit-def: $vgpr116
	s_mov_b32 s13, exec_lo
	s_delay_alu instid0(VALU_DEP_1) | instskip(SKIP_1) | instid1(VALU_DEP_2)
	v_and_b32_e32 v66, 0x7f800000, v15
	v_and_b32_e32 v2, 0x7fffff, v15
	v_cmpx_ne_u64_e32 0x7f800000, v[66:67]
	s_xor_b32 s72, exec_lo, s13
	s_cbranch_execz .LBB4_2308
; %bb.2291:                             ;   in Loop: Header=BB4_2226 Depth=4
	v_dual_mov_b32 v67, v3 :: v_dual_lshrrev_b32 v5, 24, v15
	v_and_b32_e32 v66, 0x7fffffff, v15
                                        ; implicit-def: $vgpr116
	s_mov_b32 s13, exec_lo
	s_delay_alu instid0(VALU_DEP_2) | instskip(NEXT) | instid1(VALU_DEP_2)
	v_and_b32_e32 v5, 0x80, v5
	v_cmpx_gt_u64_e32 0x47600001, v[66:67]
	s_xor_b32 s73, exec_lo, s13
	s_cbranch_execz .LBB4_2305
; %bb.2292:                             ;   in Loop: Header=BB4_2226 Depth=4
	v_mov_b32_e32 v116, 0
	s_mov_b32 s74, exec_lo
	v_cmpx_ne_u32_e32 0, v15
	s_cbranch_execz .LBB4_2304
; %bb.2293:                             ;   in Loop: Header=BB4_2226 Depth=4
	v_bfe_u32 v15, v15, 23, 8
	v_or_b32_e32 v19, 0x800000, v2
	s_delay_alu instid0(VALU_DEP_2) | instskip(SKIP_1) | instid1(VALU_DEP_3)
	v_cmp_eq_u32_e32 vcc_lo, 0, v15
	v_cmp_gt_u32_e64 s13, 0x72, v15
	v_dual_cndmask_b32 v2, v19, v2 :: v_dual_sub_nc_u32 v17, 0x71, v15
	s_delay_alu instid0(VALU_DEP_1) | instskip(NEXT) | instid1(VALU_DEP_1)
	v_cndmask_b32_e64 v17, 0, v17, s13
	v_cndmask_b32_e64 v17, v17, 0x70, vcc_lo
	s_delay_alu instid0(VALU_DEP_1) | instskip(NEXT) | instid1(VALU_DEP_1)
	v_add_nc_u32_e32 v19, 21, v17
	v_lshlrev_b64_e64 v[66:67], v19, -1
	v_add_nc_u32_e32 v19, 20, v17
	s_delay_alu instid0(VALU_DEP_1) | instskip(NEXT) | instid1(VALU_DEP_3)
	v_lshlrev_b64_e64 v[116:117], v19, 1
	v_bfi_b32 v67, v67, 0, 0
	s_delay_alu instid0(VALU_DEP_4) | instskip(NEXT) | instid1(VALU_DEP_1)
	v_bfi_b32 v66, v66, 0, v2
	v_cmp_eq_u64_e64 s13, v[66:67], v[116:117]
	v_lshrrev_b64 v[66:67], v17, v[2:3]
	s_delay_alu instid0(VALU_DEP_1)
	v_mov_b64_e32 v[116:117], v[66:67]
	s_and_saveexec_b32 s75, s13
; %bb.2294:                             ;   in Loop: Header=BB4_2226 Depth=4
	v_bfe_u32 v2, v66, 21, 1
	s_delay_alu instid0(VALU_DEP_1) | instskip(NEXT) | instid1(VALU_DEP_1)
	v_add_nc_u64_e32 v[116:117], v[66:67], v[2:3]
	v_add_nc_u64_e32 v[116:117], -1, v[116:117]
; %bb.2295:                             ;   in Loop: Header=BB4_2226 Depth=4
	s_or_b32 exec_lo, exec_lo, s75
	v_add_nc_u32_e32 v2, 0xffffff81, v15
	v_lshrrev_b32_e32 v15, 23, v66
	s_mov_b32 s13, exec_lo
	s_delay_alu instid0(VALU_DEP_2) | instskip(NEXT) | instid1(VALU_DEP_1)
	v_cndmask_b32_e64 v2, v2, 0xffffff82, vcc_lo
	v_add3_u32 v17, v17, v2, v15
	v_and_b32_e32 v2, 0x1fffff, v116
                                        ; implicit-def: $vgpr15
	s_delay_alu instid0(VALU_DEP_1) | instskip(NEXT) | instid1(VALU_DEP_1)
	v_dual_add_nc_u32 v19, 14, v17 :: v_dual_add_nc_u32 v2, v2, v66
                                        ; implicit-def: $vgpr66_vgpr67
	v_cmpx_ne_u32_e32 0, v19
	s_xor_b32 s13, exec_lo, s13
; %bb.2296:                             ;   in Loop: Header=BB4_2226 Depth=4
	s_delay_alu instid0(VALU_DEP_2) | instskip(SKIP_2) | instid1(VALU_DEP_2)
	v_cmp_lt_u64_e32 vcc_lo, 0xffffff, v[2:3]
	v_add_nc_u32_e32 v15, 15, v17
	v_cndmask_b32_e64 v17, 0, 1, vcc_lo
	v_cndmask_b32_e32 v15, v19, v15, vcc_lo
	s_delay_alu instid0(VALU_DEP_2)
	v_lshrrev_b64 v[66:67], v17, v[2:3]
; %bb.2297:                             ;   in Loop: Header=BB4_2226 Depth=4
	s_and_not1_saveexec_b32 s13, s13
; %bb.2298:                             ;   in Loop: Header=BB4_2226 Depth=4
	v_mov_b64_e32 v[66:67], v[2:3]
	v_bfe_u32 v15, v2, 23, 1
; %bb.2299:                             ;   in Loop: Header=BB4_2226 Depth=4
	s_or_b32 exec_lo, exec_lo, s13
	s_delay_alu instid0(VALU_DEP_2) | instskip(NEXT) | instid1(VALU_DEP_2)
	v_lshrrev_b64 v[66:67], 21, v[66:67]
	v_cmp_gt_i32_e32 vcc_lo, 32, v15
	v_cmp_ne_u32_e64 s13, 0, v15
                                        ; implicit-def: $vgpr116
	s_delay_alu instid0(VALU_DEP_3) | instskip(NEXT) | instid1(VALU_DEP_1)
	v_dual_cndmask_b32 v67, 0, v67 :: v_dual_cndmask_b32 v66, 3, v66
	v_cmp_ne_u64_e32 vcc_lo, 0, v[66:67]
	s_or_b32 s13, s13, vcc_lo
	s_delay_alu instid0(SALU_CYCLE_1) | instskip(NEXT) | instid1(SALU_CYCLE_1)
	s_and_saveexec_b32 s75, s13
	s_xor_b32 s13, exec_lo, s75
; %bb.2300:                             ;   in Loop: Header=BB4_2226 Depth=4
	v_min_i32_e32 v2, 31, v15
	s_delay_alu instid0(VALU_DEP_1) | instskip(NEXT) | instid1(VALU_DEP_1)
	v_lshl_or_b32 v2, v2, 2, v5
                                        ; implicit-def: $vgpr5
	v_and_or_b32 v116, v66, 3, v2
; %bb.2301:                             ;   in Loop: Header=BB4_2226 Depth=4
	s_and_not1_saveexec_b32 s13, s13
; %bb.2302:                             ;   in Loop: Header=BB4_2226 Depth=4
	v_mov_b32_e32 v116, v5
; %bb.2303:                             ;   in Loop: Header=BB4_2226 Depth=4
	s_or_b32 exec_lo, exec_lo, s13
.LBB4_2304:                             ;   in Loop: Header=BB4_2226 Depth=4
	s_delay_alu instid0(SALU_CYCLE_1)
	s_or_b32 exec_lo, exec_lo, s74
                                        ; implicit-def: $vgpr5
.LBB4_2305:                             ;   in Loop: Header=BB4_2226 Depth=4
	s_and_not1_saveexec_b32 s13, s73
; %bb.2306:                             ;   in Loop: Header=BB4_2226 Depth=4
	v_or_b32_e32 v116, 0x7b, v5
; %bb.2307:                             ;   in Loop: Header=BB4_2226 Depth=4
	s_or_b32 exec_lo, exec_lo, s13
                                        ; implicit-def: $vgpr15
.LBB4_2308:                             ;   in Loop: Header=BB4_2226 Depth=4
	s_and_not1_saveexec_b32 s13, s72
	s_cbranch_execz .LBB4_2314
; %bb.2309:                             ;   in Loop: Header=BB4_2226 Depth=4
	s_mov_b32 s72, exec_lo
                                        ; implicit-def: $vgpr116
	v_cmpx_ne_u64_e32 0, v[2:3]
	s_xor_b32 s72, exec_lo, s72
; %bb.2310:                             ;   in Loop: Header=BB4_2226 Depth=4
	v_lshrrev_b32_e32 v2, 24, v15
                                        ; implicit-def: $vgpr15
	s_delay_alu instid0(VALU_DEP_1)
	v_or_b32_e32 v116, 0x7f, v2
; %bb.2311:                             ;   in Loop: Header=BB4_2226 Depth=4
	s_and_not1_saveexec_b32 s72, s72
; %bb.2312:                             ;   in Loop: Header=BB4_2226 Depth=4
	v_cmp_lt_i32_e32 vcc_lo, -1, v15
	v_cndmask_b32_e64 v116, -4, 0x7c, vcc_lo
; %bb.2313:                             ;   in Loop: Header=BB4_2226 Depth=4
	s_or_b32 exec_lo, exec_lo, s72
.LBB4_2314:                             ;   in Loop: Header=BB4_2226 Depth=4
	s_delay_alu instid0(SALU_CYCLE_1)
	s_or_b32 exec_lo, exec_lo, s13
	v_dual_mov_b32 v2, 0 :: v_dual_mov_b32 v5, 0
	s_mov_b32 s13, exec_lo
	v_cmpx_ne_u16_e32 0, v4
	s_cbranch_execz .LBB4_2324
; %bb.2315:                             ;   in Loop: Header=BB4_2226 Depth=4
	v_bfrev_b32_e32 v5, 1
	s_mov_b32 s72, exec_lo
	v_cmpx_ne_u16_e32 0xff80, v4
	s_cbranch_execz .LBB4_2323
; %bb.2316:                             ;   in Loop: Header=BB4_2226 Depth=4
	v_and_b32_e32 v5, 0x7c, v4
	v_and_b32_e32 v15, 3, v4
	s_delay_alu instid0(VALU_DEP_2) | instskip(SKIP_1) | instid1(SALU_CYCLE_1)
	v_cmp_ne_u32_e32 vcc_lo, 0x7c, v5
                                        ; implicit-def: $vgpr5
	s_and_saveexec_b32 s73, vcc_lo
	s_xor_b32 s73, exec_lo, s73
	s_cbranch_execz .LBB4_2320
; %bb.2317:                             ;   in Loop: Header=BB4_2226 Depth=4
	v_and_b32_e32 v5, 0xff, v4
	s_mov_b32 s74, exec_lo
	s_delay_alu instid0(VALU_DEP_1) | instskip(NEXT) | instid1(VALU_DEP_1)
	v_bfe_u32 v5, v5, 2, 5
	v_cmpx_eq_u32_e32 0, v5
; %bb.2318:                             ;   in Loop: Header=BB4_2226 Depth=4
	v_clz_i32_u32_e32 v5, v15
	s_delay_alu instid0(VALU_DEP_1) | instskip(SKIP_1) | instid1(VALU_DEP_2)
	v_min_u32_e32 v15, 32, v5
	v_mov_b32_e32 v5, v3
	v_subrev_nc_u32_e32 v17, 29, v15
	s_delay_alu instid0(VALU_DEP_1) | instskip(NEXT) | instid1(VALU_DEP_1)
	v_lshlrev_b64_e32 v[66:67], v17, v[4:5]
	v_dual_sub_nc_u32 v5, 30, v15 :: v_dual_bitop2_b32 v15, 3, v66 bitop3:0x40
; %bb.2319:                             ;   in Loop: Header=BB4_2226 Depth=4
	s_or_b32 exec_lo, exec_lo, s74
	v_bfe_i32 v4, v4, 0, 16
	s_delay_alu instid0(VALU_DEP_1) | instskip(NEXT) | instid1(VALU_DEP_1)
	v_and_b32_e32 v4, 0x80000000, v4
	v_lshl_add_u32 v4, v5, 23, v4
	s_delay_alu instid0(VALU_DEP_1) | instskip(NEXT) | instid1(VALU_DEP_1)
	v_lshl_or_b32 v4, v15, 21, v4
                                        ; implicit-def: $vgpr15
	v_add_nc_u32_e32 v5, 0x38000000, v4
                                        ; implicit-def: $vgpr4
.LBB4_2320:                             ;   in Loop: Header=BB4_2226 Depth=4
	s_and_not1_saveexec_b32 s73, s73
; %bb.2321:                             ;   in Loop: Header=BB4_2226 Depth=4
	v_cmp_lt_i16_e32 vcc_lo, -1, v4
	v_cndmask_b32_e32 v4, 0xff800000, v112, vcc_lo
	v_cmp_eq_u32_e32 vcc_lo, 0, v15
	s_delay_alu instid0(VALU_DEP_2)
	v_cndmask_b32_e32 v5, 0x7f800001, v4, vcc_lo
; %bb.2322:                             ;   in Loop: Header=BB4_2226 Depth=4
	s_or_b32 exec_lo, exec_lo, s73
.LBB4_2323:                             ;   in Loop: Header=BB4_2226 Depth=4
	s_delay_alu instid0(SALU_CYCLE_1)
	s_or_b32 exec_lo, exec_lo, s72
.LBB4_2324:                             ;   in Loop: Header=BB4_2226 Depth=4
	s_delay_alu instid0(SALU_CYCLE_1) | instskip(NEXT) | instid1(SALU_CYCLE_1)
	s_or_b32 exec_lo, exec_lo, s13
	s_mov_b32 s13, exec_lo
	s_wait_loadcnt_dscnt 0xd0d
	v_cmpx_ne_u16_e32 0, v84
	s_cbranch_execz .LBB4_2334
; %bb.2325:                             ;   in Loop: Header=BB4_2226 Depth=4
	v_bfrev_b32_e32 v2, 1
	s_mov_b32 s72, exec_lo
	v_cmpx_ne_u16_e32 0xff80, v84
	s_cbranch_execz .LBB4_2333
; %bb.2326:                             ;   in Loop: Header=BB4_2226 Depth=4
	v_and_b32_e32 v2, 0x7c, v84
	v_and_b32_e32 v4, 3, v84
	s_delay_alu instid0(VALU_DEP_2) | instskip(SKIP_1) | instid1(SALU_CYCLE_1)
	v_cmp_ne_u32_e32 vcc_lo, 0x7c, v2
                                        ; implicit-def: $vgpr2
	s_and_saveexec_b32 s73, vcc_lo
	s_xor_b32 s73, exec_lo, s73
	s_cbranch_execz .LBB4_2330
; %bb.2327:                             ;   in Loop: Header=BB4_2226 Depth=4
	v_and_b32_e32 v2, 0xff, v84
	s_mov_b32 s74, exec_lo
	s_delay_alu instid0(VALU_DEP_1) | instskip(NEXT) | instid1(VALU_DEP_1)
	v_bfe_u32 v2, v2, 2, 5
	v_cmpx_eq_u32_e32 0, v2
	s_cbranch_execz .LBB4_2329
; %bb.2328:                             ;   in Loop: Header=BB4_2226 Depth=4
	v_clz_i32_u32_e32 v2, v4
	s_delay_alu instid0(VALU_DEP_1) | instskip(SKIP_1) | instid1(VALU_DEP_2)
	v_min_u32_e32 v2, 32, v2
	v_mov_b32_e32 v85, v3
	v_subrev_nc_u32_e32 v4, 29, v2
	v_sub_nc_u32_e32 v2, 30, v2
	s_delay_alu instid0(VALU_DEP_2) | instskip(NEXT) | instid1(VALU_DEP_1)
	v_lshlrev_b64_e32 v[66:67], v4, v[84:85]
	v_and_b32_e32 v4, 3, v66
.LBB4_2329:                             ;   in Loop: Header=BB4_2226 Depth=4
	s_or_b32 exec_lo, exec_lo, s74
	v_bfe_i32 v15, v84, 0, 16
                                        ; implicit-def: $vgpr84
	s_delay_alu instid0(VALU_DEP_1) | instskip(NEXT) | instid1(VALU_DEP_1)
	v_and_b32_e32 v15, 0x80000000, v15
	v_lshl_add_u32 v2, v2, 23, v15
	s_delay_alu instid0(VALU_DEP_1) | instskip(NEXT) | instid1(VALU_DEP_1)
	v_lshl_or_b32 v2, v4, 21, v2
                                        ; implicit-def: $vgpr4
	v_add_nc_u32_e32 v2, 0x38000000, v2
.LBB4_2330:                             ;   in Loop: Header=BB4_2226 Depth=4
	s_and_not1_saveexec_b32 s73, s73
; %bb.2331:                             ;   in Loop: Header=BB4_2226 Depth=4
	v_cmp_lt_i16_e32 vcc_lo, -1, v84
	v_cndmask_b32_e32 v2, 0xff800000, v112, vcc_lo
	v_cmp_eq_u32_e32 vcc_lo, 0, v4
	s_delay_alu instid0(VALU_DEP_2)
	v_cndmask_b32_e32 v2, 0x7f800001, v2, vcc_lo
; %bb.2332:                             ;   in Loop: Header=BB4_2226 Depth=4
	s_or_b32 exec_lo, exec_lo, s73
.LBB4_2333:                             ;   in Loop: Header=BB4_2226 Depth=4
	s_delay_alu instid0(SALU_CYCLE_1)
	s_or_b32 exec_lo, exec_lo, s72
.LBB4_2334:                             ;   in Loop: Header=BB4_2226 Depth=4
	s_delay_alu instid0(SALU_CYCLE_1) | instskip(NEXT) | instid1(VALU_DEP_1)
	s_or_b32 exec_lo, exec_lo, s13
	v_dual_mul_f32 v4, v5, v2 :: v_dual_mov_b32 v67, v3
	s_delay_alu instid0(VALU_DEP_1) | instskip(SKIP_1) | instid1(VALU_DEP_2)
	v_and_b32_e32 v66, 0x7f800000, v4
	v_and_b32_e32 v2, 0x7fffff, v4
	v_cmp_ne_u64_e32 vcc_lo, 0x7f800000, v[66:67]
                                        ; implicit-def: $vgpr66
	s_and_saveexec_b32 s13, vcc_lo
	s_delay_alu instid0(SALU_CYCLE_1)
	s_xor_b32 s72, exec_lo, s13
	s_cbranch_execz .LBB4_2352
; %bb.2335:                             ;   in Loop: Header=BB4_2226 Depth=4
	v_and_b32_e32 v66, 0x7fffffff, v4
	v_dual_mov_b32 v67, v3 :: v_dual_lshrrev_b32 v5, 24, v4
	s_delay_alu instid0(VALU_DEP_1) | instskip(NEXT) | instid1(VALU_DEP_2)
	v_cmp_gt_u64_e32 vcc_lo, 0x47600001, v[66:67]
	v_and_b32_e32 v15, 0x80, v5
                                        ; implicit-def: $vgpr66
	s_and_saveexec_b32 s13, vcc_lo
	s_delay_alu instid0(SALU_CYCLE_1)
	s_xor_b32 s73, exec_lo, s13
	s_cbranch_execz .LBB4_2349
; %bb.2336:                             ;   in Loop: Header=BB4_2226 Depth=4
	v_mov_b32_e32 v66, 0
	s_mov_b32 s74, exec_lo
	v_cmpx_ne_u32_e32 0, v4
	s_cbranch_execz .LBB4_2348
; %bb.2337:                             ;   in Loop: Header=BB4_2226 Depth=4
	v_bfe_u32 v17, v4, 23, 8
	v_or_b32_e32 v21, 0x800000, v2
	s_delay_alu instid0(VALU_DEP_2) | instskip(SKIP_1) | instid1(VALU_DEP_2)
	v_sub_nc_u32_e32 v4, 0x71, v17
	v_cmp_gt_u32_e32 vcc_lo, 0x72, v17
	v_cndmask_b32_e32 v4, 0, v4, vcc_lo
	v_cmp_eq_u32_e32 vcc_lo, 0, v17
	s_delay_alu instid0(VALU_DEP_2) | instskip(NEXT) | instid1(VALU_DEP_1)
	v_cndmask_b32_e64 v19, v4, 0x70, vcc_lo
	v_dual_cndmask_b32 v2, v21, v2, vcc_lo :: v_dual_add_nc_u32 v4, 21, v19
	v_add_nc_u32_e32 v23, 20, v19
	s_delay_alu instid0(VALU_DEP_2) | instskip(NEXT) | instid1(VALU_DEP_2)
	v_lshlrev_b64_e64 v[4:5], v4, -1
	v_lshlrev_b64_e64 v[66:67], v23, 1
	s_delay_alu instid0(VALU_DEP_2) | instskip(NEXT) | instid1(VALU_DEP_3)
	v_bfi_b32 v85, v5, 0, 0
	v_bfi_b32 v84, v4, 0, v2
	v_lshrrev_b64 v[4:5], v19, v[2:3]
	s_delay_alu instid0(VALU_DEP_2) | instskip(NEXT) | instid1(VALU_DEP_2)
	v_cmp_eq_u64_e64 s13, v[84:85], v[66:67]
	v_mov_b64_e32 v[66:67], v[4:5]
	s_and_saveexec_b32 s75, s13
; %bb.2338:                             ;   in Loop: Header=BB4_2226 Depth=4
	v_bfe_u32 v2, v4, 21, 1
	s_delay_alu instid0(VALU_DEP_1) | instskip(NEXT) | instid1(VALU_DEP_1)
	v_add_nc_u64_e32 v[66:67], v[4:5], v[2:3]
	v_add_nc_u64_e32 v[66:67], -1, v[66:67]
; %bb.2339:                             ;   in Loop: Header=BB4_2226 Depth=4
	s_or_b32 exec_lo, exec_lo, s75
	v_add_nc_u32_e32 v2, 0xffffff81, v17
	v_lshrrev_b32_e32 v5, 23, v4
	s_mov_b32 s13, exec_lo
                                        ; implicit-def: $vgpr17
	s_delay_alu instid0(VALU_DEP_2) | instskip(NEXT) | instid1(VALU_DEP_1)
	v_cndmask_b32_e64 v2, v2, 0xffffff82, vcc_lo
	v_add3_u32 v19, v19, v2, v5
	v_and_b32_e32 v2, 0x1fffff, v66
	s_delay_alu instid0(VALU_DEP_1) | instskip(NEXT) | instid1(VALU_DEP_1)
	v_dual_add_nc_u32 v21, 14, v19 :: v_dual_add_nc_u32 v2, v2, v4
                                        ; implicit-def: $vgpr4_vgpr5
	v_cmpx_ne_u32_e32 0, v21
	s_xor_b32 s13, exec_lo, s13
; %bb.2340:                             ;   in Loop: Header=BB4_2226 Depth=4
	s_delay_alu instid0(VALU_DEP_2) | instskip(SKIP_1) | instid1(VALU_DEP_1)
	v_cmp_lt_u64_e32 vcc_lo, 0xffffff, v[2:3]
	v_add_nc_u32_e32 v4, 15, v19
	v_cndmask_b32_e32 v17, v21, v4, vcc_lo
	v_cndmask_b32_e64 v4, 0, 1, vcc_lo
	s_delay_alu instid0(VALU_DEP_1)
	v_lshrrev_b64 v[4:5], v4, v[2:3]
; %bb.2341:                             ;   in Loop: Header=BB4_2226 Depth=4
	s_and_not1_saveexec_b32 s13, s13
; %bb.2342:                             ;   in Loop: Header=BB4_2226 Depth=4
	v_mov_b64_e32 v[4:5], v[2:3]
	v_bfe_u32 v17, v2, 23, 1
; %bb.2343:                             ;   in Loop: Header=BB4_2226 Depth=4
	s_or_b32 exec_lo, exec_lo, s13
	s_delay_alu instid0(VALU_DEP_2) | instskip(NEXT) | instid1(VALU_DEP_2)
	v_lshrrev_b64 v[4:5], 21, v[4:5]
	v_cmp_gt_i32_e32 vcc_lo, 32, v17
	v_cmp_ne_u32_e64 s13, 0, v17
                                        ; implicit-def: $vgpr66
	s_delay_alu instid0(VALU_DEP_3) | instskip(NEXT) | instid1(VALU_DEP_1)
	v_dual_cndmask_b32 v5, 0, v5 :: v_dual_cndmask_b32 v4, 3, v4
	v_cmp_ne_u64_e32 vcc_lo, 0, v[4:5]
	s_or_b32 s13, s13, vcc_lo
	s_delay_alu instid0(SALU_CYCLE_1) | instskip(NEXT) | instid1(SALU_CYCLE_1)
	s_and_saveexec_b32 s75, s13
	s_xor_b32 s13, exec_lo, s75
; %bb.2344:                             ;   in Loop: Header=BB4_2226 Depth=4
	v_min_i32_e32 v2, 31, v17
	s_delay_alu instid0(VALU_DEP_1) | instskip(NEXT) | instid1(VALU_DEP_1)
	v_lshl_or_b32 v2, v2, 2, v15
                                        ; implicit-def: $vgpr15
	v_and_or_b32 v66, v4, 3, v2
; %bb.2345:                             ;   in Loop: Header=BB4_2226 Depth=4
	s_and_not1_saveexec_b32 s13, s13
; %bb.2346:                             ;   in Loop: Header=BB4_2226 Depth=4
	v_mov_b32_e32 v66, v15
; %bb.2347:                             ;   in Loop: Header=BB4_2226 Depth=4
	s_or_b32 exec_lo, exec_lo, s13
.LBB4_2348:                             ;   in Loop: Header=BB4_2226 Depth=4
	s_delay_alu instid0(SALU_CYCLE_1)
	s_or_b32 exec_lo, exec_lo, s74
                                        ; implicit-def: $vgpr15
.LBB4_2349:                             ;   in Loop: Header=BB4_2226 Depth=4
	s_and_not1_saveexec_b32 s13, s73
; %bb.2350:                             ;   in Loop: Header=BB4_2226 Depth=4
	v_or_b32_e32 v66, 0x7b, v15
; %bb.2351:                             ;   in Loop: Header=BB4_2226 Depth=4
	s_or_b32 exec_lo, exec_lo, s13
                                        ; implicit-def: $vgpr4
.LBB4_2352:                             ;   in Loop: Header=BB4_2226 Depth=4
	s_and_not1_saveexec_b32 s13, s72
	s_cbranch_execz .LBB4_2358
; %bb.2353:                             ;   in Loop: Header=BB4_2226 Depth=4
	s_mov_b32 s72, exec_lo
                                        ; implicit-def: $vgpr66
	v_cmpx_ne_u64_e32 0, v[2:3]
	s_xor_b32 s72, exec_lo, s72
; %bb.2354:                             ;   in Loop: Header=BB4_2226 Depth=4
	v_lshrrev_b32_e32 v2, 24, v4
                                        ; implicit-def: $vgpr4
	s_delay_alu instid0(VALU_DEP_1)
	v_or_b32_e32 v66, 0x7f, v2
; %bb.2355:                             ;   in Loop: Header=BB4_2226 Depth=4
	s_and_not1_saveexec_b32 s72, s72
; %bb.2356:                             ;   in Loop: Header=BB4_2226 Depth=4
	v_cmp_lt_i32_e32 vcc_lo, -1, v4
	v_cndmask_b32_e64 v66, -4, 0x7c, vcc_lo
; %bb.2357:                             ;   in Loop: Header=BB4_2226 Depth=4
	s_or_b32 exec_lo, exec_lo, s72
.LBB4_2358:                             ;   in Loop: Header=BB4_2226 Depth=4
	s_delay_alu instid0(SALU_CYCLE_1)
	s_or_b32 exec_lo, exec_lo, s13
	v_dual_mov_b32 v2, 0 :: v_dual_mov_b32 v4, 0
	s_mov_b32 s13, exec_lo
	v_cmpx_ne_u16_e32 0, v30
	s_cbranch_execz .LBB4_2368
; %bb.2359:                             ;   in Loop: Header=BB4_2226 Depth=4
	v_bfrev_b32_e32 v4, 1
	s_mov_b32 s72, exec_lo
	v_cmpx_ne_u16_e32 0xff80, v30
	s_cbranch_execz .LBB4_2367
; %bb.2360:                             ;   in Loop: Header=BB4_2226 Depth=4
	v_and_b32_e32 v4, 0x7c, v30
	v_and_b32_e32 v5, 3, v30
	s_delay_alu instid0(VALU_DEP_2) | instskip(SKIP_1) | instid1(SALU_CYCLE_1)
	v_cmp_ne_u32_e32 vcc_lo, 0x7c, v4
                                        ; implicit-def: $vgpr4
	s_and_saveexec_b32 s73, vcc_lo
	s_xor_b32 s73, exec_lo, s73
	s_cbranch_execz .LBB4_2364
; %bb.2361:                             ;   in Loop: Header=BB4_2226 Depth=4
	v_and_b32_e32 v4, 0xff, v30
	s_mov_b32 s74, exec_lo
	s_delay_alu instid0(VALU_DEP_1) | instskip(NEXT) | instid1(VALU_DEP_1)
	v_bfe_u32 v4, v4, 2, 5
	v_cmpx_eq_u32_e32 0, v4
	s_cbranch_execz .LBB4_2363
; %bb.2362:                             ;   in Loop: Header=BB4_2226 Depth=4
	v_clz_i32_u32_e32 v4, v5
	s_delay_alu instid0(VALU_DEP_1) | instskip(SKIP_1) | instid1(VALU_DEP_2)
	v_min_u32_e32 v4, 32, v4
	v_mov_b32_e32 v31, v3
	v_subrev_nc_u32_e32 v5, 29, v4
	v_sub_nc_u32_e32 v4, 30, v4
	s_delay_alu instid0(VALU_DEP_2) | instskip(NEXT) | instid1(VALU_DEP_1)
	v_lshlrev_b64_e32 v[84:85], v5, v[30:31]
	v_and_b32_e32 v5, 3, v84
.LBB4_2363:                             ;   in Loop: Header=BB4_2226 Depth=4
	s_or_b32 exec_lo, exec_lo, s74
	v_bfe_i32 v15, v30, 0, 16
                                        ; implicit-def: $vgpr30
	s_delay_alu instid0(VALU_DEP_1) | instskip(NEXT) | instid1(VALU_DEP_1)
	v_and_b32_e32 v15, 0x80000000, v15
	v_lshl_add_u32 v4, v4, 23, v15
	s_delay_alu instid0(VALU_DEP_1) | instskip(NEXT) | instid1(VALU_DEP_1)
	v_lshl_or_b32 v4, v5, 21, v4
                                        ; implicit-def: $vgpr5
	v_add_nc_u32_e32 v4, 0x38000000, v4
.LBB4_2364:                             ;   in Loop: Header=BB4_2226 Depth=4
	s_and_not1_saveexec_b32 s73, s73
; %bb.2365:                             ;   in Loop: Header=BB4_2226 Depth=4
	v_cmp_lt_i16_e32 vcc_lo, -1, v30
	v_cndmask_b32_e32 v4, 0xff800000, v112, vcc_lo
	v_cmp_eq_u32_e32 vcc_lo, 0, v5
	s_delay_alu instid0(VALU_DEP_2)
	v_cndmask_b32_e32 v4, 0x7f800001, v4, vcc_lo
; %bb.2366:                             ;   in Loop: Header=BB4_2226 Depth=4
	s_or_b32 exec_lo, exec_lo, s73
.LBB4_2367:                             ;   in Loop: Header=BB4_2226 Depth=4
	s_delay_alu instid0(SALU_CYCLE_1)
	s_or_b32 exec_lo, exec_lo, s72
.LBB4_2368:                             ;   in Loop: Header=BB4_2226 Depth=4
	s_delay_alu instid0(SALU_CYCLE_1) | instskip(NEXT) | instid1(SALU_CYCLE_1)
	s_or_b32 exec_lo, exec_lo, s13
	s_mov_b32 s13, exec_lo
	s_wait_loadcnt_dscnt 0xc0c
	v_cmpx_ne_u16_e32 0, v24
	s_cbranch_execz .LBB4_2378
; %bb.2369:                             ;   in Loop: Header=BB4_2226 Depth=4
	v_bfrev_b32_e32 v2, 1
	s_mov_b32 s72, exec_lo
	v_cmpx_ne_u16_e32 0xff80, v24
	s_cbranch_execz .LBB4_2377
; %bb.2370:                             ;   in Loop: Header=BB4_2226 Depth=4
	v_and_b32_e32 v2, 0x7c, v24
	v_and_b32_e32 v5, 3, v24
	s_delay_alu instid0(VALU_DEP_2) | instskip(SKIP_1) | instid1(SALU_CYCLE_1)
	v_cmp_ne_u32_e32 vcc_lo, 0x7c, v2
                                        ; implicit-def: $vgpr2
	s_and_saveexec_b32 s73, vcc_lo
	s_xor_b32 s73, exec_lo, s73
	s_cbranch_execz .LBB4_2374
; %bb.2371:                             ;   in Loop: Header=BB4_2226 Depth=4
	v_and_b32_e32 v2, 0xff, v24
	s_mov_b32 s74, exec_lo
	s_delay_alu instid0(VALU_DEP_1) | instskip(NEXT) | instid1(VALU_DEP_1)
	v_bfe_u32 v2, v2, 2, 5
	v_cmpx_eq_u32_e32 0, v2
	s_cbranch_execz .LBB4_2373
; %bb.2372:                             ;   in Loop: Header=BB4_2226 Depth=4
	v_clz_i32_u32_e32 v2, v5
	s_delay_alu instid0(VALU_DEP_1) | instskip(SKIP_1) | instid1(VALU_DEP_2)
	v_min_u32_e32 v2, 32, v2
	v_mov_b32_e32 v25, v3
	v_subrev_nc_u32_e32 v5, 29, v2
	v_sub_nc_u32_e32 v2, 30, v2
	s_delay_alu instid0(VALU_DEP_2) | instskip(NEXT) | instid1(VALU_DEP_1)
	v_lshlrev_b64_e32 v[30:31], v5, v[24:25]
	v_and_b32_e32 v5, 3, v30
.LBB4_2373:                             ;   in Loop: Header=BB4_2226 Depth=4
	s_or_b32 exec_lo, exec_lo, s74
	v_bfe_i32 v15, v24, 0, 16
                                        ; implicit-def: $vgpr24
	s_delay_alu instid0(VALU_DEP_1) | instskip(NEXT) | instid1(VALU_DEP_1)
	v_and_b32_e32 v15, 0x80000000, v15
	v_lshl_add_u32 v2, v2, 23, v15
	s_delay_alu instid0(VALU_DEP_1) | instskip(NEXT) | instid1(VALU_DEP_1)
	v_lshl_or_b32 v2, v5, 21, v2
                                        ; implicit-def: $vgpr5
	v_add_nc_u32_e32 v2, 0x38000000, v2
.LBB4_2374:                             ;   in Loop: Header=BB4_2226 Depth=4
	s_and_not1_saveexec_b32 s73, s73
; %bb.2375:                             ;   in Loop: Header=BB4_2226 Depth=4
	v_cmp_lt_i16_e32 vcc_lo, -1, v24
	v_cndmask_b32_e32 v2, 0xff800000, v112, vcc_lo
	v_cmp_eq_u32_e32 vcc_lo, 0, v5
	s_delay_alu instid0(VALU_DEP_2)
	v_cndmask_b32_e32 v2, 0x7f800001, v2, vcc_lo
; %bb.2376:                             ;   in Loop: Header=BB4_2226 Depth=4
	s_or_b32 exec_lo, exec_lo, s73
.LBB4_2377:                             ;   in Loop: Header=BB4_2226 Depth=4
	s_delay_alu instid0(SALU_CYCLE_1)
	s_or_b32 exec_lo, exec_lo, s72
.LBB4_2378:                             ;   in Loop: Header=BB4_2226 Depth=4
	s_delay_alu instid0(SALU_CYCLE_1) | instskip(NEXT) | instid1(VALU_DEP_1)
	s_or_b32 exec_lo, exec_lo, s13
	v_dual_mul_f32 v4, v4, v2 :: v_dual_mov_b32 v25, v3
                                        ; implicit-def: $vgpr30
	s_mov_b32 s13, exec_lo
	s_delay_alu instid0(VALU_DEP_1) | instskip(SKIP_1) | instid1(VALU_DEP_2)
	v_and_b32_e32 v24, 0x7f800000, v4
	v_and_b32_e32 v2, 0x7fffff, v4
	v_cmpx_ne_u64_e32 0x7f800000, v[24:25]
	s_xor_b32 s72, exec_lo, s13
	s_cbranch_execz .LBB4_2396
; %bb.2379:                             ;   in Loop: Header=BB4_2226 Depth=4
	v_dual_mov_b32 v25, v3 :: v_dual_lshrrev_b32 v5, 24, v4
	v_and_b32_e32 v24, 0x7fffffff, v4
                                        ; implicit-def: $vgpr30
	s_mov_b32 s13, exec_lo
	s_delay_alu instid0(VALU_DEP_2) | instskip(NEXT) | instid1(VALU_DEP_2)
	v_and_b32_e32 v15, 0x80, v5
	v_cmpx_gt_u64_e32 0x47600001, v[24:25]
	s_xor_b32 s73, exec_lo, s13
	s_cbranch_execz .LBB4_2393
; %bb.2380:                             ;   in Loop: Header=BB4_2226 Depth=4
	v_mov_b32_e32 v30, 0
	s_mov_b32 s74, exec_lo
	v_cmpx_ne_u32_e32 0, v4
	s_cbranch_execz .LBB4_2392
; %bb.2381:                             ;   in Loop: Header=BB4_2226 Depth=4
	v_bfe_u32 v17, v4, 23, 8
	v_or_b32_e32 v21, 0x800000, v2
	s_delay_alu instid0(VALU_DEP_2) | instskip(SKIP_1) | instid1(VALU_DEP_2)
	v_sub_nc_u32_e32 v4, 0x71, v17
	v_cmp_gt_u32_e32 vcc_lo, 0x72, v17
	v_cndmask_b32_e32 v4, 0, v4, vcc_lo
	v_cmp_eq_u32_e32 vcc_lo, 0, v17
	s_delay_alu instid0(VALU_DEP_2) | instskip(NEXT) | instid1(VALU_DEP_1)
	v_cndmask_b32_e64 v19, v4, 0x70, vcc_lo
	v_dual_cndmask_b32 v2, v21, v2, vcc_lo :: v_dual_add_nc_u32 v4, 21, v19
	v_add_nc_u32_e32 v23, 20, v19
	s_delay_alu instid0(VALU_DEP_2) | instskip(NEXT) | instid1(VALU_DEP_2)
	v_lshlrev_b64_e64 v[4:5], v4, -1
	v_lshlrev_b64_e64 v[24:25], v23, 1
	s_delay_alu instid0(VALU_DEP_2) | instskip(NEXT) | instid1(VALU_DEP_3)
	v_bfi_b32 v31, v5, 0, 0
	v_bfi_b32 v30, v4, 0, v2
	v_lshrrev_b64 v[4:5], v19, v[2:3]
	s_delay_alu instid0(VALU_DEP_2) | instskip(NEXT) | instid1(VALU_DEP_2)
	v_cmp_eq_u64_e64 s13, v[30:31], v[24:25]
	v_mov_b64_e32 v[24:25], v[4:5]
	s_and_saveexec_b32 s75, s13
; %bb.2382:                             ;   in Loop: Header=BB4_2226 Depth=4
	v_bfe_u32 v2, v4, 21, 1
	s_delay_alu instid0(VALU_DEP_1) | instskip(NEXT) | instid1(VALU_DEP_1)
	v_add_nc_u64_e32 v[24:25], v[4:5], v[2:3]
	v_add_nc_u64_e32 v[24:25], -1, v[24:25]
; %bb.2383:                             ;   in Loop: Header=BB4_2226 Depth=4
	s_or_b32 exec_lo, exec_lo, s75
	v_add_nc_u32_e32 v2, 0xffffff81, v17
	v_lshrrev_b32_e32 v5, 23, v4
	s_mov_b32 s13, exec_lo
                                        ; implicit-def: $vgpr17
	s_delay_alu instid0(VALU_DEP_2) | instskip(NEXT) | instid1(VALU_DEP_1)
	v_cndmask_b32_e64 v2, v2, 0xffffff82, vcc_lo
	v_add3_u32 v19, v19, v2, v5
	v_and_b32_e32 v2, 0x1fffff, v24
	s_delay_alu instid0(VALU_DEP_1) | instskip(NEXT) | instid1(VALU_DEP_1)
	v_dual_add_nc_u32 v21, 14, v19 :: v_dual_add_nc_u32 v2, v2, v4
                                        ; implicit-def: $vgpr4_vgpr5
	v_cmpx_ne_u32_e32 0, v21
	s_xor_b32 s13, exec_lo, s13
; %bb.2384:                             ;   in Loop: Header=BB4_2226 Depth=4
	s_delay_alu instid0(VALU_DEP_2) | instskip(SKIP_1) | instid1(VALU_DEP_1)
	v_cmp_lt_u64_e32 vcc_lo, 0xffffff, v[2:3]
	v_add_nc_u32_e32 v4, 15, v19
	v_cndmask_b32_e32 v17, v21, v4, vcc_lo
	v_cndmask_b32_e64 v4, 0, 1, vcc_lo
	s_delay_alu instid0(VALU_DEP_1)
	v_lshrrev_b64 v[4:5], v4, v[2:3]
; %bb.2385:                             ;   in Loop: Header=BB4_2226 Depth=4
	s_and_not1_saveexec_b32 s13, s13
; %bb.2386:                             ;   in Loop: Header=BB4_2226 Depth=4
	v_mov_b64_e32 v[4:5], v[2:3]
	v_bfe_u32 v17, v2, 23, 1
; %bb.2387:                             ;   in Loop: Header=BB4_2226 Depth=4
	s_or_b32 exec_lo, exec_lo, s13
	s_delay_alu instid0(VALU_DEP_2) | instskip(NEXT) | instid1(VALU_DEP_2)
	v_lshrrev_b64 v[4:5], 21, v[4:5]
	v_cmp_gt_i32_e32 vcc_lo, 32, v17
	v_cmp_ne_u32_e64 s13, 0, v17
                                        ; implicit-def: $vgpr30
	s_delay_alu instid0(VALU_DEP_3) | instskip(NEXT) | instid1(VALU_DEP_1)
	v_dual_cndmask_b32 v5, 0, v5 :: v_dual_cndmask_b32 v4, 3, v4
	v_cmp_ne_u64_e32 vcc_lo, 0, v[4:5]
	s_or_b32 s13, s13, vcc_lo
	s_delay_alu instid0(SALU_CYCLE_1) | instskip(NEXT) | instid1(SALU_CYCLE_1)
	s_and_saveexec_b32 s75, s13
	s_xor_b32 s13, exec_lo, s75
; %bb.2388:                             ;   in Loop: Header=BB4_2226 Depth=4
	v_min_i32_e32 v2, 31, v17
	s_delay_alu instid0(VALU_DEP_1) | instskip(NEXT) | instid1(VALU_DEP_1)
	v_lshl_or_b32 v2, v2, 2, v15
                                        ; implicit-def: $vgpr15
	v_and_or_b32 v30, v4, 3, v2
; %bb.2389:                             ;   in Loop: Header=BB4_2226 Depth=4
	s_and_not1_saveexec_b32 s13, s13
; %bb.2390:                             ;   in Loop: Header=BB4_2226 Depth=4
	v_mov_b32_e32 v30, v15
; %bb.2391:                             ;   in Loop: Header=BB4_2226 Depth=4
	s_or_b32 exec_lo, exec_lo, s13
.LBB4_2392:                             ;   in Loop: Header=BB4_2226 Depth=4
	s_delay_alu instid0(SALU_CYCLE_1)
	s_or_b32 exec_lo, exec_lo, s74
                                        ; implicit-def: $vgpr15
.LBB4_2393:                             ;   in Loop: Header=BB4_2226 Depth=4
	s_and_not1_saveexec_b32 s13, s73
; %bb.2394:                             ;   in Loop: Header=BB4_2226 Depth=4
	v_or_b32_e32 v30, 0x7b, v15
; %bb.2395:                             ;   in Loop: Header=BB4_2226 Depth=4
	s_or_b32 exec_lo, exec_lo, s13
                                        ; implicit-def: $vgpr4
.LBB4_2396:                             ;   in Loop: Header=BB4_2226 Depth=4
	s_and_not1_saveexec_b32 s13, s72
	s_cbranch_execz .LBB4_2402
; %bb.2397:                             ;   in Loop: Header=BB4_2226 Depth=4
	s_mov_b32 s72, exec_lo
                                        ; implicit-def: $vgpr30
	v_cmpx_ne_u64_e32 0, v[2:3]
	s_xor_b32 s72, exec_lo, s72
; %bb.2398:                             ;   in Loop: Header=BB4_2226 Depth=4
	v_lshrrev_b32_e32 v2, 24, v4
                                        ; implicit-def: $vgpr4
	s_delay_alu instid0(VALU_DEP_1)
	v_or_b32_e32 v30, 0x7f, v2
; %bb.2399:                             ;   in Loop: Header=BB4_2226 Depth=4
	s_and_not1_saveexec_b32 s72, s72
; %bb.2400:                             ;   in Loop: Header=BB4_2226 Depth=4
	v_cmp_lt_i32_e32 vcc_lo, -1, v4
	v_cndmask_b32_e64 v30, -4, 0x7c, vcc_lo
; %bb.2401:                             ;   in Loop: Header=BB4_2226 Depth=4
	s_or_b32 exec_lo, exec_lo, s72
.LBB4_2402:                             ;   in Loop: Header=BB4_2226 Depth=4
	s_delay_alu instid0(SALU_CYCLE_1)
	s_or_b32 exec_lo, exec_lo, s13
	v_dual_mov_b32 v2, 0 :: v_dual_mov_b32 v4, 0
	s_mov_b32 s13, exec_lo
	v_cmpx_ne_u16_e32 0, v28
	s_cbranch_execz .LBB4_2412
; %bb.2403:                             ;   in Loop: Header=BB4_2226 Depth=4
	v_bfrev_b32_e32 v4, 1
	s_mov_b32 s72, exec_lo
	v_cmpx_ne_u16_e32 0xff80, v28
	s_cbranch_execz .LBB4_2411
; %bb.2404:                             ;   in Loop: Header=BB4_2226 Depth=4
	v_and_b32_e32 v4, 0x7c, v28
	v_and_b32_e32 v5, 3, v28
	s_delay_alu instid0(VALU_DEP_2) | instskip(SKIP_1) | instid1(SALU_CYCLE_1)
	v_cmp_ne_u32_e32 vcc_lo, 0x7c, v4
                                        ; implicit-def: $vgpr4
	s_and_saveexec_b32 s73, vcc_lo
	s_xor_b32 s73, exec_lo, s73
	s_cbranch_execz .LBB4_2408
; %bb.2405:                             ;   in Loop: Header=BB4_2226 Depth=4
	v_and_b32_e32 v4, 0xff, v28
	s_mov_b32 s74, exec_lo
	s_delay_alu instid0(VALU_DEP_1) | instskip(NEXT) | instid1(VALU_DEP_1)
	v_bfe_u32 v4, v4, 2, 5
	v_cmpx_eq_u32_e32 0, v4
	s_cbranch_execz .LBB4_2407
; %bb.2406:                             ;   in Loop: Header=BB4_2226 Depth=4
	v_clz_i32_u32_e32 v4, v5
	s_delay_alu instid0(VALU_DEP_1) | instskip(SKIP_1) | instid1(VALU_DEP_2)
	v_min_u32_e32 v4, 32, v4
	v_mov_b32_e32 v29, v3
	v_subrev_nc_u32_e32 v5, 29, v4
	v_sub_nc_u32_e32 v4, 30, v4
	s_delay_alu instid0(VALU_DEP_2) | instskip(NEXT) | instid1(VALU_DEP_1)
	v_lshlrev_b64_e32 v[24:25], v5, v[28:29]
	v_and_b32_e32 v5, 3, v24
.LBB4_2407:                             ;   in Loop: Header=BB4_2226 Depth=4
	s_or_b32 exec_lo, exec_lo, s74
	v_bfe_i32 v15, v28, 0, 16
                                        ; implicit-def: $vgpr28
	s_delay_alu instid0(VALU_DEP_1) | instskip(NEXT) | instid1(VALU_DEP_1)
	v_and_b32_e32 v15, 0x80000000, v15
	v_lshl_add_u32 v4, v4, 23, v15
	s_delay_alu instid0(VALU_DEP_1) | instskip(NEXT) | instid1(VALU_DEP_1)
	v_lshl_or_b32 v4, v5, 21, v4
                                        ; implicit-def: $vgpr5
	v_add_nc_u32_e32 v4, 0x38000000, v4
.LBB4_2408:                             ;   in Loop: Header=BB4_2226 Depth=4
	s_and_not1_saveexec_b32 s73, s73
; %bb.2409:                             ;   in Loop: Header=BB4_2226 Depth=4
	v_cmp_lt_i16_e32 vcc_lo, -1, v28
	v_cndmask_b32_e32 v4, 0xff800000, v112, vcc_lo
	v_cmp_eq_u32_e32 vcc_lo, 0, v5
	s_delay_alu instid0(VALU_DEP_2)
	v_cndmask_b32_e32 v4, 0x7f800001, v4, vcc_lo
; %bb.2410:                             ;   in Loop: Header=BB4_2226 Depth=4
	s_or_b32 exec_lo, exec_lo, s73
.LBB4_2411:                             ;   in Loop: Header=BB4_2226 Depth=4
	s_delay_alu instid0(SALU_CYCLE_1)
	s_or_b32 exec_lo, exec_lo, s72
.LBB4_2412:                             ;   in Loop: Header=BB4_2226 Depth=4
	s_delay_alu instid0(SALU_CYCLE_1) | instskip(NEXT) | instid1(SALU_CYCLE_1)
	s_or_b32 exec_lo, exec_lo, s13
	s_mov_b32 s13, exec_lo
	s_wait_loadcnt_dscnt 0xb0b
	v_cmpx_ne_u16_e32 0, v26
	s_cbranch_execz .LBB4_2422
; %bb.2413:                             ;   in Loop: Header=BB4_2226 Depth=4
	v_bfrev_b32_e32 v2, 1
	s_mov_b32 s72, exec_lo
	v_cmpx_ne_u16_e32 0xff80, v26
	s_cbranch_execz .LBB4_2421
; %bb.2414:                             ;   in Loop: Header=BB4_2226 Depth=4
	v_and_b32_e32 v2, 0x7c, v26
	v_and_b32_e32 v5, 3, v26
	s_delay_alu instid0(VALU_DEP_2) | instskip(SKIP_1) | instid1(SALU_CYCLE_1)
	v_cmp_ne_u32_e32 vcc_lo, 0x7c, v2
                                        ; implicit-def: $vgpr2
	s_and_saveexec_b32 s73, vcc_lo
	s_xor_b32 s73, exec_lo, s73
	s_cbranch_execz .LBB4_2418
; %bb.2415:                             ;   in Loop: Header=BB4_2226 Depth=4
	v_and_b32_e32 v2, 0xff, v26
	s_mov_b32 s74, exec_lo
	s_delay_alu instid0(VALU_DEP_1) | instskip(NEXT) | instid1(VALU_DEP_1)
	v_bfe_u32 v2, v2, 2, 5
	v_cmpx_eq_u32_e32 0, v2
	s_cbranch_execz .LBB4_2417
; %bb.2416:                             ;   in Loop: Header=BB4_2226 Depth=4
	v_clz_i32_u32_e32 v2, v5
	s_delay_alu instid0(VALU_DEP_1) | instskip(SKIP_1) | instid1(VALU_DEP_2)
	v_min_u32_e32 v2, 32, v2
	v_mov_b32_e32 v27, v3
	v_subrev_nc_u32_e32 v5, 29, v2
	v_sub_nc_u32_e32 v2, 30, v2
	s_delay_alu instid0(VALU_DEP_2) | instskip(NEXT) | instid1(VALU_DEP_1)
	v_lshlrev_b64_e32 v[24:25], v5, v[26:27]
	v_and_b32_e32 v5, 3, v24
.LBB4_2417:                             ;   in Loop: Header=BB4_2226 Depth=4
	s_or_b32 exec_lo, exec_lo, s74
	v_bfe_i32 v15, v26, 0, 16
                                        ; implicit-def: $vgpr26
	s_delay_alu instid0(VALU_DEP_1) | instskip(NEXT) | instid1(VALU_DEP_1)
	v_and_b32_e32 v15, 0x80000000, v15
	v_lshl_add_u32 v2, v2, 23, v15
	s_delay_alu instid0(VALU_DEP_1) | instskip(NEXT) | instid1(VALU_DEP_1)
	v_lshl_or_b32 v2, v5, 21, v2
                                        ; implicit-def: $vgpr5
	v_add_nc_u32_e32 v2, 0x38000000, v2
.LBB4_2418:                             ;   in Loop: Header=BB4_2226 Depth=4
	s_and_not1_saveexec_b32 s73, s73
; %bb.2419:                             ;   in Loop: Header=BB4_2226 Depth=4
	v_cmp_lt_i16_e32 vcc_lo, -1, v26
	v_cndmask_b32_e32 v2, 0xff800000, v112, vcc_lo
	v_cmp_eq_u32_e32 vcc_lo, 0, v5
	s_delay_alu instid0(VALU_DEP_2)
	v_cndmask_b32_e32 v2, 0x7f800001, v2, vcc_lo
; %bb.2420:                             ;   in Loop: Header=BB4_2226 Depth=4
	s_or_b32 exec_lo, exec_lo, s73
.LBB4_2421:                             ;   in Loop: Header=BB4_2226 Depth=4
	s_delay_alu instid0(SALU_CYCLE_1)
	s_or_b32 exec_lo, exec_lo, s72
.LBB4_2422:                             ;   in Loop: Header=BB4_2226 Depth=4
	s_delay_alu instid0(SALU_CYCLE_1) | instskip(NEXT) | instid1(VALU_DEP_1)
	s_or_b32 exec_lo, exec_lo, s13
	v_dual_mul_f32 v4, v4, v2 :: v_dual_mov_b32 v25, v3
                                        ; implicit-def: $vgpr26
	s_mov_b32 s13, exec_lo
	s_delay_alu instid0(VALU_DEP_1) | instskip(SKIP_1) | instid1(VALU_DEP_2)
	v_and_b32_e32 v24, 0x7f800000, v4
	v_and_b32_e32 v2, 0x7fffff, v4
	v_cmpx_ne_u64_e32 0x7f800000, v[24:25]
	s_xor_b32 s72, exec_lo, s13
	s_cbranch_execz .LBB4_2440
; %bb.2423:                             ;   in Loop: Header=BB4_2226 Depth=4
	v_dual_mov_b32 v25, v3 :: v_dual_lshrrev_b32 v5, 24, v4
	v_and_b32_e32 v24, 0x7fffffff, v4
                                        ; implicit-def: $vgpr26
	s_mov_b32 s13, exec_lo
	s_delay_alu instid0(VALU_DEP_2) | instskip(NEXT) | instid1(VALU_DEP_2)
	v_and_b32_e32 v15, 0x80, v5
	v_cmpx_gt_u64_e32 0x47600001, v[24:25]
	s_xor_b32 s73, exec_lo, s13
	s_cbranch_execz .LBB4_2437
; %bb.2424:                             ;   in Loop: Header=BB4_2226 Depth=4
	v_mov_b32_e32 v26, 0
	s_mov_b32 s74, exec_lo
	v_cmpx_ne_u32_e32 0, v4
	s_cbranch_execz .LBB4_2436
; %bb.2425:                             ;   in Loop: Header=BB4_2226 Depth=4
	v_bfe_u32 v17, v4, 23, 8
	v_or_b32_e32 v21, 0x800000, v2
	s_delay_alu instid0(VALU_DEP_2) | instskip(SKIP_1) | instid1(VALU_DEP_2)
	v_sub_nc_u32_e32 v4, 0x71, v17
	v_cmp_gt_u32_e32 vcc_lo, 0x72, v17
	v_cndmask_b32_e32 v4, 0, v4, vcc_lo
	v_cmp_eq_u32_e32 vcc_lo, 0, v17
	s_delay_alu instid0(VALU_DEP_2) | instskip(NEXT) | instid1(VALU_DEP_1)
	v_cndmask_b32_e64 v19, v4, 0x70, vcc_lo
	v_dual_cndmask_b32 v2, v21, v2, vcc_lo :: v_dual_add_nc_u32 v4, 21, v19
	v_add_nc_u32_e32 v23, 20, v19
	s_delay_alu instid0(VALU_DEP_2) | instskip(NEXT) | instid1(VALU_DEP_2)
	v_lshlrev_b64_e64 v[4:5], v4, -1
	v_lshlrev_b64_e64 v[24:25], v23, 1
	s_delay_alu instid0(VALU_DEP_2) | instskip(NEXT) | instid1(VALU_DEP_3)
	v_bfi_b32 v27, v5, 0, 0
	v_bfi_b32 v26, v4, 0, v2
	v_lshrrev_b64 v[4:5], v19, v[2:3]
	s_delay_alu instid0(VALU_DEP_2) | instskip(NEXT) | instid1(VALU_DEP_2)
	v_cmp_eq_u64_e64 s13, v[26:27], v[24:25]
	v_mov_b64_e32 v[24:25], v[4:5]
	s_and_saveexec_b32 s75, s13
; %bb.2426:                             ;   in Loop: Header=BB4_2226 Depth=4
	v_bfe_u32 v2, v4, 21, 1
	s_delay_alu instid0(VALU_DEP_1) | instskip(NEXT) | instid1(VALU_DEP_1)
	v_add_nc_u64_e32 v[24:25], v[4:5], v[2:3]
	v_add_nc_u64_e32 v[24:25], -1, v[24:25]
; %bb.2427:                             ;   in Loop: Header=BB4_2226 Depth=4
	s_or_b32 exec_lo, exec_lo, s75
	v_add_nc_u32_e32 v2, 0xffffff81, v17
	v_lshrrev_b32_e32 v5, 23, v4
	s_mov_b32 s13, exec_lo
                                        ; implicit-def: $vgpr17
	s_delay_alu instid0(VALU_DEP_2) | instskip(NEXT) | instid1(VALU_DEP_1)
	v_cndmask_b32_e64 v2, v2, 0xffffff82, vcc_lo
	v_add3_u32 v19, v19, v2, v5
	v_and_b32_e32 v2, 0x1fffff, v24
	s_delay_alu instid0(VALU_DEP_1) | instskip(NEXT) | instid1(VALU_DEP_1)
	v_dual_add_nc_u32 v21, 14, v19 :: v_dual_add_nc_u32 v2, v2, v4
                                        ; implicit-def: $vgpr4_vgpr5
	v_cmpx_ne_u32_e32 0, v21
	s_xor_b32 s13, exec_lo, s13
; %bb.2428:                             ;   in Loop: Header=BB4_2226 Depth=4
	s_delay_alu instid0(VALU_DEP_2) | instskip(SKIP_1) | instid1(VALU_DEP_1)
	v_cmp_lt_u64_e32 vcc_lo, 0xffffff, v[2:3]
	v_add_nc_u32_e32 v4, 15, v19
	v_cndmask_b32_e32 v17, v21, v4, vcc_lo
	v_cndmask_b32_e64 v4, 0, 1, vcc_lo
	s_delay_alu instid0(VALU_DEP_1)
	v_lshrrev_b64 v[4:5], v4, v[2:3]
; %bb.2429:                             ;   in Loop: Header=BB4_2226 Depth=4
	s_and_not1_saveexec_b32 s13, s13
; %bb.2430:                             ;   in Loop: Header=BB4_2226 Depth=4
	v_mov_b64_e32 v[4:5], v[2:3]
	v_bfe_u32 v17, v2, 23, 1
; %bb.2431:                             ;   in Loop: Header=BB4_2226 Depth=4
	s_or_b32 exec_lo, exec_lo, s13
	s_delay_alu instid0(VALU_DEP_2) | instskip(NEXT) | instid1(VALU_DEP_2)
	v_lshrrev_b64 v[4:5], 21, v[4:5]
	v_cmp_gt_i32_e32 vcc_lo, 32, v17
	v_cmp_ne_u32_e64 s13, 0, v17
                                        ; implicit-def: $vgpr26
	s_delay_alu instid0(VALU_DEP_3) | instskip(NEXT) | instid1(VALU_DEP_1)
	v_dual_cndmask_b32 v5, 0, v5 :: v_dual_cndmask_b32 v4, 3, v4
	v_cmp_ne_u64_e32 vcc_lo, 0, v[4:5]
	s_or_b32 s13, s13, vcc_lo
	s_delay_alu instid0(SALU_CYCLE_1) | instskip(NEXT) | instid1(SALU_CYCLE_1)
	s_and_saveexec_b32 s75, s13
	s_xor_b32 s13, exec_lo, s75
; %bb.2432:                             ;   in Loop: Header=BB4_2226 Depth=4
	v_min_i32_e32 v2, 31, v17
	s_delay_alu instid0(VALU_DEP_1) | instskip(NEXT) | instid1(VALU_DEP_1)
	v_lshl_or_b32 v2, v2, 2, v15
                                        ; implicit-def: $vgpr15
	v_and_or_b32 v26, v4, 3, v2
; %bb.2433:                             ;   in Loop: Header=BB4_2226 Depth=4
	s_and_not1_saveexec_b32 s13, s13
; %bb.2434:                             ;   in Loop: Header=BB4_2226 Depth=4
	v_mov_b32_e32 v26, v15
; %bb.2435:                             ;   in Loop: Header=BB4_2226 Depth=4
	s_or_b32 exec_lo, exec_lo, s13
.LBB4_2436:                             ;   in Loop: Header=BB4_2226 Depth=4
	s_delay_alu instid0(SALU_CYCLE_1)
	s_or_b32 exec_lo, exec_lo, s74
                                        ; implicit-def: $vgpr15
.LBB4_2437:                             ;   in Loop: Header=BB4_2226 Depth=4
	s_and_not1_saveexec_b32 s13, s73
; %bb.2438:                             ;   in Loop: Header=BB4_2226 Depth=4
	v_or_b32_e32 v26, 0x7b, v15
; %bb.2439:                             ;   in Loop: Header=BB4_2226 Depth=4
	s_or_b32 exec_lo, exec_lo, s13
                                        ; implicit-def: $vgpr4
.LBB4_2440:                             ;   in Loop: Header=BB4_2226 Depth=4
	s_and_not1_saveexec_b32 s13, s72
	s_cbranch_execz .LBB4_2446
; %bb.2441:                             ;   in Loop: Header=BB4_2226 Depth=4
	s_mov_b32 s72, exec_lo
                                        ; implicit-def: $vgpr26
	v_cmpx_ne_u64_e32 0, v[2:3]
	s_xor_b32 s72, exec_lo, s72
; %bb.2442:                             ;   in Loop: Header=BB4_2226 Depth=4
	v_lshrrev_b32_e32 v2, 24, v4
                                        ; implicit-def: $vgpr4
	s_delay_alu instid0(VALU_DEP_1)
	v_or_b32_e32 v26, 0x7f, v2
; %bb.2443:                             ;   in Loop: Header=BB4_2226 Depth=4
	s_and_not1_saveexec_b32 s72, s72
; %bb.2444:                             ;   in Loop: Header=BB4_2226 Depth=4
	v_cmp_lt_i32_e32 vcc_lo, -1, v4
	v_cndmask_b32_e64 v26, -4, 0x7c, vcc_lo
; %bb.2445:                             ;   in Loop: Header=BB4_2226 Depth=4
	s_or_b32 exec_lo, exec_lo, s72
.LBB4_2446:                             ;   in Loop: Header=BB4_2226 Depth=4
	s_delay_alu instid0(SALU_CYCLE_1)
	s_or_b32 exec_lo, exec_lo, s13
	v_dual_mov_b32 v2, 0 :: v_dual_mov_b32 v4, 0
	s_mov_b32 s13, exec_lo
	v_cmpx_ne_u16_e32 0, v110
	s_cbranch_execz .LBB4_2456
; %bb.2447:                             ;   in Loop: Header=BB4_2226 Depth=4
	v_bfrev_b32_e32 v4, 1
	s_mov_b32 s72, exec_lo
	v_cmpx_ne_u16_e32 0xff80, v110
	s_cbranch_execz .LBB4_2455
; %bb.2448:                             ;   in Loop: Header=BB4_2226 Depth=4
	v_and_b32_e32 v4, 0x7c, v110
	v_and_b32_e32 v5, 3, v110
	s_delay_alu instid0(VALU_DEP_2) | instskip(SKIP_1) | instid1(SALU_CYCLE_1)
	v_cmp_ne_u32_e32 vcc_lo, 0x7c, v4
                                        ; implicit-def: $vgpr4
	s_and_saveexec_b32 s73, vcc_lo
	s_xor_b32 s73, exec_lo, s73
	s_cbranch_execz .LBB4_2452
; %bb.2449:                             ;   in Loop: Header=BB4_2226 Depth=4
	v_and_b32_e32 v4, 0xff, v110
	s_mov_b32 s74, exec_lo
	s_delay_alu instid0(VALU_DEP_1) | instskip(NEXT) | instid1(VALU_DEP_1)
	v_bfe_u32 v4, v4, 2, 5
	v_cmpx_eq_u32_e32 0, v4
	s_cbranch_execz .LBB4_2451
; %bb.2450:                             ;   in Loop: Header=BB4_2226 Depth=4
	v_clz_i32_u32_e32 v4, v5
	s_delay_alu instid0(VALU_DEP_1) | instskip(SKIP_1) | instid1(VALU_DEP_2)
	v_min_u32_e32 v4, 32, v4
	v_mov_b32_e32 v111, v3
	v_subrev_nc_u32_e32 v5, 29, v4
	v_sub_nc_u32_e32 v4, 30, v4
	s_delay_alu instid0(VALU_DEP_2) | instskip(NEXT) | instid1(VALU_DEP_1)
	v_lshlrev_b64_e32 v[24:25], v5, v[110:111]
	v_and_b32_e32 v5, 3, v24
.LBB4_2451:                             ;   in Loop: Header=BB4_2226 Depth=4
	s_or_b32 exec_lo, exec_lo, s74
	v_bfe_i32 v15, v110, 0, 16
                                        ; implicit-def: $vgpr110
	s_delay_alu instid0(VALU_DEP_1) | instskip(NEXT) | instid1(VALU_DEP_1)
	v_and_b32_e32 v15, 0x80000000, v15
	v_lshl_add_u32 v4, v4, 23, v15
	s_delay_alu instid0(VALU_DEP_1) | instskip(NEXT) | instid1(VALU_DEP_1)
	v_lshl_or_b32 v4, v5, 21, v4
                                        ; implicit-def: $vgpr5
	v_add_nc_u32_e32 v4, 0x38000000, v4
.LBB4_2452:                             ;   in Loop: Header=BB4_2226 Depth=4
	s_and_not1_saveexec_b32 s73, s73
; %bb.2453:                             ;   in Loop: Header=BB4_2226 Depth=4
	v_cmp_lt_i16_e32 vcc_lo, -1, v110
	v_cndmask_b32_e32 v4, 0xff800000, v112, vcc_lo
	v_cmp_eq_u32_e32 vcc_lo, 0, v5
	s_delay_alu instid0(VALU_DEP_2)
	v_cndmask_b32_e32 v4, 0x7f800001, v4, vcc_lo
; %bb.2454:                             ;   in Loop: Header=BB4_2226 Depth=4
	s_or_b32 exec_lo, exec_lo, s73
.LBB4_2455:                             ;   in Loop: Header=BB4_2226 Depth=4
	s_delay_alu instid0(SALU_CYCLE_1)
	s_or_b32 exec_lo, exec_lo, s72
.LBB4_2456:                             ;   in Loop: Header=BB4_2226 Depth=4
	s_delay_alu instid0(SALU_CYCLE_1) | instskip(NEXT) | instid1(SALU_CYCLE_1)
	s_or_b32 exec_lo, exec_lo, s13
	s_mov_b32 s13, exec_lo
	s_wait_loadcnt_dscnt 0xa0a
	v_cmpx_ne_u16_e32 0, v108
	s_cbranch_execz .LBB4_2466
; %bb.2457:                             ;   in Loop: Header=BB4_2226 Depth=4
	v_bfrev_b32_e32 v2, 1
	s_mov_b32 s72, exec_lo
	v_cmpx_ne_u16_e32 0xff80, v108
	s_cbranch_execz .LBB4_2465
; %bb.2458:                             ;   in Loop: Header=BB4_2226 Depth=4
	v_and_b32_e32 v2, 0x7c, v108
	v_and_b32_e32 v5, 3, v108
	s_delay_alu instid0(VALU_DEP_2) | instskip(SKIP_1) | instid1(SALU_CYCLE_1)
	v_cmp_ne_u32_e32 vcc_lo, 0x7c, v2
                                        ; implicit-def: $vgpr2
	s_and_saveexec_b32 s73, vcc_lo
	s_xor_b32 s73, exec_lo, s73
	s_cbranch_execz .LBB4_2462
; %bb.2459:                             ;   in Loop: Header=BB4_2226 Depth=4
	v_and_b32_e32 v2, 0xff, v108
	s_mov_b32 s74, exec_lo
	s_delay_alu instid0(VALU_DEP_1) | instskip(NEXT) | instid1(VALU_DEP_1)
	v_bfe_u32 v2, v2, 2, 5
	v_cmpx_eq_u32_e32 0, v2
	s_cbranch_execz .LBB4_2461
; %bb.2460:                             ;   in Loop: Header=BB4_2226 Depth=4
	v_clz_i32_u32_e32 v2, v5
	s_delay_alu instid0(VALU_DEP_1) | instskip(SKIP_1) | instid1(VALU_DEP_2)
	v_min_u32_e32 v2, 32, v2
	v_mov_b32_e32 v109, v3
	v_subrev_nc_u32_e32 v5, 29, v2
	v_sub_nc_u32_e32 v2, 30, v2
	s_delay_alu instid0(VALU_DEP_2) | instskip(NEXT) | instid1(VALU_DEP_1)
	v_lshlrev_b64_e32 v[24:25], v5, v[108:109]
	v_and_b32_e32 v5, 3, v24
.LBB4_2461:                             ;   in Loop: Header=BB4_2226 Depth=4
	s_or_b32 exec_lo, exec_lo, s74
	v_bfe_i32 v15, v108, 0, 16
                                        ; implicit-def: $vgpr108
	s_delay_alu instid0(VALU_DEP_1) | instskip(NEXT) | instid1(VALU_DEP_1)
	v_and_b32_e32 v15, 0x80000000, v15
	v_lshl_add_u32 v2, v2, 23, v15
	s_delay_alu instid0(VALU_DEP_1) | instskip(NEXT) | instid1(VALU_DEP_1)
	v_lshl_or_b32 v2, v5, 21, v2
                                        ; implicit-def: $vgpr5
	v_add_nc_u32_e32 v2, 0x38000000, v2
.LBB4_2462:                             ;   in Loop: Header=BB4_2226 Depth=4
	s_and_not1_saveexec_b32 s73, s73
; %bb.2463:                             ;   in Loop: Header=BB4_2226 Depth=4
	v_cmp_lt_i16_e32 vcc_lo, -1, v108
	v_cndmask_b32_e32 v2, 0xff800000, v112, vcc_lo
	v_cmp_eq_u32_e32 vcc_lo, 0, v5
	s_delay_alu instid0(VALU_DEP_2)
	v_cndmask_b32_e32 v2, 0x7f800001, v2, vcc_lo
; %bb.2464:                             ;   in Loop: Header=BB4_2226 Depth=4
	s_or_b32 exec_lo, exec_lo, s73
.LBB4_2465:                             ;   in Loop: Header=BB4_2226 Depth=4
	s_delay_alu instid0(SALU_CYCLE_1)
	s_or_b32 exec_lo, exec_lo, s72
.LBB4_2466:                             ;   in Loop: Header=BB4_2226 Depth=4
	s_delay_alu instid0(SALU_CYCLE_1) | instskip(NEXT) | instid1(VALU_DEP_1)
	s_or_b32 exec_lo, exec_lo, s13
	v_dual_mul_f32 v4, v4, v2 :: v_dual_mov_b32 v25, v3
                                        ; implicit-def: $vgpr27
	s_mov_b32 s13, exec_lo
	s_delay_alu instid0(VALU_DEP_1) | instskip(SKIP_1) | instid1(VALU_DEP_2)
	v_and_b32_e32 v24, 0x7f800000, v4
	v_and_b32_e32 v2, 0x7fffff, v4
	v_cmpx_ne_u64_e32 0x7f800000, v[24:25]
	s_xor_b32 s72, exec_lo, s13
	s_cbranch_execz .LBB4_2484
; %bb.2467:                             ;   in Loop: Header=BB4_2226 Depth=4
	v_dual_mov_b32 v25, v3 :: v_dual_lshrrev_b32 v5, 24, v4
	v_and_b32_e32 v24, 0x7fffffff, v4
                                        ; implicit-def: $vgpr27
	s_mov_b32 s13, exec_lo
	s_delay_alu instid0(VALU_DEP_2) | instskip(NEXT) | instid1(VALU_DEP_2)
	v_and_b32_e32 v15, 0x80, v5
	v_cmpx_gt_u64_e32 0x47600001, v[24:25]
	s_xor_b32 s73, exec_lo, s13
	s_cbranch_execz .LBB4_2481
; %bb.2468:                             ;   in Loop: Header=BB4_2226 Depth=4
	v_mov_b32_e32 v27, 0
	s_mov_b32 s74, exec_lo
	v_cmpx_ne_u32_e32 0, v4
	s_cbranch_execz .LBB4_2480
; %bb.2469:                             ;   in Loop: Header=BB4_2226 Depth=4
	v_bfe_u32 v17, v4, 23, 8
	v_or_b32_e32 v21, 0x800000, v2
	s_delay_alu instid0(VALU_DEP_2) | instskip(SKIP_1) | instid1(VALU_DEP_2)
	v_sub_nc_u32_e32 v4, 0x71, v17
	v_cmp_gt_u32_e32 vcc_lo, 0x72, v17
	v_cndmask_b32_e32 v4, 0, v4, vcc_lo
	v_cmp_eq_u32_e32 vcc_lo, 0, v17
	s_delay_alu instid0(VALU_DEP_2) | instskip(NEXT) | instid1(VALU_DEP_1)
	v_cndmask_b32_e64 v19, v4, 0x70, vcc_lo
	v_dual_cndmask_b32 v2, v21, v2, vcc_lo :: v_dual_add_nc_u32 v4, 21, v19
	v_add_nc_u32_e32 v23, 20, v19
	s_delay_alu instid0(VALU_DEP_2) | instskip(NEXT) | instid1(VALU_DEP_2)
	v_lshlrev_b64_e64 v[4:5], v4, -1
	v_lshlrev_b64_e64 v[24:25], v23, 1
	s_delay_alu instid0(VALU_DEP_2) | instskip(NEXT) | instid1(VALU_DEP_3)
	v_bfi_b32 v29, v5, 0, 0
	v_bfi_b32 v28, v4, 0, v2
	v_lshrrev_b64 v[4:5], v19, v[2:3]
	s_delay_alu instid0(VALU_DEP_2) | instskip(NEXT) | instid1(VALU_DEP_2)
	v_cmp_eq_u64_e64 s13, v[28:29], v[24:25]
	v_mov_b64_e32 v[24:25], v[4:5]
	s_and_saveexec_b32 s75, s13
; %bb.2470:                             ;   in Loop: Header=BB4_2226 Depth=4
	v_bfe_u32 v2, v4, 21, 1
	s_delay_alu instid0(VALU_DEP_1) | instskip(NEXT) | instid1(VALU_DEP_1)
	v_add_nc_u64_e32 v[24:25], v[4:5], v[2:3]
	v_add_nc_u64_e32 v[24:25], -1, v[24:25]
; %bb.2471:                             ;   in Loop: Header=BB4_2226 Depth=4
	s_or_b32 exec_lo, exec_lo, s75
	v_add_nc_u32_e32 v2, 0xffffff81, v17
	v_lshrrev_b32_e32 v5, 23, v4
	s_mov_b32 s13, exec_lo
                                        ; implicit-def: $vgpr17
	s_delay_alu instid0(VALU_DEP_2) | instskip(NEXT) | instid1(VALU_DEP_1)
	v_cndmask_b32_e64 v2, v2, 0xffffff82, vcc_lo
	v_add3_u32 v19, v19, v2, v5
	v_and_b32_e32 v2, 0x1fffff, v24
	s_delay_alu instid0(VALU_DEP_1) | instskip(NEXT) | instid1(VALU_DEP_1)
	v_dual_add_nc_u32 v21, 14, v19 :: v_dual_add_nc_u32 v2, v2, v4
                                        ; implicit-def: $vgpr4_vgpr5
	v_cmpx_ne_u32_e32 0, v21
	s_xor_b32 s13, exec_lo, s13
; %bb.2472:                             ;   in Loop: Header=BB4_2226 Depth=4
	s_delay_alu instid0(VALU_DEP_2) | instskip(SKIP_1) | instid1(VALU_DEP_1)
	v_cmp_lt_u64_e32 vcc_lo, 0xffffff, v[2:3]
	v_add_nc_u32_e32 v4, 15, v19
	v_cndmask_b32_e32 v17, v21, v4, vcc_lo
	v_cndmask_b32_e64 v4, 0, 1, vcc_lo
	s_delay_alu instid0(VALU_DEP_1)
	v_lshrrev_b64 v[4:5], v4, v[2:3]
; %bb.2473:                             ;   in Loop: Header=BB4_2226 Depth=4
	s_and_not1_saveexec_b32 s13, s13
; %bb.2474:                             ;   in Loop: Header=BB4_2226 Depth=4
	v_mov_b64_e32 v[4:5], v[2:3]
	v_bfe_u32 v17, v2, 23, 1
; %bb.2475:                             ;   in Loop: Header=BB4_2226 Depth=4
	s_or_b32 exec_lo, exec_lo, s13
	s_delay_alu instid0(VALU_DEP_2) | instskip(NEXT) | instid1(VALU_DEP_2)
	v_lshrrev_b64 v[4:5], 21, v[4:5]
	v_cmp_gt_i32_e32 vcc_lo, 32, v17
	v_cmp_ne_u32_e64 s13, 0, v17
                                        ; implicit-def: $vgpr27
	s_delay_alu instid0(VALU_DEP_3) | instskip(NEXT) | instid1(VALU_DEP_1)
	v_dual_cndmask_b32 v5, 0, v5 :: v_dual_cndmask_b32 v4, 3, v4
	v_cmp_ne_u64_e32 vcc_lo, 0, v[4:5]
	s_or_b32 s13, s13, vcc_lo
	s_delay_alu instid0(SALU_CYCLE_1) | instskip(NEXT) | instid1(SALU_CYCLE_1)
	s_and_saveexec_b32 s75, s13
	s_xor_b32 s13, exec_lo, s75
; %bb.2476:                             ;   in Loop: Header=BB4_2226 Depth=4
	v_min_i32_e32 v2, 31, v17
	s_delay_alu instid0(VALU_DEP_1) | instskip(NEXT) | instid1(VALU_DEP_1)
	v_lshl_or_b32 v2, v2, 2, v15
                                        ; implicit-def: $vgpr15
	v_and_or_b32 v27, v4, 3, v2
; %bb.2477:                             ;   in Loop: Header=BB4_2226 Depth=4
	s_and_not1_saveexec_b32 s13, s13
; %bb.2478:                             ;   in Loop: Header=BB4_2226 Depth=4
	v_mov_b32_e32 v27, v15
; %bb.2479:                             ;   in Loop: Header=BB4_2226 Depth=4
	s_or_b32 exec_lo, exec_lo, s13
.LBB4_2480:                             ;   in Loop: Header=BB4_2226 Depth=4
	s_delay_alu instid0(SALU_CYCLE_1)
	s_or_b32 exec_lo, exec_lo, s74
                                        ; implicit-def: $vgpr15
.LBB4_2481:                             ;   in Loop: Header=BB4_2226 Depth=4
	s_and_not1_saveexec_b32 s13, s73
; %bb.2482:                             ;   in Loop: Header=BB4_2226 Depth=4
	v_or_b32_e32 v27, 0x7b, v15
; %bb.2483:                             ;   in Loop: Header=BB4_2226 Depth=4
	s_or_b32 exec_lo, exec_lo, s13
                                        ; implicit-def: $vgpr4
.LBB4_2484:                             ;   in Loop: Header=BB4_2226 Depth=4
	s_and_not1_saveexec_b32 s13, s72
	s_cbranch_execz .LBB4_2490
; %bb.2485:                             ;   in Loop: Header=BB4_2226 Depth=4
	s_mov_b32 s72, exec_lo
                                        ; implicit-def: $vgpr27
	v_cmpx_ne_u64_e32 0, v[2:3]
	s_xor_b32 s72, exec_lo, s72
; %bb.2486:                             ;   in Loop: Header=BB4_2226 Depth=4
	v_lshrrev_b32_e32 v2, 24, v4
                                        ; implicit-def: $vgpr4
	s_delay_alu instid0(VALU_DEP_1)
	v_or_b32_e32 v27, 0x7f, v2
; %bb.2487:                             ;   in Loop: Header=BB4_2226 Depth=4
	s_and_not1_saveexec_b32 s72, s72
; %bb.2488:                             ;   in Loop: Header=BB4_2226 Depth=4
	v_cmp_lt_i32_e32 vcc_lo, -1, v4
	v_cndmask_b32_e64 v27, -4, 0x7c, vcc_lo
; %bb.2489:                             ;   in Loop: Header=BB4_2226 Depth=4
	s_or_b32 exec_lo, exec_lo, s72
.LBB4_2490:                             ;   in Loop: Header=BB4_2226 Depth=4
	s_delay_alu instid0(SALU_CYCLE_1)
	s_or_b32 exec_lo, exec_lo, s13
	v_dual_mov_b32 v2, 0 :: v_dual_mov_b32 v4, 0
	s_mov_b32 s13, exec_lo
	v_cmpx_ne_u16_e32 0, v106
	s_cbranch_execz .LBB4_2500
; %bb.2491:                             ;   in Loop: Header=BB4_2226 Depth=4
	v_bfrev_b32_e32 v4, 1
	s_mov_b32 s72, exec_lo
	v_cmpx_ne_u16_e32 0xff80, v106
	s_cbranch_execz .LBB4_2499
; %bb.2492:                             ;   in Loop: Header=BB4_2226 Depth=4
	v_and_b32_e32 v4, 0x7c, v106
	v_and_b32_e32 v5, 3, v106
	s_delay_alu instid0(VALU_DEP_2) | instskip(SKIP_1) | instid1(SALU_CYCLE_1)
	v_cmp_ne_u32_e32 vcc_lo, 0x7c, v4
                                        ; implicit-def: $vgpr4
	s_and_saveexec_b32 s73, vcc_lo
	s_xor_b32 s73, exec_lo, s73
	s_cbranch_execz .LBB4_2496
; %bb.2493:                             ;   in Loop: Header=BB4_2226 Depth=4
	v_and_b32_e32 v4, 0xff, v106
	s_mov_b32 s74, exec_lo
	s_delay_alu instid0(VALU_DEP_1) | instskip(NEXT) | instid1(VALU_DEP_1)
	v_bfe_u32 v4, v4, 2, 5
	v_cmpx_eq_u32_e32 0, v4
	s_cbranch_execz .LBB4_2495
; %bb.2494:                             ;   in Loop: Header=BB4_2226 Depth=4
	v_clz_i32_u32_e32 v4, v5
	s_delay_alu instid0(VALU_DEP_1) | instskip(SKIP_1) | instid1(VALU_DEP_2)
	v_min_u32_e32 v4, 32, v4
	v_mov_b32_e32 v107, v3
	v_subrev_nc_u32_e32 v5, 29, v4
	v_sub_nc_u32_e32 v4, 30, v4
	s_delay_alu instid0(VALU_DEP_2) | instskip(NEXT) | instid1(VALU_DEP_1)
	v_lshlrev_b64_e32 v[24:25], v5, v[106:107]
	v_and_b32_e32 v5, 3, v24
.LBB4_2495:                             ;   in Loop: Header=BB4_2226 Depth=4
	s_or_b32 exec_lo, exec_lo, s74
	v_bfe_i32 v15, v106, 0, 16
                                        ; implicit-def: $vgpr106
	s_delay_alu instid0(VALU_DEP_1) | instskip(NEXT) | instid1(VALU_DEP_1)
	v_and_b32_e32 v15, 0x80000000, v15
	v_lshl_add_u32 v4, v4, 23, v15
	s_delay_alu instid0(VALU_DEP_1) | instskip(NEXT) | instid1(VALU_DEP_1)
	v_lshl_or_b32 v4, v5, 21, v4
                                        ; implicit-def: $vgpr5
	v_add_nc_u32_e32 v4, 0x38000000, v4
.LBB4_2496:                             ;   in Loop: Header=BB4_2226 Depth=4
	s_and_not1_saveexec_b32 s73, s73
; %bb.2497:                             ;   in Loop: Header=BB4_2226 Depth=4
	v_cmp_lt_i16_e32 vcc_lo, -1, v106
	v_cndmask_b32_e32 v4, 0xff800000, v112, vcc_lo
	v_cmp_eq_u32_e32 vcc_lo, 0, v5
	s_delay_alu instid0(VALU_DEP_2)
	v_cndmask_b32_e32 v4, 0x7f800001, v4, vcc_lo
; %bb.2498:                             ;   in Loop: Header=BB4_2226 Depth=4
	s_or_b32 exec_lo, exec_lo, s73
.LBB4_2499:                             ;   in Loop: Header=BB4_2226 Depth=4
	s_delay_alu instid0(SALU_CYCLE_1)
	s_or_b32 exec_lo, exec_lo, s72
.LBB4_2500:                             ;   in Loop: Header=BB4_2226 Depth=4
	s_delay_alu instid0(SALU_CYCLE_1) | instskip(NEXT) | instid1(SALU_CYCLE_1)
	s_or_b32 exec_lo, exec_lo, s13
	s_mov_b32 s13, exec_lo
	s_wait_loadcnt_dscnt 0x909
	v_cmpx_ne_u16_e32 0, v104
	s_cbranch_execz .LBB4_2510
; %bb.2501:                             ;   in Loop: Header=BB4_2226 Depth=4
	v_bfrev_b32_e32 v2, 1
	s_mov_b32 s72, exec_lo
	v_cmpx_ne_u16_e32 0xff80, v104
	s_cbranch_execz .LBB4_2509
; %bb.2502:                             ;   in Loop: Header=BB4_2226 Depth=4
	v_and_b32_e32 v2, 0x7c, v104
	v_and_b32_e32 v5, 3, v104
	s_delay_alu instid0(VALU_DEP_2) | instskip(SKIP_1) | instid1(SALU_CYCLE_1)
	v_cmp_ne_u32_e32 vcc_lo, 0x7c, v2
                                        ; implicit-def: $vgpr2
	s_and_saveexec_b32 s73, vcc_lo
	s_xor_b32 s73, exec_lo, s73
	s_cbranch_execz .LBB4_2506
; %bb.2503:                             ;   in Loop: Header=BB4_2226 Depth=4
	v_and_b32_e32 v2, 0xff, v104
	s_mov_b32 s74, exec_lo
	s_delay_alu instid0(VALU_DEP_1) | instskip(NEXT) | instid1(VALU_DEP_1)
	v_bfe_u32 v2, v2, 2, 5
	v_cmpx_eq_u32_e32 0, v2
	s_cbranch_execz .LBB4_2505
; %bb.2504:                             ;   in Loop: Header=BB4_2226 Depth=4
	v_clz_i32_u32_e32 v2, v5
	s_delay_alu instid0(VALU_DEP_1) | instskip(SKIP_1) | instid1(VALU_DEP_2)
	v_min_u32_e32 v2, 32, v2
	v_mov_b32_e32 v105, v3
	v_subrev_nc_u32_e32 v5, 29, v2
	v_sub_nc_u32_e32 v2, 30, v2
	s_delay_alu instid0(VALU_DEP_2) | instskip(NEXT) | instid1(VALU_DEP_1)
	v_lshlrev_b64_e32 v[24:25], v5, v[104:105]
	v_and_b32_e32 v5, 3, v24
.LBB4_2505:                             ;   in Loop: Header=BB4_2226 Depth=4
	s_or_b32 exec_lo, exec_lo, s74
	v_bfe_i32 v15, v104, 0, 16
                                        ; implicit-def: $vgpr104
	s_delay_alu instid0(VALU_DEP_1) | instskip(NEXT) | instid1(VALU_DEP_1)
	v_and_b32_e32 v15, 0x80000000, v15
	v_lshl_add_u32 v2, v2, 23, v15
	s_delay_alu instid0(VALU_DEP_1) | instskip(NEXT) | instid1(VALU_DEP_1)
	v_lshl_or_b32 v2, v5, 21, v2
                                        ; implicit-def: $vgpr5
	v_add_nc_u32_e32 v2, 0x38000000, v2
.LBB4_2506:                             ;   in Loop: Header=BB4_2226 Depth=4
	s_and_not1_saveexec_b32 s73, s73
; %bb.2507:                             ;   in Loop: Header=BB4_2226 Depth=4
	v_cmp_lt_i16_e32 vcc_lo, -1, v104
	v_cndmask_b32_e32 v2, 0xff800000, v112, vcc_lo
	v_cmp_eq_u32_e32 vcc_lo, 0, v5
	s_delay_alu instid0(VALU_DEP_2)
	v_cndmask_b32_e32 v2, 0x7f800001, v2, vcc_lo
; %bb.2508:                             ;   in Loop: Header=BB4_2226 Depth=4
	s_or_b32 exec_lo, exec_lo, s73
.LBB4_2509:                             ;   in Loop: Header=BB4_2226 Depth=4
	s_delay_alu instid0(SALU_CYCLE_1)
	s_or_b32 exec_lo, exec_lo, s72
.LBB4_2510:                             ;   in Loop: Header=BB4_2226 Depth=4
	s_delay_alu instid0(SALU_CYCLE_1) | instskip(NEXT) | instid1(VALU_DEP_1)
	s_or_b32 exec_lo, exec_lo, s13
	v_dual_mul_f32 v4, v4, v2 :: v_dual_mov_b32 v25, v3
                                        ; implicit-def: $vgpr28
	s_mov_b32 s13, exec_lo
	s_delay_alu instid0(VALU_DEP_1) | instskip(SKIP_1) | instid1(VALU_DEP_2)
	v_and_b32_e32 v24, 0x7f800000, v4
	v_and_b32_e32 v2, 0x7fffff, v4
	v_cmpx_ne_u64_e32 0x7f800000, v[24:25]
	s_xor_b32 s72, exec_lo, s13
	s_cbranch_execz .LBB4_2528
; %bb.2511:                             ;   in Loop: Header=BB4_2226 Depth=4
	v_dual_mov_b32 v25, v3 :: v_dual_lshrrev_b32 v5, 24, v4
	v_and_b32_e32 v24, 0x7fffffff, v4
                                        ; implicit-def: $vgpr28
	s_mov_b32 s13, exec_lo
	s_delay_alu instid0(VALU_DEP_2) | instskip(NEXT) | instid1(VALU_DEP_2)
	v_and_b32_e32 v15, 0x80, v5
	v_cmpx_gt_u64_e32 0x47600001, v[24:25]
	s_xor_b32 s73, exec_lo, s13
	s_cbranch_execz .LBB4_2525
; %bb.2512:                             ;   in Loop: Header=BB4_2226 Depth=4
	v_mov_b32_e32 v28, 0
	s_mov_b32 s74, exec_lo
	v_cmpx_ne_u32_e32 0, v4
	s_cbranch_execz .LBB4_2524
; %bb.2513:                             ;   in Loop: Header=BB4_2226 Depth=4
	v_bfe_u32 v17, v4, 23, 8
	v_or_b32_e32 v21, 0x800000, v2
	s_delay_alu instid0(VALU_DEP_2) | instskip(SKIP_1) | instid1(VALU_DEP_2)
	v_sub_nc_u32_e32 v4, 0x71, v17
	v_cmp_gt_u32_e32 vcc_lo, 0x72, v17
	v_cndmask_b32_e32 v4, 0, v4, vcc_lo
	v_cmp_eq_u32_e32 vcc_lo, 0, v17
	s_delay_alu instid0(VALU_DEP_2) | instskip(NEXT) | instid1(VALU_DEP_1)
	v_cndmask_b32_e64 v19, v4, 0x70, vcc_lo
	v_dual_cndmask_b32 v2, v21, v2, vcc_lo :: v_dual_add_nc_u32 v4, 21, v19
	v_add_nc_u32_e32 v23, 20, v19
	s_delay_alu instid0(VALU_DEP_2) | instskip(NEXT) | instid1(VALU_DEP_2)
	v_lshlrev_b64_e64 v[4:5], v4, -1
	v_lshlrev_b64_e64 v[24:25], v23, 1
	s_delay_alu instid0(VALU_DEP_2) | instskip(NEXT) | instid1(VALU_DEP_3)
	v_bfi_b32 v29, v5, 0, 0
	v_bfi_b32 v28, v4, 0, v2
	v_lshrrev_b64 v[4:5], v19, v[2:3]
	s_delay_alu instid0(VALU_DEP_2) | instskip(NEXT) | instid1(VALU_DEP_2)
	v_cmp_eq_u64_e64 s13, v[28:29], v[24:25]
	v_mov_b64_e32 v[24:25], v[4:5]
	s_and_saveexec_b32 s75, s13
; %bb.2514:                             ;   in Loop: Header=BB4_2226 Depth=4
	v_bfe_u32 v2, v4, 21, 1
	s_delay_alu instid0(VALU_DEP_1) | instskip(NEXT) | instid1(VALU_DEP_1)
	v_add_nc_u64_e32 v[24:25], v[4:5], v[2:3]
	v_add_nc_u64_e32 v[24:25], -1, v[24:25]
; %bb.2515:                             ;   in Loop: Header=BB4_2226 Depth=4
	s_or_b32 exec_lo, exec_lo, s75
	v_add_nc_u32_e32 v2, 0xffffff81, v17
	v_lshrrev_b32_e32 v5, 23, v4
	s_mov_b32 s13, exec_lo
                                        ; implicit-def: $vgpr17
	s_delay_alu instid0(VALU_DEP_2) | instskip(NEXT) | instid1(VALU_DEP_1)
	v_cndmask_b32_e64 v2, v2, 0xffffff82, vcc_lo
	v_add3_u32 v19, v19, v2, v5
	v_and_b32_e32 v2, 0x1fffff, v24
	s_delay_alu instid0(VALU_DEP_1) | instskip(NEXT) | instid1(VALU_DEP_1)
	v_dual_add_nc_u32 v21, 14, v19 :: v_dual_add_nc_u32 v2, v2, v4
                                        ; implicit-def: $vgpr4_vgpr5
	v_cmpx_ne_u32_e32 0, v21
	s_xor_b32 s13, exec_lo, s13
; %bb.2516:                             ;   in Loop: Header=BB4_2226 Depth=4
	s_delay_alu instid0(VALU_DEP_2) | instskip(SKIP_1) | instid1(VALU_DEP_1)
	v_cmp_lt_u64_e32 vcc_lo, 0xffffff, v[2:3]
	v_add_nc_u32_e32 v4, 15, v19
	v_cndmask_b32_e32 v17, v21, v4, vcc_lo
	v_cndmask_b32_e64 v4, 0, 1, vcc_lo
	s_delay_alu instid0(VALU_DEP_1)
	v_lshrrev_b64 v[4:5], v4, v[2:3]
; %bb.2517:                             ;   in Loop: Header=BB4_2226 Depth=4
	s_and_not1_saveexec_b32 s13, s13
; %bb.2518:                             ;   in Loop: Header=BB4_2226 Depth=4
	v_mov_b64_e32 v[4:5], v[2:3]
	v_bfe_u32 v17, v2, 23, 1
; %bb.2519:                             ;   in Loop: Header=BB4_2226 Depth=4
	s_or_b32 exec_lo, exec_lo, s13
	s_delay_alu instid0(VALU_DEP_2) | instskip(NEXT) | instid1(VALU_DEP_2)
	v_lshrrev_b64 v[4:5], 21, v[4:5]
	v_cmp_gt_i32_e32 vcc_lo, 32, v17
	v_cmp_ne_u32_e64 s13, 0, v17
                                        ; implicit-def: $vgpr28
	s_delay_alu instid0(VALU_DEP_3) | instskip(NEXT) | instid1(VALU_DEP_1)
	v_dual_cndmask_b32 v5, 0, v5 :: v_dual_cndmask_b32 v4, 3, v4
	v_cmp_ne_u64_e32 vcc_lo, 0, v[4:5]
	s_or_b32 s13, s13, vcc_lo
	s_delay_alu instid0(SALU_CYCLE_1) | instskip(NEXT) | instid1(SALU_CYCLE_1)
	s_and_saveexec_b32 s75, s13
	s_xor_b32 s13, exec_lo, s75
; %bb.2520:                             ;   in Loop: Header=BB4_2226 Depth=4
	v_min_i32_e32 v2, 31, v17
	s_delay_alu instid0(VALU_DEP_1) | instskip(NEXT) | instid1(VALU_DEP_1)
	v_lshl_or_b32 v2, v2, 2, v15
                                        ; implicit-def: $vgpr15
	v_and_or_b32 v28, v4, 3, v2
; %bb.2521:                             ;   in Loop: Header=BB4_2226 Depth=4
	s_and_not1_saveexec_b32 s13, s13
; %bb.2522:                             ;   in Loop: Header=BB4_2226 Depth=4
	v_mov_b32_e32 v28, v15
; %bb.2523:                             ;   in Loop: Header=BB4_2226 Depth=4
	s_or_b32 exec_lo, exec_lo, s13
.LBB4_2524:                             ;   in Loop: Header=BB4_2226 Depth=4
	s_delay_alu instid0(SALU_CYCLE_1)
	s_or_b32 exec_lo, exec_lo, s74
                                        ; implicit-def: $vgpr15
.LBB4_2525:                             ;   in Loop: Header=BB4_2226 Depth=4
	s_and_not1_saveexec_b32 s13, s73
; %bb.2526:                             ;   in Loop: Header=BB4_2226 Depth=4
	v_or_b32_e32 v28, 0x7b, v15
; %bb.2527:                             ;   in Loop: Header=BB4_2226 Depth=4
	s_or_b32 exec_lo, exec_lo, s13
                                        ; implicit-def: $vgpr4
.LBB4_2528:                             ;   in Loop: Header=BB4_2226 Depth=4
	s_and_not1_saveexec_b32 s13, s72
	s_cbranch_execz .LBB4_2534
; %bb.2529:                             ;   in Loop: Header=BB4_2226 Depth=4
	s_mov_b32 s72, exec_lo
                                        ; implicit-def: $vgpr28
	v_cmpx_ne_u64_e32 0, v[2:3]
	s_xor_b32 s72, exec_lo, s72
; %bb.2530:                             ;   in Loop: Header=BB4_2226 Depth=4
	v_lshrrev_b32_e32 v2, 24, v4
                                        ; implicit-def: $vgpr4
	s_delay_alu instid0(VALU_DEP_1)
	v_or_b32_e32 v28, 0x7f, v2
; %bb.2531:                             ;   in Loop: Header=BB4_2226 Depth=4
	s_and_not1_saveexec_b32 s72, s72
; %bb.2532:                             ;   in Loop: Header=BB4_2226 Depth=4
	v_cmp_lt_i32_e32 vcc_lo, -1, v4
	v_cndmask_b32_e64 v28, -4, 0x7c, vcc_lo
; %bb.2533:                             ;   in Loop: Header=BB4_2226 Depth=4
	s_or_b32 exec_lo, exec_lo, s72
.LBB4_2534:                             ;   in Loop: Header=BB4_2226 Depth=4
	s_delay_alu instid0(SALU_CYCLE_1)
	s_or_b32 exec_lo, exec_lo, s13
	v_dual_mov_b32 v2, 0 :: v_dual_mov_b32 v4, 0
	s_mov_b32 s13, exec_lo
	v_cmpx_ne_u16_e32 0, v94
	s_cbranch_execz .LBB4_2544
; %bb.2535:                             ;   in Loop: Header=BB4_2226 Depth=4
	v_bfrev_b32_e32 v4, 1
	s_mov_b32 s72, exec_lo
	v_cmpx_ne_u16_e32 0xff80, v94
	s_cbranch_execz .LBB4_2543
; %bb.2536:                             ;   in Loop: Header=BB4_2226 Depth=4
	v_and_b32_e32 v4, 0x7c, v94
	v_and_b32_e32 v5, 3, v94
	s_delay_alu instid0(VALU_DEP_2) | instskip(SKIP_1) | instid1(SALU_CYCLE_1)
	v_cmp_ne_u32_e32 vcc_lo, 0x7c, v4
                                        ; implicit-def: $vgpr4
	s_and_saveexec_b32 s73, vcc_lo
	s_xor_b32 s73, exec_lo, s73
	s_cbranch_execz .LBB4_2540
; %bb.2537:                             ;   in Loop: Header=BB4_2226 Depth=4
	v_and_b32_e32 v4, 0xff, v94
	s_mov_b32 s74, exec_lo
	s_delay_alu instid0(VALU_DEP_1) | instskip(NEXT) | instid1(VALU_DEP_1)
	v_bfe_u32 v4, v4, 2, 5
	v_cmpx_eq_u32_e32 0, v4
	s_cbranch_execz .LBB4_2539
; %bb.2538:                             ;   in Loop: Header=BB4_2226 Depth=4
	v_clz_i32_u32_e32 v4, v5
	s_delay_alu instid0(VALU_DEP_1) | instskip(SKIP_1) | instid1(VALU_DEP_2)
	v_min_u32_e32 v4, 32, v4
	v_mov_b32_e32 v95, v3
	v_subrev_nc_u32_e32 v5, 29, v4
	v_sub_nc_u32_e32 v4, 30, v4
	s_delay_alu instid0(VALU_DEP_2) | instskip(NEXT) | instid1(VALU_DEP_1)
	v_lshlrev_b64_e32 v[24:25], v5, v[94:95]
	v_and_b32_e32 v5, 3, v24
.LBB4_2539:                             ;   in Loop: Header=BB4_2226 Depth=4
	s_or_b32 exec_lo, exec_lo, s74
	v_bfe_i32 v15, v94, 0, 16
                                        ; implicit-def: $vgpr94
	s_delay_alu instid0(VALU_DEP_1) | instskip(NEXT) | instid1(VALU_DEP_1)
	v_and_b32_e32 v15, 0x80000000, v15
	v_lshl_add_u32 v4, v4, 23, v15
	s_delay_alu instid0(VALU_DEP_1) | instskip(NEXT) | instid1(VALU_DEP_1)
	v_lshl_or_b32 v4, v5, 21, v4
                                        ; implicit-def: $vgpr5
	v_add_nc_u32_e32 v4, 0x38000000, v4
.LBB4_2540:                             ;   in Loop: Header=BB4_2226 Depth=4
	s_and_not1_saveexec_b32 s73, s73
; %bb.2541:                             ;   in Loop: Header=BB4_2226 Depth=4
	v_cmp_lt_i16_e32 vcc_lo, -1, v94
	v_cndmask_b32_e32 v4, 0xff800000, v112, vcc_lo
	v_cmp_eq_u32_e32 vcc_lo, 0, v5
	s_delay_alu instid0(VALU_DEP_2)
	v_cndmask_b32_e32 v4, 0x7f800001, v4, vcc_lo
; %bb.2542:                             ;   in Loop: Header=BB4_2226 Depth=4
	s_or_b32 exec_lo, exec_lo, s73
.LBB4_2543:                             ;   in Loop: Header=BB4_2226 Depth=4
	s_delay_alu instid0(SALU_CYCLE_1)
	s_or_b32 exec_lo, exec_lo, s72
.LBB4_2544:                             ;   in Loop: Header=BB4_2226 Depth=4
	s_delay_alu instid0(SALU_CYCLE_1) | instskip(NEXT) | instid1(SALU_CYCLE_1)
	s_or_b32 exec_lo, exec_lo, s13
	s_mov_b32 s13, exec_lo
	s_wait_loadcnt_dscnt 0x808
	v_cmpx_ne_u16_e32 0, v92
	s_cbranch_execz .LBB4_2554
; %bb.2545:                             ;   in Loop: Header=BB4_2226 Depth=4
	v_bfrev_b32_e32 v2, 1
	s_mov_b32 s72, exec_lo
	v_cmpx_ne_u16_e32 0xff80, v92
	s_cbranch_execz .LBB4_2553
; %bb.2546:                             ;   in Loop: Header=BB4_2226 Depth=4
	v_and_b32_e32 v2, 0x7c, v92
	v_and_b32_e32 v5, 3, v92
	s_delay_alu instid0(VALU_DEP_2) | instskip(SKIP_1) | instid1(SALU_CYCLE_1)
	v_cmp_ne_u32_e32 vcc_lo, 0x7c, v2
                                        ; implicit-def: $vgpr2
	s_and_saveexec_b32 s73, vcc_lo
	s_xor_b32 s73, exec_lo, s73
	s_cbranch_execz .LBB4_2550
; %bb.2547:                             ;   in Loop: Header=BB4_2226 Depth=4
	v_and_b32_e32 v2, 0xff, v92
	s_mov_b32 s74, exec_lo
	s_delay_alu instid0(VALU_DEP_1) | instskip(NEXT) | instid1(VALU_DEP_1)
	v_bfe_u32 v2, v2, 2, 5
	v_cmpx_eq_u32_e32 0, v2
	s_cbranch_execz .LBB4_2549
; %bb.2548:                             ;   in Loop: Header=BB4_2226 Depth=4
	v_clz_i32_u32_e32 v2, v5
	s_delay_alu instid0(VALU_DEP_1) | instskip(SKIP_1) | instid1(VALU_DEP_2)
	v_min_u32_e32 v2, 32, v2
	v_mov_b32_e32 v93, v3
	v_subrev_nc_u32_e32 v5, 29, v2
	v_sub_nc_u32_e32 v2, 30, v2
	s_delay_alu instid0(VALU_DEP_2) | instskip(NEXT) | instid1(VALU_DEP_1)
	v_lshlrev_b64_e32 v[24:25], v5, v[92:93]
	v_and_b32_e32 v5, 3, v24
.LBB4_2549:                             ;   in Loop: Header=BB4_2226 Depth=4
	s_or_b32 exec_lo, exec_lo, s74
	v_bfe_i32 v15, v92, 0, 16
                                        ; implicit-def: $vgpr92
	s_delay_alu instid0(VALU_DEP_1) | instskip(NEXT) | instid1(VALU_DEP_1)
	v_and_b32_e32 v15, 0x80000000, v15
	v_lshl_add_u32 v2, v2, 23, v15
	s_delay_alu instid0(VALU_DEP_1) | instskip(NEXT) | instid1(VALU_DEP_1)
	v_lshl_or_b32 v2, v5, 21, v2
                                        ; implicit-def: $vgpr5
	v_add_nc_u32_e32 v2, 0x38000000, v2
.LBB4_2550:                             ;   in Loop: Header=BB4_2226 Depth=4
	s_and_not1_saveexec_b32 s73, s73
; %bb.2551:                             ;   in Loop: Header=BB4_2226 Depth=4
	v_cmp_lt_i16_e32 vcc_lo, -1, v92
	v_cndmask_b32_e32 v2, 0xff800000, v112, vcc_lo
	v_cmp_eq_u32_e32 vcc_lo, 0, v5
	s_delay_alu instid0(VALU_DEP_2)
	v_cndmask_b32_e32 v2, 0x7f800001, v2, vcc_lo
; %bb.2552:                             ;   in Loop: Header=BB4_2226 Depth=4
	s_or_b32 exec_lo, exec_lo, s73
.LBB4_2553:                             ;   in Loop: Header=BB4_2226 Depth=4
	s_delay_alu instid0(SALU_CYCLE_1)
	s_or_b32 exec_lo, exec_lo, s72
.LBB4_2554:                             ;   in Loop: Header=BB4_2226 Depth=4
	s_delay_alu instid0(SALU_CYCLE_1) | instskip(NEXT) | instid1(VALU_DEP_1)
	s_or_b32 exec_lo, exec_lo, s13
	v_dual_mul_f32 v4, v4, v2 :: v_dual_mov_b32 v25, v3
                                        ; implicit-def: $vgpr29
	s_mov_b32 s13, exec_lo
	s_delay_alu instid0(VALU_DEP_1) | instskip(SKIP_1) | instid1(VALU_DEP_2)
	v_and_b32_e32 v24, 0x7f800000, v4
	v_and_b32_e32 v2, 0x7fffff, v4
	v_cmpx_ne_u64_e32 0x7f800000, v[24:25]
	s_xor_b32 s72, exec_lo, s13
	s_cbranch_execz .LBB4_2572
; %bb.2555:                             ;   in Loop: Header=BB4_2226 Depth=4
	v_dual_mov_b32 v25, v3 :: v_dual_lshrrev_b32 v5, 24, v4
	v_and_b32_e32 v24, 0x7fffffff, v4
                                        ; implicit-def: $vgpr29
	s_mov_b32 s13, exec_lo
	s_delay_alu instid0(VALU_DEP_2) | instskip(NEXT) | instid1(VALU_DEP_2)
	v_and_b32_e32 v15, 0x80, v5
	v_cmpx_gt_u64_e32 0x47600001, v[24:25]
	s_xor_b32 s73, exec_lo, s13
	s_cbranch_execz .LBB4_2569
; %bb.2556:                             ;   in Loop: Header=BB4_2226 Depth=4
	v_mov_b32_e32 v29, 0
	s_mov_b32 s74, exec_lo
	v_cmpx_ne_u32_e32 0, v4
	s_cbranch_execz .LBB4_2568
; %bb.2557:                             ;   in Loop: Header=BB4_2226 Depth=4
	v_bfe_u32 v17, v4, 23, 8
	v_or_b32_e32 v21, 0x800000, v2
	s_delay_alu instid0(VALU_DEP_2) | instskip(SKIP_1) | instid1(VALU_DEP_2)
	v_sub_nc_u32_e32 v4, 0x71, v17
	v_cmp_gt_u32_e32 vcc_lo, 0x72, v17
	v_cndmask_b32_e32 v4, 0, v4, vcc_lo
	v_cmp_eq_u32_e32 vcc_lo, 0, v17
	s_delay_alu instid0(VALU_DEP_2) | instskip(NEXT) | instid1(VALU_DEP_1)
	v_cndmask_b32_e64 v19, v4, 0x70, vcc_lo
	v_dual_cndmask_b32 v2, v21, v2, vcc_lo :: v_dual_add_nc_u32 v4, 21, v19
	v_add_nc_u32_e32 v23, 20, v19
	s_delay_alu instid0(VALU_DEP_2) | instskip(NEXT) | instid1(VALU_DEP_2)
	v_lshlrev_b64_e64 v[4:5], v4, -1
	v_lshlrev_b64_e64 v[24:25], v23, 1
	s_delay_alu instid0(VALU_DEP_2) | instskip(NEXT) | instid1(VALU_DEP_3)
	v_bfi_b32 v85, v5, 0, 0
	v_bfi_b32 v84, v4, 0, v2
	v_lshrrev_b64 v[4:5], v19, v[2:3]
	s_delay_alu instid0(VALU_DEP_2) | instskip(NEXT) | instid1(VALU_DEP_2)
	v_cmp_eq_u64_e64 s13, v[84:85], v[24:25]
	v_mov_b64_e32 v[24:25], v[4:5]
	s_and_saveexec_b32 s75, s13
; %bb.2558:                             ;   in Loop: Header=BB4_2226 Depth=4
	v_bfe_u32 v2, v4, 21, 1
	s_delay_alu instid0(VALU_DEP_1) | instskip(NEXT) | instid1(VALU_DEP_1)
	v_add_nc_u64_e32 v[24:25], v[4:5], v[2:3]
	v_add_nc_u64_e32 v[24:25], -1, v[24:25]
; %bb.2559:                             ;   in Loop: Header=BB4_2226 Depth=4
	s_or_b32 exec_lo, exec_lo, s75
	v_add_nc_u32_e32 v2, 0xffffff81, v17
	v_lshrrev_b32_e32 v5, 23, v4
	s_mov_b32 s13, exec_lo
                                        ; implicit-def: $vgpr17
	s_delay_alu instid0(VALU_DEP_2) | instskip(NEXT) | instid1(VALU_DEP_1)
	v_cndmask_b32_e64 v2, v2, 0xffffff82, vcc_lo
	v_add3_u32 v19, v19, v2, v5
	v_and_b32_e32 v2, 0x1fffff, v24
	s_delay_alu instid0(VALU_DEP_1) | instskip(NEXT) | instid1(VALU_DEP_1)
	v_dual_add_nc_u32 v21, 14, v19 :: v_dual_add_nc_u32 v2, v2, v4
                                        ; implicit-def: $vgpr4_vgpr5
	v_cmpx_ne_u32_e32 0, v21
	s_xor_b32 s13, exec_lo, s13
; %bb.2560:                             ;   in Loop: Header=BB4_2226 Depth=4
	s_delay_alu instid0(VALU_DEP_2) | instskip(SKIP_1) | instid1(VALU_DEP_1)
	v_cmp_lt_u64_e32 vcc_lo, 0xffffff, v[2:3]
	v_add_nc_u32_e32 v4, 15, v19
	v_cndmask_b32_e32 v17, v21, v4, vcc_lo
	v_cndmask_b32_e64 v4, 0, 1, vcc_lo
	s_delay_alu instid0(VALU_DEP_1)
	v_lshrrev_b64 v[4:5], v4, v[2:3]
; %bb.2561:                             ;   in Loop: Header=BB4_2226 Depth=4
	s_and_not1_saveexec_b32 s13, s13
; %bb.2562:                             ;   in Loop: Header=BB4_2226 Depth=4
	v_mov_b64_e32 v[4:5], v[2:3]
	v_bfe_u32 v17, v2, 23, 1
; %bb.2563:                             ;   in Loop: Header=BB4_2226 Depth=4
	s_or_b32 exec_lo, exec_lo, s13
	s_delay_alu instid0(VALU_DEP_2) | instskip(NEXT) | instid1(VALU_DEP_2)
	v_lshrrev_b64 v[4:5], 21, v[4:5]
	v_cmp_gt_i32_e32 vcc_lo, 32, v17
	v_cmp_ne_u32_e64 s13, 0, v17
                                        ; implicit-def: $vgpr29
	s_delay_alu instid0(VALU_DEP_3) | instskip(NEXT) | instid1(VALU_DEP_1)
	v_dual_cndmask_b32 v5, 0, v5 :: v_dual_cndmask_b32 v4, 3, v4
	v_cmp_ne_u64_e32 vcc_lo, 0, v[4:5]
	s_or_b32 s13, s13, vcc_lo
	s_delay_alu instid0(SALU_CYCLE_1) | instskip(NEXT) | instid1(SALU_CYCLE_1)
	s_and_saveexec_b32 s75, s13
	s_xor_b32 s13, exec_lo, s75
; %bb.2564:                             ;   in Loop: Header=BB4_2226 Depth=4
	v_min_i32_e32 v2, 31, v17
	s_delay_alu instid0(VALU_DEP_1) | instskip(NEXT) | instid1(VALU_DEP_1)
	v_lshl_or_b32 v2, v2, 2, v15
                                        ; implicit-def: $vgpr15
	v_and_or_b32 v29, v4, 3, v2
; %bb.2565:                             ;   in Loop: Header=BB4_2226 Depth=4
	s_and_not1_saveexec_b32 s13, s13
; %bb.2566:                             ;   in Loop: Header=BB4_2226 Depth=4
	v_mov_b32_e32 v29, v15
; %bb.2567:                             ;   in Loop: Header=BB4_2226 Depth=4
	s_or_b32 exec_lo, exec_lo, s13
.LBB4_2568:                             ;   in Loop: Header=BB4_2226 Depth=4
	s_delay_alu instid0(SALU_CYCLE_1)
	s_or_b32 exec_lo, exec_lo, s74
                                        ; implicit-def: $vgpr15
.LBB4_2569:                             ;   in Loop: Header=BB4_2226 Depth=4
	s_and_not1_saveexec_b32 s13, s73
; %bb.2570:                             ;   in Loop: Header=BB4_2226 Depth=4
	v_or_b32_e32 v29, 0x7b, v15
; %bb.2571:                             ;   in Loop: Header=BB4_2226 Depth=4
	s_or_b32 exec_lo, exec_lo, s13
                                        ; implicit-def: $vgpr4
.LBB4_2572:                             ;   in Loop: Header=BB4_2226 Depth=4
	s_and_not1_saveexec_b32 s13, s72
	s_cbranch_execz .LBB4_2578
; %bb.2573:                             ;   in Loop: Header=BB4_2226 Depth=4
	s_mov_b32 s72, exec_lo
                                        ; implicit-def: $vgpr29
	v_cmpx_ne_u64_e32 0, v[2:3]
	s_xor_b32 s72, exec_lo, s72
; %bb.2574:                             ;   in Loop: Header=BB4_2226 Depth=4
	v_lshrrev_b32_e32 v2, 24, v4
                                        ; implicit-def: $vgpr4
	s_delay_alu instid0(VALU_DEP_1)
	v_or_b32_e32 v29, 0x7f, v2
; %bb.2575:                             ;   in Loop: Header=BB4_2226 Depth=4
	s_and_not1_saveexec_b32 s72, s72
; %bb.2576:                             ;   in Loop: Header=BB4_2226 Depth=4
	v_cmp_lt_i32_e32 vcc_lo, -1, v4
	v_cndmask_b32_e64 v29, -4, 0x7c, vcc_lo
; %bb.2577:                             ;   in Loop: Header=BB4_2226 Depth=4
	s_or_b32 exec_lo, exec_lo, s72
.LBB4_2578:                             ;   in Loop: Header=BB4_2226 Depth=4
	s_delay_alu instid0(SALU_CYCLE_1)
	s_or_b32 exec_lo, exec_lo, s13
	v_dual_mov_b32 v2, 0 :: v_dual_mov_b32 v4, 0
	s_mov_b32 s13, exec_lo
	v_cmpx_ne_u16_e32 0, v90
	s_cbranch_execz .LBB4_2588
; %bb.2579:                             ;   in Loop: Header=BB4_2226 Depth=4
	v_bfrev_b32_e32 v4, 1
	s_mov_b32 s72, exec_lo
	v_cmpx_ne_u16_e32 0xff80, v90
	s_cbranch_execz .LBB4_2587
; %bb.2580:                             ;   in Loop: Header=BB4_2226 Depth=4
	v_and_b32_e32 v4, 0x7c, v90
	v_and_b32_e32 v5, 3, v90
	s_delay_alu instid0(VALU_DEP_2) | instskip(SKIP_1) | instid1(SALU_CYCLE_1)
	v_cmp_ne_u32_e32 vcc_lo, 0x7c, v4
                                        ; implicit-def: $vgpr4
	s_and_saveexec_b32 s73, vcc_lo
	s_xor_b32 s73, exec_lo, s73
	s_cbranch_execz .LBB4_2584
; %bb.2581:                             ;   in Loop: Header=BB4_2226 Depth=4
	v_and_b32_e32 v4, 0xff, v90
	s_mov_b32 s74, exec_lo
	s_delay_alu instid0(VALU_DEP_1) | instskip(NEXT) | instid1(VALU_DEP_1)
	v_bfe_u32 v4, v4, 2, 5
	v_cmpx_eq_u32_e32 0, v4
	s_cbranch_execz .LBB4_2583
; %bb.2582:                             ;   in Loop: Header=BB4_2226 Depth=4
	v_clz_i32_u32_e32 v4, v5
	s_delay_alu instid0(VALU_DEP_1) | instskip(SKIP_1) | instid1(VALU_DEP_2)
	v_min_u32_e32 v4, 32, v4
	v_mov_b32_e32 v91, v3
	v_subrev_nc_u32_e32 v5, 29, v4
	v_sub_nc_u32_e32 v4, 30, v4
	s_delay_alu instid0(VALU_DEP_2) | instskip(NEXT) | instid1(VALU_DEP_1)
	v_lshlrev_b64_e32 v[24:25], v5, v[90:91]
	v_and_b32_e32 v5, 3, v24
.LBB4_2583:                             ;   in Loop: Header=BB4_2226 Depth=4
	s_or_b32 exec_lo, exec_lo, s74
	v_bfe_i32 v15, v90, 0, 16
                                        ; implicit-def: $vgpr90
	s_delay_alu instid0(VALU_DEP_1) | instskip(NEXT) | instid1(VALU_DEP_1)
	v_and_b32_e32 v15, 0x80000000, v15
	v_lshl_add_u32 v4, v4, 23, v15
	s_delay_alu instid0(VALU_DEP_1) | instskip(NEXT) | instid1(VALU_DEP_1)
	v_lshl_or_b32 v4, v5, 21, v4
                                        ; implicit-def: $vgpr5
	v_add_nc_u32_e32 v4, 0x38000000, v4
.LBB4_2584:                             ;   in Loop: Header=BB4_2226 Depth=4
	s_and_not1_saveexec_b32 s73, s73
; %bb.2585:                             ;   in Loop: Header=BB4_2226 Depth=4
	v_cmp_lt_i16_e32 vcc_lo, -1, v90
	v_cndmask_b32_e32 v4, 0xff800000, v112, vcc_lo
	v_cmp_eq_u32_e32 vcc_lo, 0, v5
	s_delay_alu instid0(VALU_DEP_2)
	v_cndmask_b32_e32 v4, 0x7f800001, v4, vcc_lo
; %bb.2586:                             ;   in Loop: Header=BB4_2226 Depth=4
	s_or_b32 exec_lo, exec_lo, s73
.LBB4_2587:                             ;   in Loop: Header=BB4_2226 Depth=4
	s_delay_alu instid0(SALU_CYCLE_1)
	s_or_b32 exec_lo, exec_lo, s72
.LBB4_2588:                             ;   in Loop: Header=BB4_2226 Depth=4
	s_delay_alu instid0(SALU_CYCLE_1) | instskip(NEXT) | instid1(SALU_CYCLE_1)
	s_or_b32 exec_lo, exec_lo, s13
	s_mov_b32 s13, exec_lo
	s_wait_loadcnt_dscnt 0x707
	v_cmpx_ne_u16_e32 0, v88
	s_cbranch_execz .LBB4_2598
; %bb.2589:                             ;   in Loop: Header=BB4_2226 Depth=4
	v_bfrev_b32_e32 v2, 1
	s_mov_b32 s72, exec_lo
	v_cmpx_ne_u16_e32 0xff80, v88
	s_cbranch_execz .LBB4_2597
; %bb.2590:                             ;   in Loop: Header=BB4_2226 Depth=4
	v_and_b32_e32 v2, 0x7c, v88
	v_and_b32_e32 v5, 3, v88
	s_delay_alu instid0(VALU_DEP_2) | instskip(SKIP_1) | instid1(SALU_CYCLE_1)
	v_cmp_ne_u32_e32 vcc_lo, 0x7c, v2
                                        ; implicit-def: $vgpr2
	s_and_saveexec_b32 s73, vcc_lo
	s_xor_b32 s73, exec_lo, s73
	s_cbranch_execz .LBB4_2594
; %bb.2591:                             ;   in Loop: Header=BB4_2226 Depth=4
	v_and_b32_e32 v2, 0xff, v88
	s_mov_b32 s74, exec_lo
	s_delay_alu instid0(VALU_DEP_1) | instskip(NEXT) | instid1(VALU_DEP_1)
	v_bfe_u32 v2, v2, 2, 5
	v_cmpx_eq_u32_e32 0, v2
	s_cbranch_execz .LBB4_2593
; %bb.2592:                             ;   in Loop: Header=BB4_2226 Depth=4
	v_clz_i32_u32_e32 v2, v5
	s_delay_alu instid0(VALU_DEP_1) | instskip(SKIP_1) | instid1(VALU_DEP_2)
	v_min_u32_e32 v2, 32, v2
	v_mov_b32_e32 v89, v3
	v_subrev_nc_u32_e32 v5, 29, v2
	v_sub_nc_u32_e32 v2, 30, v2
	s_delay_alu instid0(VALU_DEP_2) | instskip(NEXT) | instid1(VALU_DEP_1)
	v_lshlrev_b64_e32 v[24:25], v5, v[88:89]
	v_and_b32_e32 v5, 3, v24
.LBB4_2593:                             ;   in Loop: Header=BB4_2226 Depth=4
	s_or_b32 exec_lo, exec_lo, s74
	v_bfe_i32 v15, v88, 0, 16
                                        ; implicit-def: $vgpr88
	s_delay_alu instid0(VALU_DEP_1) | instskip(NEXT) | instid1(VALU_DEP_1)
	v_and_b32_e32 v15, 0x80000000, v15
	v_lshl_add_u32 v2, v2, 23, v15
	s_delay_alu instid0(VALU_DEP_1) | instskip(NEXT) | instid1(VALU_DEP_1)
	v_lshl_or_b32 v2, v5, 21, v2
                                        ; implicit-def: $vgpr5
	v_add_nc_u32_e32 v2, 0x38000000, v2
.LBB4_2594:                             ;   in Loop: Header=BB4_2226 Depth=4
	s_and_not1_saveexec_b32 s73, s73
; %bb.2595:                             ;   in Loop: Header=BB4_2226 Depth=4
	v_cmp_lt_i16_e32 vcc_lo, -1, v88
	v_cndmask_b32_e32 v2, 0xff800000, v112, vcc_lo
	v_cmp_eq_u32_e32 vcc_lo, 0, v5
	s_delay_alu instid0(VALU_DEP_2)
	v_cndmask_b32_e32 v2, 0x7f800001, v2, vcc_lo
; %bb.2596:                             ;   in Loop: Header=BB4_2226 Depth=4
	s_or_b32 exec_lo, exec_lo, s73
.LBB4_2597:                             ;   in Loop: Header=BB4_2226 Depth=4
	s_delay_alu instid0(SALU_CYCLE_1)
	s_or_b32 exec_lo, exec_lo, s72
.LBB4_2598:                             ;   in Loop: Header=BB4_2226 Depth=4
	s_delay_alu instid0(SALU_CYCLE_1) | instskip(NEXT) | instid1(VALU_DEP_1)
	s_or_b32 exec_lo, exec_lo, s13
	v_dual_mul_f32 v4, v4, v2 :: v_dual_mov_b32 v25, v3
                                        ; implicit-def: $vgpr31
	s_mov_b32 s13, exec_lo
	s_delay_alu instid0(VALU_DEP_1) | instskip(SKIP_1) | instid1(VALU_DEP_2)
	v_and_b32_e32 v24, 0x7f800000, v4
	v_and_b32_e32 v2, 0x7fffff, v4
	v_cmpx_ne_u64_e32 0x7f800000, v[24:25]
	s_xor_b32 s72, exec_lo, s13
	s_cbranch_execz .LBB4_2616
; %bb.2599:                             ;   in Loop: Header=BB4_2226 Depth=4
	v_dual_mov_b32 v25, v3 :: v_dual_lshrrev_b32 v5, 24, v4
	v_and_b32_e32 v24, 0x7fffffff, v4
                                        ; implicit-def: $vgpr31
	s_mov_b32 s13, exec_lo
	s_delay_alu instid0(VALU_DEP_2) | instskip(NEXT) | instid1(VALU_DEP_2)
	v_and_b32_e32 v15, 0x80, v5
	v_cmpx_gt_u64_e32 0x47600001, v[24:25]
	s_xor_b32 s73, exec_lo, s13
	s_cbranch_execz .LBB4_2613
; %bb.2600:                             ;   in Loop: Header=BB4_2226 Depth=4
	v_mov_b32_e32 v31, 0
	s_mov_b32 s74, exec_lo
	v_cmpx_ne_u32_e32 0, v4
	s_cbranch_execz .LBB4_2612
; %bb.2601:                             ;   in Loop: Header=BB4_2226 Depth=4
	v_bfe_u32 v17, v4, 23, 8
	v_or_b32_e32 v21, 0x800000, v2
	s_delay_alu instid0(VALU_DEP_2) | instskip(SKIP_1) | instid1(VALU_DEP_2)
	v_sub_nc_u32_e32 v4, 0x71, v17
	v_cmp_gt_u32_e32 vcc_lo, 0x72, v17
	v_cndmask_b32_e32 v4, 0, v4, vcc_lo
	v_cmp_eq_u32_e32 vcc_lo, 0, v17
	s_delay_alu instid0(VALU_DEP_2) | instskip(NEXT) | instid1(VALU_DEP_1)
	v_cndmask_b32_e64 v19, v4, 0x70, vcc_lo
	v_dual_cndmask_b32 v2, v21, v2, vcc_lo :: v_dual_add_nc_u32 v4, 21, v19
	v_add_nc_u32_e32 v23, 20, v19
	s_delay_alu instid0(VALU_DEP_2) | instskip(NEXT) | instid1(VALU_DEP_2)
	v_lshlrev_b64_e64 v[4:5], v4, -1
	v_lshlrev_b64_e64 v[24:25], v23, 1
	s_delay_alu instid0(VALU_DEP_2) | instskip(NEXT) | instid1(VALU_DEP_3)
	v_bfi_b32 v85, v5, 0, 0
	v_bfi_b32 v84, v4, 0, v2
	v_lshrrev_b64 v[4:5], v19, v[2:3]
	s_delay_alu instid0(VALU_DEP_2) | instskip(NEXT) | instid1(VALU_DEP_2)
	v_cmp_eq_u64_e64 s13, v[84:85], v[24:25]
	v_mov_b64_e32 v[24:25], v[4:5]
	s_and_saveexec_b32 s75, s13
; %bb.2602:                             ;   in Loop: Header=BB4_2226 Depth=4
	v_bfe_u32 v2, v4, 21, 1
	s_delay_alu instid0(VALU_DEP_1) | instskip(NEXT) | instid1(VALU_DEP_1)
	v_add_nc_u64_e32 v[24:25], v[4:5], v[2:3]
	v_add_nc_u64_e32 v[24:25], -1, v[24:25]
; %bb.2603:                             ;   in Loop: Header=BB4_2226 Depth=4
	s_or_b32 exec_lo, exec_lo, s75
	v_add_nc_u32_e32 v2, 0xffffff81, v17
	v_lshrrev_b32_e32 v5, 23, v4
	s_mov_b32 s13, exec_lo
                                        ; implicit-def: $vgpr17
	s_delay_alu instid0(VALU_DEP_2) | instskip(NEXT) | instid1(VALU_DEP_1)
	v_cndmask_b32_e64 v2, v2, 0xffffff82, vcc_lo
	v_add3_u32 v19, v19, v2, v5
	v_and_b32_e32 v2, 0x1fffff, v24
	s_delay_alu instid0(VALU_DEP_1) | instskip(NEXT) | instid1(VALU_DEP_1)
	v_dual_add_nc_u32 v21, 14, v19 :: v_dual_add_nc_u32 v2, v2, v4
                                        ; implicit-def: $vgpr4_vgpr5
	v_cmpx_ne_u32_e32 0, v21
	s_xor_b32 s13, exec_lo, s13
; %bb.2604:                             ;   in Loop: Header=BB4_2226 Depth=4
	s_delay_alu instid0(VALU_DEP_2) | instskip(SKIP_1) | instid1(VALU_DEP_1)
	v_cmp_lt_u64_e32 vcc_lo, 0xffffff, v[2:3]
	v_add_nc_u32_e32 v4, 15, v19
	v_cndmask_b32_e32 v17, v21, v4, vcc_lo
	v_cndmask_b32_e64 v4, 0, 1, vcc_lo
	s_delay_alu instid0(VALU_DEP_1)
	v_lshrrev_b64 v[4:5], v4, v[2:3]
; %bb.2605:                             ;   in Loop: Header=BB4_2226 Depth=4
	s_and_not1_saveexec_b32 s13, s13
; %bb.2606:                             ;   in Loop: Header=BB4_2226 Depth=4
	v_mov_b64_e32 v[4:5], v[2:3]
	v_bfe_u32 v17, v2, 23, 1
; %bb.2607:                             ;   in Loop: Header=BB4_2226 Depth=4
	s_or_b32 exec_lo, exec_lo, s13
	s_delay_alu instid0(VALU_DEP_2) | instskip(NEXT) | instid1(VALU_DEP_2)
	v_lshrrev_b64 v[4:5], 21, v[4:5]
	v_cmp_gt_i32_e32 vcc_lo, 32, v17
	v_cmp_ne_u32_e64 s13, 0, v17
                                        ; implicit-def: $vgpr31
	s_delay_alu instid0(VALU_DEP_3) | instskip(NEXT) | instid1(VALU_DEP_1)
	v_dual_cndmask_b32 v5, 0, v5 :: v_dual_cndmask_b32 v4, 3, v4
	v_cmp_ne_u64_e32 vcc_lo, 0, v[4:5]
	s_or_b32 s13, s13, vcc_lo
	s_delay_alu instid0(SALU_CYCLE_1) | instskip(NEXT) | instid1(SALU_CYCLE_1)
	s_and_saveexec_b32 s75, s13
	s_xor_b32 s13, exec_lo, s75
; %bb.2608:                             ;   in Loop: Header=BB4_2226 Depth=4
	v_min_i32_e32 v2, 31, v17
	s_delay_alu instid0(VALU_DEP_1) | instskip(NEXT) | instid1(VALU_DEP_1)
	v_lshl_or_b32 v2, v2, 2, v15
                                        ; implicit-def: $vgpr15
	v_and_or_b32 v31, v4, 3, v2
; %bb.2609:                             ;   in Loop: Header=BB4_2226 Depth=4
	s_and_not1_saveexec_b32 s13, s13
; %bb.2610:                             ;   in Loop: Header=BB4_2226 Depth=4
	v_mov_b32_e32 v31, v15
; %bb.2611:                             ;   in Loop: Header=BB4_2226 Depth=4
	s_or_b32 exec_lo, exec_lo, s13
.LBB4_2612:                             ;   in Loop: Header=BB4_2226 Depth=4
	s_delay_alu instid0(SALU_CYCLE_1)
	s_or_b32 exec_lo, exec_lo, s74
                                        ; implicit-def: $vgpr15
.LBB4_2613:                             ;   in Loop: Header=BB4_2226 Depth=4
	s_and_not1_saveexec_b32 s13, s73
; %bb.2614:                             ;   in Loop: Header=BB4_2226 Depth=4
	v_or_b32_e32 v31, 0x7b, v15
; %bb.2615:                             ;   in Loop: Header=BB4_2226 Depth=4
	s_or_b32 exec_lo, exec_lo, s13
                                        ; implicit-def: $vgpr4
.LBB4_2616:                             ;   in Loop: Header=BB4_2226 Depth=4
	s_and_not1_saveexec_b32 s13, s72
	s_cbranch_execz .LBB4_2622
; %bb.2617:                             ;   in Loop: Header=BB4_2226 Depth=4
	s_mov_b32 s72, exec_lo
                                        ; implicit-def: $vgpr31
	v_cmpx_ne_u64_e32 0, v[2:3]
	s_xor_b32 s72, exec_lo, s72
; %bb.2618:                             ;   in Loop: Header=BB4_2226 Depth=4
	v_lshrrev_b32_e32 v2, 24, v4
                                        ; implicit-def: $vgpr4
	s_delay_alu instid0(VALU_DEP_1)
	v_or_b32_e32 v31, 0x7f, v2
; %bb.2619:                             ;   in Loop: Header=BB4_2226 Depth=4
	s_and_not1_saveexec_b32 s72, s72
; %bb.2620:                             ;   in Loop: Header=BB4_2226 Depth=4
	v_cmp_lt_i32_e32 vcc_lo, -1, v4
	v_cndmask_b32_e64 v31, -4, 0x7c, vcc_lo
; %bb.2621:                             ;   in Loop: Header=BB4_2226 Depth=4
	s_or_b32 exec_lo, exec_lo, s72
.LBB4_2622:                             ;   in Loop: Header=BB4_2226 Depth=4
	s_delay_alu instid0(SALU_CYCLE_1)
	s_or_b32 exec_lo, exec_lo, s13
	v_dual_mov_b32 v2, 0 :: v_dual_mov_b32 v4, 0
	s_mov_b32 s13, exec_lo
	v_cmpx_ne_u16_e32 0, v78
	s_cbranch_execz .LBB4_2632
; %bb.2623:                             ;   in Loop: Header=BB4_2226 Depth=4
	v_bfrev_b32_e32 v4, 1
	s_mov_b32 s72, exec_lo
	v_cmpx_ne_u16_e32 0xff80, v78
	s_cbranch_execz .LBB4_2631
; %bb.2624:                             ;   in Loop: Header=BB4_2226 Depth=4
	v_and_b32_e32 v4, 0x7c, v78
	v_and_b32_e32 v5, 3, v78
	s_delay_alu instid0(VALU_DEP_2) | instskip(SKIP_1) | instid1(SALU_CYCLE_1)
	v_cmp_ne_u32_e32 vcc_lo, 0x7c, v4
                                        ; implicit-def: $vgpr4
	s_and_saveexec_b32 s73, vcc_lo
	s_xor_b32 s73, exec_lo, s73
	s_cbranch_execz .LBB4_2628
; %bb.2625:                             ;   in Loop: Header=BB4_2226 Depth=4
	v_and_b32_e32 v4, 0xff, v78
	s_mov_b32 s74, exec_lo
	s_delay_alu instid0(VALU_DEP_1) | instskip(NEXT) | instid1(VALU_DEP_1)
	v_bfe_u32 v4, v4, 2, 5
	v_cmpx_eq_u32_e32 0, v4
	s_cbranch_execz .LBB4_2627
; %bb.2626:                             ;   in Loop: Header=BB4_2226 Depth=4
	v_clz_i32_u32_e32 v4, v5
	s_delay_alu instid0(VALU_DEP_1) | instskip(SKIP_1) | instid1(VALU_DEP_2)
	v_min_u32_e32 v4, 32, v4
	v_mov_b32_e32 v79, v3
	v_subrev_nc_u32_e32 v5, 29, v4
	v_sub_nc_u32_e32 v4, 30, v4
	s_delay_alu instid0(VALU_DEP_2) | instskip(NEXT) | instid1(VALU_DEP_1)
	v_lshlrev_b64_e32 v[24:25], v5, v[78:79]
	v_and_b32_e32 v5, 3, v24
.LBB4_2627:                             ;   in Loop: Header=BB4_2226 Depth=4
	s_or_b32 exec_lo, exec_lo, s74
	v_bfe_i32 v15, v78, 0, 16
                                        ; implicit-def: $vgpr78
	s_delay_alu instid0(VALU_DEP_1) | instskip(NEXT) | instid1(VALU_DEP_1)
	v_and_b32_e32 v15, 0x80000000, v15
	v_lshl_add_u32 v4, v4, 23, v15
	s_delay_alu instid0(VALU_DEP_1) | instskip(NEXT) | instid1(VALU_DEP_1)
	v_lshl_or_b32 v4, v5, 21, v4
                                        ; implicit-def: $vgpr5
	v_add_nc_u32_e32 v4, 0x38000000, v4
.LBB4_2628:                             ;   in Loop: Header=BB4_2226 Depth=4
	s_and_not1_saveexec_b32 s73, s73
; %bb.2629:                             ;   in Loop: Header=BB4_2226 Depth=4
	v_cmp_lt_i16_e32 vcc_lo, -1, v78
	v_cndmask_b32_e32 v4, 0xff800000, v112, vcc_lo
	v_cmp_eq_u32_e32 vcc_lo, 0, v5
	s_delay_alu instid0(VALU_DEP_2)
	v_cndmask_b32_e32 v4, 0x7f800001, v4, vcc_lo
; %bb.2630:                             ;   in Loop: Header=BB4_2226 Depth=4
	s_or_b32 exec_lo, exec_lo, s73
.LBB4_2631:                             ;   in Loop: Header=BB4_2226 Depth=4
	s_delay_alu instid0(SALU_CYCLE_1)
	s_or_b32 exec_lo, exec_lo, s72
.LBB4_2632:                             ;   in Loop: Header=BB4_2226 Depth=4
	s_delay_alu instid0(SALU_CYCLE_1) | instskip(NEXT) | instid1(SALU_CYCLE_1)
	s_or_b32 exec_lo, exec_lo, s13
	s_mov_b32 s13, exec_lo
	s_wait_loadcnt_dscnt 0x606
	v_cmpx_ne_u16_e32 0, v76
	s_cbranch_execz .LBB4_2642
; %bb.2633:                             ;   in Loop: Header=BB4_2226 Depth=4
	v_bfrev_b32_e32 v2, 1
	s_mov_b32 s72, exec_lo
	v_cmpx_ne_u16_e32 0xff80, v76
	s_cbranch_execz .LBB4_2641
; %bb.2634:                             ;   in Loop: Header=BB4_2226 Depth=4
	v_and_b32_e32 v2, 0x7c, v76
	v_and_b32_e32 v5, 3, v76
	s_delay_alu instid0(VALU_DEP_2) | instskip(SKIP_1) | instid1(SALU_CYCLE_1)
	v_cmp_ne_u32_e32 vcc_lo, 0x7c, v2
                                        ; implicit-def: $vgpr2
	s_and_saveexec_b32 s73, vcc_lo
	s_xor_b32 s73, exec_lo, s73
	s_cbranch_execz .LBB4_2638
; %bb.2635:                             ;   in Loop: Header=BB4_2226 Depth=4
	v_and_b32_e32 v2, 0xff, v76
	s_mov_b32 s74, exec_lo
	s_delay_alu instid0(VALU_DEP_1) | instskip(NEXT) | instid1(VALU_DEP_1)
	v_bfe_u32 v2, v2, 2, 5
	v_cmpx_eq_u32_e32 0, v2
	s_cbranch_execz .LBB4_2637
; %bb.2636:                             ;   in Loop: Header=BB4_2226 Depth=4
	v_clz_i32_u32_e32 v2, v5
	s_delay_alu instid0(VALU_DEP_1) | instskip(SKIP_1) | instid1(VALU_DEP_2)
	v_min_u32_e32 v2, 32, v2
	v_mov_b32_e32 v77, v3
	v_subrev_nc_u32_e32 v5, 29, v2
	v_sub_nc_u32_e32 v2, 30, v2
	s_delay_alu instid0(VALU_DEP_2) | instskip(NEXT) | instid1(VALU_DEP_1)
	v_lshlrev_b64_e32 v[24:25], v5, v[76:77]
	v_and_b32_e32 v5, 3, v24
.LBB4_2637:                             ;   in Loop: Header=BB4_2226 Depth=4
	s_or_b32 exec_lo, exec_lo, s74
	v_bfe_i32 v15, v76, 0, 16
                                        ; implicit-def: $vgpr76
	s_delay_alu instid0(VALU_DEP_1) | instskip(NEXT) | instid1(VALU_DEP_1)
	v_and_b32_e32 v15, 0x80000000, v15
	v_lshl_add_u32 v2, v2, 23, v15
	s_delay_alu instid0(VALU_DEP_1) | instskip(NEXT) | instid1(VALU_DEP_1)
	v_lshl_or_b32 v2, v5, 21, v2
                                        ; implicit-def: $vgpr5
	v_add_nc_u32_e32 v2, 0x38000000, v2
.LBB4_2638:                             ;   in Loop: Header=BB4_2226 Depth=4
	s_and_not1_saveexec_b32 s73, s73
; %bb.2639:                             ;   in Loop: Header=BB4_2226 Depth=4
	v_cmp_lt_i16_e32 vcc_lo, -1, v76
	v_cndmask_b32_e32 v2, 0xff800000, v112, vcc_lo
	v_cmp_eq_u32_e32 vcc_lo, 0, v5
	s_delay_alu instid0(VALU_DEP_2)
	v_cndmask_b32_e32 v2, 0x7f800001, v2, vcc_lo
; %bb.2640:                             ;   in Loop: Header=BB4_2226 Depth=4
	s_or_b32 exec_lo, exec_lo, s73
.LBB4_2641:                             ;   in Loop: Header=BB4_2226 Depth=4
	s_delay_alu instid0(SALU_CYCLE_1)
	s_or_b32 exec_lo, exec_lo, s72
.LBB4_2642:                             ;   in Loop: Header=BB4_2226 Depth=4
	s_delay_alu instid0(SALU_CYCLE_1) | instskip(NEXT) | instid1(VALU_DEP_1)
	s_or_b32 exec_lo, exec_lo, s13
	v_dual_mul_f32 v4, v4, v2 :: v_dual_mov_b32 v25, v3
                                        ; implicit-def: $vgpr67
	s_mov_b32 s13, exec_lo
	s_delay_alu instid0(VALU_DEP_1) | instskip(SKIP_1) | instid1(VALU_DEP_2)
	v_and_b32_e32 v24, 0x7f800000, v4
	v_and_b32_e32 v2, 0x7fffff, v4
	v_cmpx_ne_u64_e32 0x7f800000, v[24:25]
	s_xor_b32 s72, exec_lo, s13
	s_cbranch_execz .LBB4_2660
; %bb.2643:                             ;   in Loop: Header=BB4_2226 Depth=4
	v_dual_mov_b32 v25, v3 :: v_dual_lshrrev_b32 v5, 24, v4
	v_and_b32_e32 v24, 0x7fffffff, v4
                                        ; implicit-def: $vgpr67
	s_mov_b32 s13, exec_lo
	s_delay_alu instid0(VALU_DEP_2) | instskip(NEXT) | instid1(VALU_DEP_2)
	v_and_b32_e32 v15, 0x80, v5
	v_cmpx_gt_u64_e32 0x47600001, v[24:25]
	s_xor_b32 s73, exec_lo, s13
	s_cbranch_execz .LBB4_2657
; %bb.2644:                             ;   in Loop: Header=BB4_2226 Depth=4
	v_mov_b32_e32 v67, 0
	s_mov_b32 s74, exec_lo
	v_cmpx_ne_u32_e32 0, v4
	s_cbranch_execz .LBB4_2656
; %bb.2645:                             ;   in Loop: Header=BB4_2226 Depth=4
	v_bfe_u32 v17, v4, 23, 8
	v_or_b32_e32 v21, 0x800000, v2
	s_delay_alu instid0(VALU_DEP_2) | instskip(SKIP_1) | instid1(VALU_DEP_2)
	v_sub_nc_u32_e32 v4, 0x71, v17
	v_cmp_gt_u32_e32 vcc_lo, 0x72, v17
	v_cndmask_b32_e32 v4, 0, v4, vcc_lo
	v_cmp_eq_u32_e32 vcc_lo, 0, v17
	s_delay_alu instid0(VALU_DEP_2) | instskip(NEXT) | instid1(VALU_DEP_1)
	v_cndmask_b32_e64 v19, v4, 0x70, vcc_lo
	v_dual_cndmask_b32 v2, v21, v2, vcc_lo :: v_dual_add_nc_u32 v4, 21, v19
	v_add_nc_u32_e32 v23, 20, v19
	s_delay_alu instid0(VALU_DEP_2) | instskip(NEXT) | instid1(VALU_DEP_2)
	v_lshlrev_b64_e64 v[4:5], v4, -1
	v_lshlrev_b64_e64 v[24:25], v23, 1
	s_delay_alu instid0(VALU_DEP_2) | instskip(NEXT) | instid1(VALU_DEP_3)
	v_bfi_b32 v85, v5, 0, 0
	v_bfi_b32 v84, v4, 0, v2
	v_lshrrev_b64 v[4:5], v19, v[2:3]
	s_delay_alu instid0(VALU_DEP_2) | instskip(NEXT) | instid1(VALU_DEP_2)
	v_cmp_eq_u64_e64 s13, v[84:85], v[24:25]
	v_mov_b64_e32 v[24:25], v[4:5]
	s_and_saveexec_b32 s75, s13
; %bb.2646:                             ;   in Loop: Header=BB4_2226 Depth=4
	v_bfe_u32 v2, v4, 21, 1
	s_delay_alu instid0(VALU_DEP_1) | instskip(NEXT) | instid1(VALU_DEP_1)
	v_add_nc_u64_e32 v[24:25], v[4:5], v[2:3]
	v_add_nc_u64_e32 v[24:25], -1, v[24:25]
; %bb.2647:                             ;   in Loop: Header=BB4_2226 Depth=4
	s_or_b32 exec_lo, exec_lo, s75
	v_add_nc_u32_e32 v2, 0xffffff81, v17
	v_lshrrev_b32_e32 v5, 23, v4
	s_mov_b32 s13, exec_lo
                                        ; implicit-def: $vgpr17
	s_delay_alu instid0(VALU_DEP_2) | instskip(NEXT) | instid1(VALU_DEP_1)
	v_cndmask_b32_e64 v2, v2, 0xffffff82, vcc_lo
	v_add3_u32 v19, v19, v2, v5
	v_and_b32_e32 v2, 0x1fffff, v24
	s_delay_alu instid0(VALU_DEP_1) | instskip(NEXT) | instid1(VALU_DEP_1)
	v_dual_add_nc_u32 v21, 14, v19 :: v_dual_add_nc_u32 v2, v2, v4
                                        ; implicit-def: $vgpr4_vgpr5
	v_cmpx_ne_u32_e32 0, v21
	s_xor_b32 s13, exec_lo, s13
; %bb.2648:                             ;   in Loop: Header=BB4_2226 Depth=4
	s_delay_alu instid0(VALU_DEP_2) | instskip(SKIP_1) | instid1(VALU_DEP_1)
	v_cmp_lt_u64_e32 vcc_lo, 0xffffff, v[2:3]
	v_add_nc_u32_e32 v4, 15, v19
	v_cndmask_b32_e32 v17, v21, v4, vcc_lo
	v_cndmask_b32_e64 v4, 0, 1, vcc_lo
	s_delay_alu instid0(VALU_DEP_1)
	v_lshrrev_b64 v[4:5], v4, v[2:3]
; %bb.2649:                             ;   in Loop: Header=BB4_2226 Depth=4
	s_and_not1_saveexec_b32 s13, s13
; %bb.2650:                             ;   in Loop: Header=BB4_2226 Depth=4
	v_mov_b64_e32 v[4:5], v[2:3]
	v_bfe_u32 v17, v2, 23, 1
; %bb.2651:                             ;   in Loop: Header=BB4_2226 Depth=4
	s_or_b32 exec_lo, exec_lo, s13
	s_delay_alu instid0(VALU_DEP_2) | instskip(NEXT) | instid1(VALU_DEP_2)
	v_lshrrev_b64 v[4:5], 21, v[4:5]
	v_cmp_gt_i32_e32 vcc_lo, 32, v17
	v_cmp_ne_u32_e64 s13, 0, v17
                                        ; implicit-def: $vgpr67
	s_delay_alu instid0(VALU_DEP_3) | instskip(NEXT) | instid1(VALU_DEP_1)
	v_dual_cndmask_b32 v5, 0, v5 :: v_dual_cndmask_b32 v4, 3, v4
	v_cmp_ne_u64_e32 vcc_lo, 0, v[4:5]
	s_or_b32 s13, s13, vcc_lo
	s_delay_alu instid0(SALU_CYCLE_1) | instskip(NEXT) | instid1(SALU_CYCLE_1)
	s_and_saveexec_b32 s75, s13
	s_xor_b32 s13, exec_lo, s75
; %bb.2652:                             ;   in Loop: Header=BB4_2226 Depth=4
	v_min_i32_e32 v2, 31, v17
	s_delay_alu instid0(VALU_DEP_1) | instskip(NEXT) | instid1(VALU_DEP_1)
	v_lshl_or_b32 v2, v2, 2, v15
                                        ; implicit-def: $vgpr15
	v_and_or_b32 v67, v4, 3, v2
; %bb.2653:                             ;   in Loop: Header=BB4_2226 Depth=4
	s_and_not1_saveexec_b32 s13, s13
; %bb.2654:                             ;   in Loop: Header=BB4_2226 Depth=4
	v_mov_b32_e32 v67, v15
; %bb.2655:                             ;   in Loop: Header=BB4_2226 Depth=4
	s_or_b32 exec_lo, exec_lo, s13
.LBB4_2656:                             ;   in Loop: Header=BB4_2226 Depth=4
	s_delay_alu instid0(SALU_CYCLE_1)
	s_or_b32 exec_lo, exec_lo, s74
                                        ; implicit-def: $vgpr15
.LBB4_2657:                             ;   in Loop: Header=BB4_2226 Depth=4
	s_and_not1_saveexec_b32 s13, s73
; %bb.2658:                             ;   in Loop: Header=BB4_2226 Depth=4
	v_or_b32_e32 v67, 0x7b, v15
; %bb.2659:                             ;   in Loop: Header=BB4_2226 Depth=4
	s_or_b32 exec_lo, exec_lo, s13
                                        ; implicit-def: $vgpr4
.LBB4_2660:                             ;   in Loop: Header=BB4_2226 Depth=4
	s_and_not1_saveexec_b32 s13, s72
	s_cbranch_execz .LBB4_2666
; %bb.2661:                             ;   in Loop: Header=BB4_2226 Depth=4
	s_mov_b32 s72, exec_lo
                                        ; implicit-def: $vgpr67
	v_cmpx_ne_u64_e32 0, v[2:3]
	s_xor_b32 s72, exec_lo, s72
; %bb.2662:                             ;   in Loop: Header=BB4_2226 Depth=4
	v_lshrrev_b32_e32 v2, 24, v4
                                        ; implicit-def: $vgpr4
	s_delay_alu instid0(VALU_DEP_1)
	v_or_b32_e32 v67, 0x7f, v2
; %bb.2663:                             ;   in Loop: Header=BB4_2226 Depth=4
	s_and_not1_saveexec_b32 s72, s72
; %bb.2664:                             ;   in Loop: Header=BB4_2226 Depth=4
	v_cmp_lt_i32_e32 vcc_lo, -1, v4
	v_cndmask_b32_e64 v67, -4, 0x7c, vcc_lo
; %bb.2665:                             ;   in Loop: Header=BB4_2226 Depth=4
	s_or_b32 exec_lo, exec_lo, s72
.LBB4_2666:                             ;   in Loop: Header=BB4_2226 Depth=4
	s_delay_alu instid0(SALU_CYCLE_1)
	s_or_b32 exec_lo, exec_lo, s13
	v_dual_mov_b32 v2, 0 :: v_dual_mov_b32 v4, 0
	s_mov_b32 s13, exec_lo
	v_cmpx_ne_u16_e32 0, v74
	s_cbranch_execz .LBB4_2676
; %bb.2667:                             ;   in Loop: Header=BB4_2226 Depth=4
	v_bfrev_b32_e32 v4, 1
	s_mov_b32 s72, exec_lo
	v_cmpx_ne_u16_e32 0xff80, v74
	s_cbranch_execz .LBB4_2675
; %bb.2668:                             ;   in Loop: Header=BB4_2226 Depth=4
	v_and_b32_e32 v4, 0x7c, v74
	v_and_b32_e32 v5, 3, v74
	s_delay_alu instid0(VALU_DEP_2) | instskip(SKIP_1) | instid1(SALU_CYCLE_1)
	v_cmp_ne_u32_e32 vcc_lo, 0x7c, v4
                                        ; implicit-def: $vgpr4
	s_and_saveexec_b32 s73, vcc_lo
	s_xor_b32 s73, exec_lo, s73
	s_cbranch_execz .LBB4_2672
; %bb.2669:                             ;   in Loop: Header=BB4_2226 Depth=4
	v_and_b32_e32 v4, 0xff, v74
	s_mov_b32 s74, exec_lo
	s_delay_alu instid0(VALU_DEP_1) | instskip(NEXT) | instid1(VALU_DEP_1)
	v_bfe_u32 v4, v4, 2, 5
	v_cmpx_eq_u32_e32 0, v4
	s_cbranch_execz .LBB4_2671
; %bb.2670:                             ;   in Loop: Header=BB4_2226 Depth=4
	v_clz_i32_u32_e32 v4, v5
	s_delay_alu instid0(VALU_DEP_1) | instskip(SKIP_1) | instid1(VALU_DEP_2)
	v_min_u32_e32 v4, 32, v4
	v_mov_b32_e32 v75, v3
	v_subrev_nc_u32_e32 v5, 29, v4
	v_sub_nc_u32_e32 v4, 30, v4
	s_delay_alu instid0(VALU_DEP_2) | instskip(NEXT) | instid1(VALU_DEP_1)
	v_lshlrev_b64_e32 v[24:25], v5, v[74:75]
	v_and_b32_e32 v5, 3, v24
.LBB4_2671:                             ;   in Loop: Header=BB4_2226 Depth=4
	s_or_b32 exec_lo, exec_lo, s74
	v_bfe_i32 v15, v74, 0, 16
                                        ; implicit-def: $vgpr74
	s_delay_alu instid0(VALU_DEP_1) | instskip(NEXT) | instid1(VALU_DEP_1)
	v_and_b32_e32 v15, 0x80000000, v15
	v_lshl_add_u32 v4, v4, 23, v15
	s_delay_alu instid0(VALU_DEP_1) | instskip(NEXT) | instid1(VALU_DEP_1)
	v_lshl_or_b32 v4, v5, 21, v4
                                        ; implicit-def: $vgpr5
	v_add_nc_u32_e32 v4, 0x38000000, v4
.LBB4_2672:                             ;   in Loop: Header=BB4_2226 Depth=4
	s_and_not1_saveexec_b32 s73, s73
; %bb.2673:                             ;   in Loop: Header=BB4_2226 Depth=4
	v_cmp_lt_i16_e32 vcc_lo, -1, v74
	v_cndmask_b32_e32 v4, 0xff800000, v112, vcc_lo
	v_cmp_eq_u32_e32 vcc_lo, 0, v5
	s_delay_alu instid0(VALU_DEP_2)
	v_cndmask_b32_e32 v4, 0x7f800001, v4, vcc_lo
; %bb.2674:                             ;   in Loop: Header=BB4_2226 Depth=4
	s_or_b32 exec_lo, exec_lo, s73
.LBB4_2675:                             ;   in Loop: Header=BB4_2226 Depth=4
	s_delay_alu instid0(SALU_CYCLE_1)
	s_or_b32 exec_lo, exec_lo, s72
.LBB4_2676:                             ;   in Loop: Header=BB4_2226 Depth=4
	s_delay_alu instid0(SALU_CYCLE_1) | instskip(NEXT) | instid1(SALU_CYCLE_1)
	s_or_b32 exec_lo, exec_lo, s13
	s_mov_b32 s13, exec_lo
	s_wait_loadcnt_dscnt 0x505
	v_cmpx_ne_u16_e32 0, v72
	s_cbranch_execz .LBB4_2686
; %bb.2677:                             ;   in Loop: Header=BB4_2226 Depth=4
	v_bfrev_b32_e32 v2, 1
	s_mov_b32 s72, exec_lo
	v_cmpx_ne_u16_e32 0xff80, v72
	s_cbranch_execz .LBB4_2685
; %bb.2678:                             ;   in Loop: Header=BB4_2226 Depth=4
	v_and_b32_e32 v2, 0x7c, v72
	v_and_b32_e32 v5, 3, v72
	s_delay_alu instid0(VALU_DEP_2) | instskip(SKIP_1) | instid1(SALU_CYCLE_1)
	v_cmp_ne_u32_e32 vcc_lo, 0x7c, v2
                                        ; implicit-def: $vgpr2
	s_and_saveexec_b32 s73, vcc_lo
	s_xor_b32 s73, exec_lo, s73
	s_cbranch_execz .LBB4_2682
; %bb.2679:                             ;   in Loop: Header=BB4_2226 Depth=4
	v_and_b32_e32 v2, 0xff, v72
	s_mov_b32 s74, exec_lo
	s_delay_alu instid0(VALU_DEP_1) | instskip(NEXT) | instid1(VALU_DEP_1)
	v_bfe_u32 v2, v2, 2, 5
	v_cmpx_eq_u32_e32 0, v2
	s_cbranch_execz .LBB4_2681
; %bb.2680:                             ;   in Loop: Header=BB4_2226 Depth=4
	v_clz_i32_u32_e32 v2, v5
	s_delay_alu instid0(VALU_DEP_1) | instskip(SKIP_1) | instid1(VALU_DEP_2)
	v_min_u32_e32 v2, 32, v2
	v_mov_b32_e32 v73, v3
	v_subrev_nc_u32_e32 v5, 29, v2
	v_sub_nc_u32_e32 v2, 30, v2
	s_delay_alu instid0(VALU_DEP_2) | instskip(NEXT) | instid1(VALU_DEP_1)
	v_lshlrev_b64_e32 v[24:25], v5, v[72:73]
	v_and_b32_e32 v5, 3, v24
.LBB4_2681:                             ;   in Loop: Header=BB4_2226 Depth=4
	s_or_b32 exec_lo, exec_lo, s74
	v_bfe_i32 v15, v72, 0, 16
                                        ; implicit-def: $vgpr72
	s_delay_alu instid0(VALU_DEP_1) | instskip(NEXT) | instid1(VALU_DEP_1)
	v_and_b32_e32 v15, 0x80000000, v15
	v_lshl_add_u32 v2, v2, 23, v15
	s_delay_alu instid0(VALU_DEP_1) | instskip(NEXT) | instid1(VALU_DEP_1)
	v_lshl_or_b32 v2, v5, 21, v2
                                        ; implicit-def: $vgpr5
	v_add_nc_u32_e32 v2, 0x38000000, v2
.LBB4_2682:                             ;   in Loop: Header=BB4_2226 Depth=4
	s_and_not1_saveexec_b32 s73, s73
; %bb.2683:                             ;   in Loop: Header=BB4_2226 Depth=4
	v_cmp_lt_i16_e32 vcc_lo, -1, v72
	v_cndmask_b32_e32 v2, 0xff800000, v112, vcc_lo
	v_cmp_eq_u32_e32 vcc_lo, 0, v5
	s_delay_alu instid0(VALU_DEP_2)
	v_cndmask_b32_e32 v2, 0x7f800001, v2, vcc_lo
; %bb.2684:                             ;   in Loop: Header=BB4_2226 Depth=4
	s_or_b32 exec_lo, exec_lo, s73
.LBB4_2685:                             ;   in Loop: Header=BB4_2226 Depth=4
	s_delay_alu instid0(SALU_CYCLE_1)
	s_or_b32 exec_lo, exec_lo, s72
.LBB4_2686:                             ;   in Loop: Header=BB4_2226 Depth=4
	s_delay_alu instid0(SALU_CYCLE_1) | instskip(NEXT) | instid1(VALU_DEP_1)
	s_or_b32 exec_lo, exec_lo, s13
	v_dual_mul_f32 v4, v4, v2 :: v_dual_mov_b32 v25, v3
                                        ; implicit-def: $vgpr84
	s_mov_b32 s13, exec_lo
	s_delay_alu instid0(VALU_DEP_1) | instskip(SKIP_1) | instid1(VALU_DEP_2)
	v_and_b32_e32 v24, 0x7f800000, v4
	v_and_b32_e32 v2, 0x7fffff, v4
	v_cmpx_ne_u64_e32 0x7f800000, v[24:25]
	s_xor_b32 s72, exec_lo, s13
	s_cbranch_execz .LBB4_2704
; %bb.2687:                             ;   in Loop: Header=BB4_2226 Depth=4
	v_dual_mov_b32 v25, v3 :: v_dual_lshrrev_b32 v5, 24, v4
	v_and_b32_e32 v24, 0x7fffffff, v4
                                        ; implicit-def: $vgpr84
	s_mov_b32 s13, exec_lo
	s_delay_alu instid0(VALU_DEP_2) | instskip(NEXT) | instid1(VALU_DEP_2)
	v_and_b32_e32 v15, 0x80, v5
	v_cmpx_gt_u64_e32 0x47600001, v[24:25]
	s_xor_b32 s73, exec_lo, s13
	s_cbranch_execz .LBB4_2701
; %bb.2688:                             ;   in Loop: Header=BB4_2226 Depth=4
	v_mov_b32_e32 v84, 0
	s_mov_b32 s74, exec_lo
	v_cmpx_ne_u32_e32 0, v4
	s_cbranch_execz .LBB4_2700
; %bb.2689:                             ;   in Loop: Header=BB4_2226 Depth=4
	v_bfe_u32 v17, v4, 23, 8
	v_or_b32_e32 v21, 0x800000, v2
	s_delay_alu instid0(VALU_DEP_2) | instskip(SKIP_1) | instid1(VALU_DEP_2)
	v_sub_nc_u32_e32 v4, 0x71, v17
	v_cmp_gt_u32_e32 vcc_lo, 0x72, v17
	v_cndmask_b32_e32 v4, 0, v4, vcc_lo
	v_cmp_eq_u32_e32 vcc_lo, 0, v17
	s_delay_alu instid0(VALU_DEP_2) | instskip(NEXT) | instid1(VALU_DEP_1)
	v_cndmask_b32_e64 v19, v4, 0x70, vcc_lo
	v_dual_cndmask_b32 v2, v21, v2, vcc_lo :: v_dual_add_nc_u32 v4, 21, v19
	v_add_nc_u32_e32 v23, 20, v19
	s_delay_alu instid0(VALU_DEP_2) | instskip(NEXT) | instid1(VALU_DEP_2)
	v_lshlrev_b64_e64 v[4:5], v4, -1
	v_lshlrev_b64_e64 v[24:25], v23, 1
	s_delay_alu instid0(VALU_DEP_2) | instskip(NEXT) | instid1(VALU_DEP_3)
	v_bfi_b32 v85, v5, 0, 0
	v_bfi_b32 v84, v4, 0, v2
	v_lshrrev_b64 v[4:5], v19, v[2:3]
	s_delay_alu instid0(VALU_DEP_2) | instskip(NEXT) | instid1(VALU_DEP_2)
	v_cmp_eq_u64_e64 s13, v[84:85], v[24:25]
	v_mov_b64_e32 v[24:25], v[4:5]
	s_and_saveexec_b32 s75, s13
; %bb.2690:                             ;   in Loop: Header=BB4_2226 Depth=4
	v_bfe_u32 v2, v4, 21, 1
	s_delay_alu instid0(VALU_DEP_1) | instskip(NEXT) | instid1(VALU_DEP_1)
	v_add_nc_u64_e32 v[24:25], v[4:5], v[2:3]
	v_add_nc_u64_e32 v[24:25], -1, v[24:25]
; %bb.2691:                             ;   in Loop: Header=BB4_2226 Depth=4
	s_or_b32 exec_lo, exec_lo, s75
	v_add_nc_u32_e32 v2, 0xffffff81, v17
	v_lshrrev_b32_e32 v5, 23, v4
	s_mov_b32 s13, exec_lo
                                        ; implicit-def: $vgpr17
	s_delay_alu instid0(VALU_DEP_2) | instskip(NEXT) | instid1(VALU_DEP_1)
	v_cndmask_b32_e64 v2, v2, 0xffffff82, vcc_lo
	v_add3_u32 v19, v19, v2, v5
	v_and_b32_e32 v2, 0x1fffff, v24
	s_delay_alu instid0(VALU_DEP_1) | instskip(NEXT) | instid1(VALU_DEP_1)
	v_dual_add_nc_u32 v21, 14, v19 :: v_dual_add_nc_u32 v2, v2, v4
                                        ; implicit-def: $vgpr4_vgpr5
	v_cmpx_ne_u32_e32 0, v21
	s_xor_b32 s13, exec_lo, s13
; %bb.2692:                             ;   in Loop: Header=BB4_2226 Depth=4
	s_delay_alu instid0(VALU_DEP_2) | instskip(SKIP_1) | instid1(VALU_DEP_1)
	v_cmp_lt_u64_e32 vcc_lo, 0xffffff, v[2:3]
	v_add_nc_u32_e32 v4, 15, v19
	v_cndmask_b32_e32 v17, v21, v4, vcc_lo
	v_cndmask_b32_e64 v4, 0, 1, vcc_lo
	s_delay_alu instid0(VALU_DEP_1)
	v_lshrrev_b64 v[4:5], v4, v[2:3]
; %bb.2693:                             ;   in Loop: Header=BB4_2226 Depth=4
	s_and_not1_saveexec_b32 s13, s13
; %bb.2694:                             ;   in Loop: Header=BB4_2226 Depth=4
	v_mov_b64_e32 v[4:5], v[2:3]
	v_bfe_u32 v17, v2, 23, 1
; %bb.2695:                             ;   in Loop: Header=BB4_2226 Depth=4
	s_or_b32 exec_lo, exec_lo, s13
	s_delay_alu instid0(VALU_DEP_2) | instskip(NEXT) | instid1(VALU_DEP_2)
	v_lshrrev_b64 v[4:5], 21, v[4:5]
	v_cmp_gt_i32_e32 vcc_lo, 32, v17
	v_cmp_ne_u32_e64 s13, 0, v17
                                        ; implicit-def: $vgpr84
	s_delay_alu instid0(VALU_DEP_3) | instskip(NEXT) | instid1(VALU_DEP_1)
	v_dual_cndmask_b32 v5, 0, v5 :: v_dual_cndmask_b32 v4, 3, v4
	v_cmp_ne_u64_e32 vcc_lo, 0, v[4:5]
	s_or_b32 s13, s13, vcc_lo
	s_delay_alu instid0(SALU_CYCLE_1) | instskip(NEXT) | instid1(SALU_CYCLE_1)
	s_and_saveexec_b32 s75, s13
	s_xor_b32 s13, exec_lo, s75
; %bb.2696:                             ;   in Loop: Header=BB4_2226 Depth=4
	v_min_i32_e32 v2, 31, v17
	s_delay_alu instid0(VALU_DEP_1) | instskip(NEXT) | instid1(VALU_DEP_1)
	v_lshl_or_b32 v2, v2, 2, v15
                                        ; implicit-def: $vgpr15
	v_and_or_b32 v84, v4, 3, v2
; %bb.2697:                             ;   in Loop: Header=BB4_2226 Depth=4
	s_and_not1_saveexec_b32 s13, s13
; %bb.2698:                             ;   in Loop: Header=BB4_2226 Depth=4
	v_mov_b32_e32 v84, v15
; %bb.2699:                             ;   in Loop: Header=BB4_2226 Depth=4
	s_or_b32 exec_lo, exec_lo, s13
.LBB4_2700:                             ;   in Loop: Header=BB4_2226 Depth=4
	s_delay_alu instid0(SALU_CYCLE_1)
	s_or_b32 exec_lo, exec_lo, s74
                                        ; implicit-def: $vgpr15
.LBB4_2701:                             ;   in Loop: Header=BB4_2226 Depth=4
	s_and_not1_saveexec_b32 s13, s73
; %bb.2702:                             ;   in Loop: Header=BB4_2226 Depth=4
	v_or_b32_e32 v84, 0x7b, v15
; %bb.2703:                             ;   in Loop: Header=BB4_2226 Depth=4
	s_or_b32 exec_lo, exec_lo, s13
                                        ; implicit-def: $vgpr4
.LBB4_2704:                             ;   in Loop: Header=BB4_2226 Depth=4
	s_and_not1_saveexec_b32 s13, s72
	s_cbranch_execz .LBB4_2710
; %bb.2705:                             ;   in Loop: Header=BB4_2226 Depth=4
	s_mov_b32 s72, exec_lo
                                        ; implicit-def: $vgpr84
	v_cmpx_ne_u64_e32 0, v[2:3]
	s_xor_b32 s72, exec_lo, s72
; %bb.2706:                             ;   in Loop: Header=BB4_2226 Depth=4
	v_lshrrev_b32_e32 v2, 24, v4
                                        ; implicit-def: $vgpr4
	s_delay_alu instid0(VALU_DEP_1)
	v_or_b32_e32 v84, 0x7f, v2
; %bb.2707:                             ;   in Loop: Header=BB4_2226 Depth=4
	s_and_not1_saveexec_b32 s72, s72
; %bb.2708:                             ;   in Loop: Header=BB4_2226 Depth=4
	v_cmp_lt_i32_e32 vcc_lo, -1, v4
	v_cndmask_b32_e64 v84, -4, 0x7c, vcc_lo
; %bb.2709:                             ;   in Loop: Header=BB4_2226 Depth=4
	s_or_b32 exec_lo, exec_lo, s72
.LBB4_2710:                             ;   in Loop: Header=BB4_2226 Depth=4
	s_delay_alu instid0(SALU_CYCLE_1)
	s_or_b32 exec_lo, exec_lo, s13
	v_dual_mov_b32 v2, 0 :: v_dual_mov_b32 v4, 0
	s_mov_b32 s13, exec_lo
	v_cmpx_ne_u16_e32 0, v62
	s_cbranch_execz .LBB4_2720
; %bb.2711:                             ;   in Loop: Header=BB4_2226 Depth=4
	v_bfrev_b32_e32 v4, 1
	s_mov_b32 s72, exec_lo
	v_cmpx_ne_u16_e32 0xff80, v62
	s_cbranch_execz .LBB4_2719
; %bb.2712:                             ;   in Loop: Header=BB4_2226 Depth=4
	v_and_b32_e32 v4, 0x7c, v62
	v_and_b32_e32 v5, 3, v62
	s_delay_alu instid0(VALU_DEP_2) | instskip(SKIP_1) | instid1(SALU_CYCLE_1)
	v_cmp_ne_u32_e32 vcc_lo, 0x7c, v4
                                        ; implicit-def: $vgpr4
	s_and_saveexec_b32 s73, vcc_lo
	s_xor_b32 s73, exec_lo, s73
	s_cbranch_execz .LBB4_2716
; %bb.2713:                             ;   in Loop: Header=BB4_2226 Depth=4
	v_and_b32_e32 v4, 0xff, v62
	s_mov_b32 s74, exec_lo
	s_delay_alu instid0(VALU_DEP_1) | instskip(NEXT) | instid1(VALU_DEP_1)
	v_bfe_u32 v4, v4, 2, 5
	v_cmpx_eq_u32_e32 0, v4
	s_cbranch_execz .LBB4_2715
; %bb.2714:                             ;   in Loop: Header=BB4_2226 Depth=4
	v_clz_i32_u32_e32 v4, v5
	s_delay_alu instid0(VALU_DEP_1) | instskip(SKIP_1) | instid1(VALU_DEP_2)
	v_min_u32_e32 v4, 32, v4
	v_mov_b32_e32 v63, v3
	v_subrev_nc_u32_e32 v5, 29, v4
	v_sub_nc_u32_e32 v4, 30, v4
	s_delay_alu instid0(VALU_DEP_2) | instskip(NEXT) | instid1(VALU_DEP_1)
	v_lshlrev_b64_e32 v[24:25], v5, v[62:63]
	v_and_b32_e32 v5, 3, v24
.LBB4_2715:                             ;   in Loop: Header=BB4_2226 Depth=4
	s_or_b32 exec_lo, exec_lo, s74
	v_bfe_i32 v15, v62, 0, 16
                                        ; implicit-def: $vgpr62
	s_delay_alu instid0(VALU_DEP_1) | instskip(NEXT) | instid1(VALU_DEP_1)
	v_and_b32_e32 v15, 0x80000000, v15
	v_lshl_add_u32 v4, v4, 23, v15
	s_delay_alu instid0(VALU_DEP_1) | instskip(NEXT) | instid1(VALU_DEP_1)
	v_lshl_or_b32 v4, v5, 21, v4
                                        ; implicit-def: $vgpr5
	v_add_nc_u32_e32 v4, 0x38000000, v4
.LBB4_2716:                             ;   in Loop: Header=BB4_2226 Depth=4
	s_and_not1_saveexec_b32 s73, s73
; %bb.2717:                             ;   in Loop: Header=BB4_2226 Depth=4
	v_cmp_lt_i16_e32 vcc_lo, -1, v62
	v_cndmask_b32_e32 v4, 0xff800000, v112, vcc_lo
	v_cmp_eq_u32_e32 vcc_lo, 0, v5
	s_delay_alu instid0(VALU_DEP_2)
	v_cndmask_b32_e32 v4, 0x7f800001, v4, vcc_lo
; %bb.2718:                             ;   in Loop: Header=BB4_2226 Depth=4
	s_or_b32 exec_lo, exec_lo, s73
.LBB4_2719:                             ;   in Loop: Header=BB4_2226 Depth=4
	s_delay_alu instid0(SALU_CYCLE_1)
	s_or_b32 exec_lo, exec_lo, s72
.LBB4_2720:                             ;   in Loop: Header=BB4_2226 Depth=4
	s_delay_alu instid0(SALU_CYCLE_1) | instskip(NEXT) | instid1(SALU_CYCLE_1)
	s_or_b32 exec_lo, exec_lo, s13
	s_mov_b32 s13, exec_lo
	s_wait_loadcnt_dscnt 0x404
	v_cmpx_ne_u16_e32 0, v60
	s_cbranch_execz .LBB4_2730
; %bb.2721:                             ;   in Loop: Header=BB4_2226 Depth=4
	v_bfrev_b32_e32 v2, 1
	s_mov_b32 s72, exec_lo
	v_cmpx_ne_u16_e32 0xff80, v60
	s_cbranch_execz .LBB4_2729
; %bb.2722:                             ;   in Loop: Header=BB4_2226 Depth=4
	v_and_b32_e32 v2, 0x7c, v60
	v_and_b32_e32 v5, 3, v60
	s_delay_alu instid0(VALU_DEP_2) | instskip(SKIP_1) | instid1(SALU_CYCLE_1)
	v_cmp_ne_u32_e32 vcc_lo, 0x7c, v2
                                        ; implicit-def: $vgpr2
	s_and_saveexec_b32 s73, vcc_lo
	s_xor_b32 s73, exec_lo, s73
	s_cbranch_execz .LBB4_2726
; %bb.2723:                             ;   in Loop: Header=BB4_2226 Depth=4
	v_and_b32_e32 v2, 0xff, v60
	s_mov_b32 s74, exec_lo
	s_delay_alu instid0(VALU_DEP_1) | instskip(NEXT) | instid1(VALU_DEP_1)
	v_bfe_u32 v2, v2, 2, 5
	v_cmpx_eq_u32_e32 0, v2
	s_cbranch_execz .LBB4_2725
; %bb.2724:                             ;   in Loop: Header=BB4_2226 Depth=4
	v_clz_i32_u32_e32 v2, v5
	s_delay_alu instid0(VALU_DEP_1) | instskip(SKIP_1) | instid1(VALU_DEP_2)
	v_min_u32_e32 v2, 32, v2
	v_mov_b32_e32 v61, v3
	v_subrev_nc_u32_e32 v5, 29, v2
	v_sub_nc_u32_e32 v2, 30, v2
	s_delay_alu instid0(VALU_DEP_2) | instskip(NEXT) | instid1(VALU_DEP_1)
	v_lshlrev_b64_e32 v[24:25], v5, v[60:61]
	v_and_b32_e32 v5, 3, v24
.LBB4_2725:                             ;   in Loop: Header=BB4_2226 Depth=4
	s_or_b32 exec_lo, exec_lo, s74
	v_bfe_i32 v15, v60, 0, 16
                                        ; implicit-def: $vgpr60
	s_delay_alu instid0(VALU_DEP_1) | instskip(NEXT) | instid1(VALU_DEP_1)
	v_and_b32_e32 v15, 0x80000000, v15
	v_lshl_add_u32 v2, v2, 23, v15
	s_delay_alu instid0(VALU_DEP_1) | instskip(NEXT) | instid1(VALU_DEP_1)
	v_lshl_or_b32 v2, v5, 21, v2
                                        ; implicit-def: $vgpr5
	v_add_nc_u32_e32 v2, 0x38000000, v2
.LBB4_2726:                             ;   in Loop: Header=BB4_2226 Depth=4
	s_and_not1_saveexec_b32 s73, s73
; %bb.2727:                             ;   in Loop: Header=BB4_2226 Depth=4
	v_cmp_lt_i16_e32 vcc_lo, -1, v60
	v_cndmask_b32_e32 v2, 0xff800000, v112, vcc_lo
	v_cmp_eq_u32_e32 vcc_lo, 0, v5
	s_delay_alu instid0(VALU_DEP_2)
	v_cndmask_b32_e32 v2, 0x7f800001, v2, vcc_lo
; %bb.2728:                             ;   in Loop: Header=BB4_2226 Depth=4
	s_or_b32 exec_lo, exec_lo, s73
.LBB4_2729:                             ;   in Loop: Header=BB4_2226 Depth=4
	s_delay_alu instid0(SALU_CYCLE_1)
	s_or_b32 exec_lo, exec_lo, s72
.LBB4_2730:                             ;   in Loop: Header=BB4_2226 Depth=4
	s_delay_alu instid0(SALU_CYCLE_1) | instskip(NEXT) | instid1(VALU_DEP_1)
	s_or_b32 exec_lo, exec_lo, s13
	v_dual_mul_f32 v4, v4, v2 :: v_dual_mov_b32 v25, v3
                                        ; implicit-def: $vgpr85
	s_mov_b32 s13, exec_lo
	s_delay_alu instid0(VALU_DEP_1) | instskip(SKIP_1) | instid1(VALU_DEP_2)
	v_and_b32_e32 v24, 0x7f800000, v4
	v_and_b32_e32 v2, 0x7fffff, v4
	v_cmpx_ne_u64_e32 0x7f800000, v[24:25]
	s_xor_b32 s72, exec_lo, s13
	s_cbranch_execz .LBB4_2748
; %bb.2731:                             ;   in Loop: Header=BB4_2226 Depth=4
	v_dual_mov_b32 v25, v3 :: v_dual_lshrrev_b32 v5, 24, v4
	v_and_b32_e32 v24, 0x7fffffff, v4
                                        ; implicit-def: $vgpr85
	s_mov_b32 s13, exec_lo
	s_delay_alu instid0(VALU_DEP_2) | instskip(NEXT) | instid1(VALU_DEP_2)
	v_and_b32_e32 v15, 0x80, v5
	v_cmpx_gt_u64_e32 0x47600001, v[24:25]
	s_xor_b32 s73, exec_lo, s13
	s_cbranch_execz .LBB4_2745
; %bb.2732:                             ;   in Loop: Header=BB4_2226 Depth=4
	v_mov_b32_e32 v85, 0
	s_mov_b32 s74, exec_lo
	v_cmpx_ne_u32_e32 0, v4
	s_cbranch_execz .LBB4_2744
; %bb.2733:                             ;   in Loop: Header=BB4_2226 Depth=4
	v_bfe_u32 v17, v4, 23, 8
	v_or_b32_e32 v21, 0x800000, v2
	s_delay_alu instid0(VALU_DEP_2) | instskip(SKIP_1) | instid1(VALU_DEP_2)
	v_sub_nc_u32_e32 v4, 0x71, v17
	v_cmp_gt_u32_e32 vcc_lo, 0x72, v17
	v_cndmask_b32_e32 v4, 0, v4, vcc_lo
	v_cmp_eq_u32_e32 vcc_lo, 0, v17
	s_delay_alu instid0(VALU_DEP_2) | instskip(NEXT) | instid1(VALU_DEP_1)
	v_cndmask_b32_e64 v19, v4, 0x70, vcc_lo
	v_dual_cndmask_b32 v2, v21, v2, vcc_lo :: v_dual_add_nc_u32 v4, 21, v19
	v_add_nc_u32_e32 v23, 20, v19
	s_delay_alu instid0(VALU_DEP_2) | instskip(NEXT) | instid1(VALU_DEP_2)
	v_lshlrev_b64_e64 v[4:5], v4, -1
	v_lshlrev_b64_e64 v[24:25], v23, 1
	s_delay_alu instid0(VALU_DEP_2) | instskip(NEXT) | instid1(VALU_DEP_3)
	v_bfi_b32 v61, v5, 0, 0
	v_bfi_b32 v60, v4, 0, v2
	v_lshrrev_b64 v[4:5], v19, v[2:3]
	s_delay_alu instid0(VALU_DEP_2) | instskip(NEXT) | instid1(VALU_DEP_2)
	v_cmp_eq_u64_e64 s13, v[60:61], v[24:25]
	v_mov_b64_e32 v[24:25], v[4:5]
	s_and_saveexec_b32 s75, s13
; %bb.2734:                             ;   in Loop: Header=BB4_2226 Depth=4
	v_bfe_u32 v2, v4, 21, 1
	s_delay_alu instid0(VALU_DEP_1) | instskip(NEXT) | instid1(VALU_DEP_1)
	v_add_nc_u64_e32 v[24:25], v[4:5], v[2:3]
	v_add_nc_u64_e32 v[24:25], -1, v[24:25]
; %bb.2735:                             ;   in Loop: Header=BB4_2226 Depth=4
	s_or_b32 exec_lo, exec_lo, s75
	v_add_nc_u32_e32 v2, 0xffffff81, v17
	v_lshrrev_b32_e32 v5, 23, v4
	s_mov_b32 s13, exec_lo
                                        ; implicit-def: $vgpr17
	s_delay_alu instid0(VALU_DEP_2) | instskip(NEXT) | instid1(VALU_DEP_1)
	v_cndmask_b32_e64 v2, v2, 0xffffff82, vcc_lo
	v_add3_u32 v19, v19, v2, v5
	v_and_b32_e32 v2, 0x1fffff, v24
	s_delay_alu instid0(VALU_DEP_1) | instskip(NEXT) | instid1(VALU_DEP_1)
	v_dual_add_nc_u32 v21, 14, v19 :: v_dual_add_nc_u32 v2, v2, v4
                                        ; implicit-def: $vgpr4_vgpr5
	v_cmpx_ne_u32_e32 0, v21
	s_xor_b32 s13, exec_lo, s13
; %bb.2736:                             ;   in Loop: Header=BB4_2226 Depth=4
	s_delay_alu instid0(VALU_DEP_2) | instskip(SKIP_1) | instid1(VALU_DEP_1)
	v_cmp_lt_u64_e32 vcc_lo, 0xffffff, v[2:3]
	v_add_nc_u32_e32 v4, 15, v19
	v_cndmask_b32_e32 v17, v21, v4, vcc_lo
	v_cndmask_b32_e64 v4, 0, 1, vcc_lo
	s_delay_alu instid0(VALU_DEP_1)
	v_lshrrev_b64 v[4:5], v4, v[2:3]
; %bb.2737:                             ;   in Loop: Header=BB4_2226 Depth=4
	s_and_not1_saveexec_b32 s13, s13
; %bb.2738:                             ;   in Loop: Header=BB4_2226 Depth=4
	v_mov_b64_e32 v[4:5], v[2:3]
	v_bfe_u32 v17, v2, 23, 1
; %bb.2739:                             ;   in Loop: Header=BB4_2226 Depth=4
	s_or_b32 exec_lo, exec_lo, s13
	s_delay_alu instid0(VALU_DEP_2) | instskip(NEXT) | instid1(VALU_DEP_2)
	v_lshrrev_b64 v[4:5], 21, v[4:5]
	v_cmp_gt_i32_e32 vcc_lo, 32, v17
	v_cmp_ne_u32_e64 s13, 0, v17
                                        ; implicit-def: $vgpr85
	s_delay_alu instid0(VALU_DEP_3) | instskip(NEXT) | instid1(VALU_DEP_1)
	v_dual_cndmask_b32 v5, 0, v5 :: v_dual_cndmask_b32 v4, 3, v4
	v_cmp_ne_u64_e32 vcc_lo, 0, v[4:5]
	s_or_b32 s13, s13, vcc_lo
	s_delay_alu instid0(SALU_CYCLE_1) | instskip(NEXT) | instid1(SALU_CYCLE_1)
	s_and_saveexec_b32 s75, s13
	s_xor_b32 s13, exec_lo, s75
; %bb.2740:                             ;   in Loop: Header=BB4_2226 Depth=4
	v_min_i32_e32 v2, 31, v17
	s_delay_alu instid0(VALU_DEP_1) | instskip(NEXT) | instid1(VALU_DEP_1)
	v_lshl_or_b32 v2, v2, 2, v15
                                        ; implicit-def: $vgpr15
	v_and_or_b32 v85, v4, 3, v2
; %bb.2741:                             ;   in Loop: Header=BB4_2226 Depth=4
	s_and_not1_saveexec_b32 s13, s13
; %bb.2742:                             ;   in Loop: Header=BB4_2226 Depth=4
	v_mov_b32_e32 v85, v15
; %bb.2743:                             ;   in Loop: Header=BB4_2226 Depth=4
	s_or_b32 exec_lo, exec_lo, s13
.LBB4_2744:                             ;   in Loop: Header=BB4_2226 Depth=4
	s_delay_alu instid0(SALU_CYCLE_1)
	s_or_b32 exec_lo, exec_lo, s74
                                        ; implicit-def: $vgpr15
.LBB4_2745:                             ;   in Loop: Header=BB4_2226 Depth=4
	s_and_not1_saveexec_b32 s13, s73
; %bb.2746:                             ;   in Loop: Header=BB4_2226 Depth=4
	v_or_b32_e32 v85, 0x7b, v15
; %bb.2747:                             ;   in Loop: Header=BB4_2226 Depth=4
	s_or_b32 exec_lo, exec_lo, s13
                                        ; implicit-def: $vgpr4
.LBB4_2748:                             ;   in Loop: Header=BB4_2226 Depth=4
	s_and_not1_saveexec_b32 s13, s72
	s_cbranch_execz .LBB4_2754
; %bb.2749:                             ;   in Loop: Header=BB4_2226 Depth=4
	s_mov_b32 s72, exec_lo
                                        ; implicit-def: $vgpr85
	v_cmpx_ne_u64_e32 0, v[2:3]
	s_xor_b32 s72, exec_lo, s72
; %bb.2750:                             ;   in Loop: Header=BB4_2226 Depth=4
	v_lshrrev_b32_e32 v2, 24, v4
                                        ; implicit-def: $vgpr4
	s_delay_alu instid0(VALU_DEP_1)
	v_or_b32_e32 v85, 0x7f, v2
; %bb.2751:                             ;   in Loop: Header=BB4_2226 Depth=4
	s_and_not1_saveexec_b32 s72, s72
; %bb.2752:                             ;   in Loop: Header=BB4_2226 Depth=4
	v_cmp_lt_i32_e32 vcc_lo, -1, v4
	v_cndmask_b32_e64 v85, -4, 0x7c, vcc_lo
; %bb.2753:                             ;   in Loop: Header=BB4_2226 Depth=4
	s_or_b32 exec_lo, exec_lo, s72
.LBB4_2754:                             ;   in Loop: Header=BB4_2226 Depth=4
	s_delay_alu instid0(SALU_CYCLE_1)
	s_or_b32 exec_lo, exec_lo, s13
	v_dual_mov_b32 v2, 0 :: v_dual_mov_b32 v4, 0
	s_mov_b32 s13, exec_lo
	v_cmpx_ne_u16_e32 0, v58
	s_cbranch_execz .LBB4_2764
; %bb.2755:                             ;   in Loop: Header=BB4_2226 Depth=4
	v_bfrev_b32_e32 v4, 1
	s_mov_b32 s72, exec_lo
	v_cmpx_ne_u16_e32 0xff80, v58
	s_cbranch_execz .LBB4_2763
; %bb.2756:                             ;   in Loop: Header=BB4_2226 Depth=4
	v_and_b32_e32 v4, 0x7c, v58
	v_and_b32_e32 v5, 3, v58
	s_delay_alu instid0(VALU_DEP_2) | instskip(SKIP_1) | instid1(SALU_CYCLE_1)
	v_cmp_ne_u32_e32 vcc_lo, 0x7c, v4
                                        ; implicit-def: $vgpr4
	s_and_saveexec_b32 s73, vcc_lo
	s_xor_b32 s73, exec_lo, s73
	s_cbranch_execz .LBB4_2760
; %bb.2757:                             ;   in Loop: Header=BB4_2226 Depth=4
	v_and_b32_e32 v4, 0xff, v58
	s_mov_b32 s74, exec_lo
	s_delay_alu instid0(VALU_DEP_1) | instskip(NEXT) | instid1(VALU_DEP_1)
	v_bfe_u32 v4, v4, 2, 5
	v_cmpx_eq_u32_e32 0, v4
	s_cbranch_execz .LBB4_2759
; %bb.2758:                             ;   in Loop: Header=BB4_2226 Depth=4
	v_clz_i32_u32_e32 v4, v5
	s_delay_alu instid0(VALU_DEP_1) | instskip(SKIP_1) | instid1(VALU_DEP_2)
	v_min_u32_e32 v4, 32, v4
	v_mov_b32_e32 v59, v3
	v_subrev_nc_u32_e32 v5, 29, v4
	v_sub_nc_u32_e32 v4, 30, v4
	s_delay_alu instid0(VALU_DEP_2) | instskip(NEXT) | instid1(VALU_DEP_1)
	v_lshlrev_b64_e32 v[24:25], v5, v[58:59]
	v_and_b32_e32 v5, 3, v24
.LBB4_2759:                             ;   in Loop: Header=BB4_2226 Depth=4
	s_or_b32 exec_lo, exec_lo, s74
	v_bfe_i32 v15, v58, 0, 16
                                        ; implicit-def: $vgpr58
	s_delay_alu instid0(VALU_DEP_1) | instskip(NEXT) | instid1(VALU_DEP_1)
	v_and_b32_e32 v15, 0x80000000, v15
	v_lshl_add_u32 v4, v4, 23, v15
	s_delay_alu instid0(VALU_DEP_1) | instskip(NEXT) | instid1(VALU_DEP_1)
	v_lshl_or_b32 v4, v5, 21, v4
                                        ; implicit-def: $vgpr5
	v_add_nc_u32_e32 v4, 0x38000000, v4
.LBB4_2760:                             ;   in Loop: Header=BB4_2226 Depth=4
	s_and_not1_saveexec_b32 s73, s73
; %bb.2761:                             ;   in Loop: Header=BB4_2226 Depth=4
	v_cmp_lt_i16_e32 vcc_lo, -1, v58
	v_cndmask_b32_e32 v4, 0xff800000, v112, vcc_lo
	v_cmp_eq_u32_e32 vcc_lo, 0, v5
	s_delay_alu instid0(VALU_DEP_2)
	v_cndmask_b32_e32 v4, 0x7f800001, v4, vcc_lo
; %bb.2762:                             ;   in Loop: Header=BB4_2226 Depth=4
	s_or_b32 exec_lo, exec_lo, s73
.LBB4_2763:                             ;   in Loop: Header=BB4_2226 Depth=4
	s_delay_alu instid0(SALU_CYCLE_1)
	s_or_b32 exec_lo, exec_lo, s72
.LBB4_2764:                             ;   in Loop: Header=BB4_2226 Depth=4
	s_delay_alu instid0(SALU_CYCLE_1) | instskip(NEXT) | instid1(SALU_CYCLE_1)
	s_or_b32 exec_lo, exec_lo, s13
	s_mov_b32 s13, exec_lo
	s_wait_loadcnt_dscnt 0x303
	v_cmpx_ne_u16_e32 0, v56
	s_cbranch_execz .LBB4_2774
; %bb.2765:                             ;   in Loop: Header=BB4_2226 Depth=4
	v_bfrev_b32_e32 v2, 1
	s_mov_b32 s72, exec_lo
	v_cmpx_ne_u16_e32 0xff80, v56
	s_cbranch_execz .LBB4_2773
; %bb.2766:                             ;   in Loop: Header=BB4_2226 Depth=4
	v_and_b32_e32 v2, 0x7c, v56
	v_and_b32_e32 v5, 3, v56
	s_delay_alu instid0(VALU_DEP_2) | instskip(SKIP_1) | instid1(SALU_CYCLE_1)
	v_cmp_ne_u32_e32 vcc_lo, 0x7c, v2
                                        ; implicit-def: $vgpr2
	s_and_saveexec_b32 s73, vcc_lo
	s_xor_b32 s73, exec_lo, s73
	s_cbranch_execz .LBB4_2770
; %bb.2767:                             ;   in Loop: Header=BB4_2226 Depth=4
	v_and_b32_e32 v2, 0xff, v56
	s_mov_b32 s74, exec_lo
	s_delay_alu instid0(VALU_DEP_1) | instskip(NEXT) | instid1(VALU_DEP_1)
	v_bfe_u32 v2, v2, 2, 5
	v_cmpx_eq_u32_e32 0, v2
	s_cbranch_execz .LBB4_2769
; %bb.2768:                             ;   in Loop: Header=BB4_2226 Depth=4
	v_clz_i32_u32_e32 v2, v5
	s_delay_alu instid0(VALU_DEP_1) | instskip(SKIP_1) | instid1(VALU_DEP_2)
	v_min_u32_e32 v2, 32, v2
	v_mov_b32_e32 v57, v3
	v_subrev_nc_u32_e32 v5, 29, v2
	v_sub_nc_u32_e32 v2, 30, v2
	s_delay_alu instid0(VALU_DEP_2) | instskip(NEXT) | instid1(VALU_DEP_1)
	v_lshlrev_b64_e32 v[24:25], v5, v[56:57]
	v_and_b32_e32 v5, 3, v24
.LBB4_2769:                             ;   in Loop: Header=BB4_2226 Depth=4
	s_or_b32 exec_lo, exec_lo, s74
	v_bfe_i32 v15, v56, 0, 16
                                        ; implicit-def: $vgpr56
	s_delay_alu instid0(VALU_DEP_1) | instskip(NEXT) | instid1(VALU_DEP_1)
	v_and_b32_e32 v15, 0x80000000, v15
	v_lshl_add_u32 v2, v2, 23, v15
	s_delay_alu instid0(VALU_DEP_1) | instskip(NEXT) | instid1(VALU_DEP_1)
	v_lshl_or_b32 v2, v5, 21, v2
                                        ; implicit-def: $vgpr5
	v_add_nc_u32_e32 v2, 0x38000000, v2
.LBB4_2770:                             ;   in Loop: Header=BB4_2226 Depth=4
	s_and_not1_saveexec_b32 s73, s73
; %bb.2771:                             ;   in Loop: Header=BB4_2226 Depth=4
	v_cmp_lt_i16_e32 vcc_lo, -1, v56
	v_cndmask_b32_e32 v2, 0xff800000, v112, vcc_lo
	v_cmp_eq_u32_e32 vcc_lo, 0, v5
	s_delay_alu instid0(VALU_DEP_2)
	v_cndmask_b32_e32 v2, 0x7f800001, v2, vcc_lo
; %bb.2772:                             ;   in Loop: Header=BB4_2226 Depth=4
	s_or_b32 exec_lo, exec_lo, s73
.LBB4_2773:                             ;   in Loop: Header=BB4_2226 Depth=4
	s_delay_alu instid0(SALU_CYCLE_1)
	s_or_b32 exec_lo, exec_lo, s72
.LBB4_2774:                             ;   in Loop: Header=BB4_2226 Depth=4
	s_delay_alu instid0(SALU_CYCLE_1) | instskip(NEXT) | instid1(VALU_DEP_1)
	s_or_b32 exec_lo, exec_lo, s13
	v_dual_mul_f32 v4, v4, v2 :: v_dual_mov_b32 v25, v3
	s_delay_alu instid0(VALU_DEP_1) | instskip(SKIP_1) | instid1(VALU_DEP_2)
	v_and_b32_e32 v24, 0x7f800000, v4
	v_and_b32_e32 v2, 0x7fffff, v4
	v_cmp_ne_u64_e32 vcc_lo, 0x7f800000, v[24:25]
                                        ; implicit-def: $vgpr24
	s_and_saveexec_b32 s13, vcc_lo
	s_delay_alu instid0(SALU_CYCLE_1)
	s_xor_b32 s72, exec_lo, s13
	s_cbranch_execz .LBB4_2792
; %bb.2775:                             ;   in Loop: Header=BB4_2226 Depth=4
	v_and_b32_e32 v24, 0x7fffffff, v4
	v_dual_mov_b32 v25, v3 :: v_dual_lshrrev_b32 v5, 24, v4
	s_delay_alu instid0(VALU_DEP_1) | instskip(NEXT) | instid1(VALU_DEP_2)
	v_cmp_gt_u64_e32 vcc_lo, 0x47600001, v[24:25]
	v_and_b32_e32 v15, 0x80, v5
                                        ; implicit-def: $vgpr24
	s_and_saveexec_b32 s13, vcc_lo
	s_delay_alu instid0(SALU_CYCLE_1)
	s_xor_b32 s73, exec_lo, s13
	s_cbranch_execz .LBB4_2789
; %bb.2776:                             ;   in Loop: Header=BB4_2226 Depth=4
	v_mov_b32_e32 v24, 0
	s_mov_b32 s74, exec_lo
	v_cmpx_ne_u32_e32 0, v4
	s_cbranch_execz .LBB4_2788
; %bb.2777:                             ;   in Loop: Header=BB4_2226 Depth=4
	v_bfe_u32 v17, v4, 23, 8
	v_or_b32_e32 v21, 0x800000, v2
	s_delay_alu instid0(VALU_DEP_2) | instskip(SKIP_1) | instid1(VALU_DEP_2)
	v_sub_nc_u32_e32 v4, 0x71, v17
	v_cmp_gt_u32_e32 vcc_lo, 0x72, v17
	v_cndmask_b32_e32 v4, 0, v4, vcc_lo
	v_cmp_eq_u32_e32 vcc_lo, 0, v17
	s_delay_alu instid0(VALU_DEP_2) | instskip(NEXT) | instid1(VALU_DEP_1)
	v_cndmask_b32_e64 v19, v4, 0x70, vcc_lo
	v_dual_cndmask_b32 v2, v21, v2, vcc_lo :: v_dual_add_nc_u32 v4, 21, v19
	v_add_nc_u32_e32 v23, 20, v19
	s_delay_alu instid0(VALU_DEP_2) | instskip(NEXT) | instid1(VALU_DEP_2)
	v_lshlrev_b64_e64 v[4:5], v4, -1
	v_lshlrev_b64_e64 v[24:25], v23, 1
	s_delay_alu instid0(VALU_DEP_2) | instskip(NEXT) | instid1(VALU_DEP_3)
	v_bfi_b32 v57, v5, 0, 0
	v_bfi_b32 v56, v4, 0, v2
	v_lshrrev_b64 v[4:5], v19, v[2:3]
	s_delay_alu instid0(VALU_DEP_2) | instskip(NEXT) | instid1(VALU_DEP_2)
	v_cmp_eq_u64_e64 s13, v[56:57], v[24:25]
	v_mov_b64_e32 v[24:25], v[4:5]
	s_and_saveexec_b32 s75, s13
; %bb.2778:                             ;   in Loop: Header=BB4_2226 Depth=4
	v_bfe_u32 v2, v4, 21, 1
	s_delay_alu instid0(VALU_DEP_1) | instskip(NEXT) | instid1(VALU_DEP_1)
	v_add_nc_u64_e32 v[24:25], v[4:5], v[2:3]
	v_add_nc_u64_e32 v[24:25], -1, v[24:25]
; %bb.2779:                             ;   in Loop: Header=BB4_2226 Depth=4
	s_or_b32 exec_lo, exec_lo, s75
	v_add_nc_u32_e32 v2, 0xffffff81, v17
	v_lshrrev_b32_e32 v5, 23, v4
	s_mov_b32 s13, exec_lo
                                        ; implicit-def: $vgpr17
	s_delay_alu instid0(VALU_DEP_2) | instskip(NEXT) | instid1(VALU_DEP_1)
	v_cndmask_b32_e64 v2, v2, 0xffffff82, vcc_lo
	v_add3_u32 v19, v19, v2, v5
	v_and_b32_e32 v2, 0x1fffff, v24
	s_delay_alu instid0(VALU_DEP_1) | instskip(NEXT) | instid1(VALU_DEP_1)
	v_dual_add_nc_u32 v21, 14, v19 :: v_dual_add_nc_u32 v2, v2, v4
                                        ; implicit-def: $vgpr4_vgpr5
	v_cmpx_ne_u32_e32 0, v21
	s_xor_b32 s13, exec_lo, s13
; %bb.2780:                             ;   in Loop: Header=BB4_2226 Depth=4
	s_delay_alu instid0(VALU_DEP_2) | instskip(SKIP_1) | instid1(VALU_DEP_1)
	v_cmp_lt_u64_e32 vcc_lo, 0xffffff, v[2:3]
	v_add_nc_u32_e32 v4, 15, v19
	v_cndmask_b32_e32 v17, v21, v4, vcc_lo
	v_cndmask_b32_e64 v4, 0, 1, vcc_lo
	s_delay_alu instid0(VALU_DEP_1)
	v_lshrrev_b64 v[4:5], v4, v[2:3]
; %bb.2781:                             ;   in Loop: Header=BB4_2226 Depth=4
	s_and_not1_saveexec_b32 s13, s13
; %bb.2782:                             ;   in Loop: Header=BB4_2226 Depth=4
	v_mov_b64_e32 v[4:5], v[2:3]
	v_bfe_u32 v17, v2, 23, 1
; %bb.2783:                             ;   in Loop: Header=BB4_2226 Depth=4
	s_or_b32 exec_lo, exec_lo, s13
	s_delay_alu instid0(VALU_DEP_2) | instskip(NEXT) | instid1(VALU_DEP_2)
	v_lshrrev_b64 v[4:5], 21, v[4:5]
	v_cmp_gt_i32_e32 vcc_lo, 32, v17
	v_cmp_ne_u32_e64 s13, 0, v17
                                        ; implicit-def: $vgpr24
	s_delay_alu instid0(VALU_DEP_3) | instskip(NEXT) | instid1(VALU_DEP_1)
	v_dual_cndmask_b32 v5, 0, v5 :: v_dual_cndmask_b32 v4, 3, v4
	v_cmp_ne_u64_e32 vcc_lo, 0, v[4:5]
	s_or_b32 s13, s13, vcc_lo
	s_delay_alu instid0(SALU_CYCLE_1) | instskip(NEXT) | instid1(SALU_CYCLE_1)
	s_and_saveexec_b32 s75, s13
	s_xor_b32 s13, exec_lo, s75
; %bb.2784:                             ;   in Loop: Header=BB4_2226 Depth=4
	v_min_i32_e32 v2, 31, v17
	s_delay_alu instid0(VALU_DEP_1) | instskip(NEXT) | instid1(VALU_DEP_1)
	v_lshl_or_b32 v2, v2, 2, v15
                                        ; implicit-def: $vgpr15
	v_and_or_b32 v24, v4, 3, v2
; %bb.2785:                             ;   in Loop: Header=BB4_2226 Depth=4
	s_and_not1_saveexec_b32 s13, s13
; %bb.2786:                             ;   in Loop: Header=BB4_2226 Depth=4
	v_mov_b32_e32 v24, v15
; %bb.2787:                             ;   in Loop: Header=BB4_2226 Depth=4
	s_or_b32 exec_lo, exec_lo, s13
.LBB4_2788:                             ;   in Loop: Header=BB4_2226 Depth=4
	s_delay_alu instid0(SALU_CYCLE_1)
	s_or_b32 exec_lo, exec_lo, s74
                                        ; implicit-def: $vgpr15
.LBB4_2789:                             ;   in Loop: Header=BB4_2226 Depth=4
	s_and_not1_saveexec_b32 s13, s73
; %bb.2790:                             ;   in Loop: Header=BB4_2226 Depth=4
	v_or_b32_e32 v24, 0x7b, v15
; %bb.2791:                             ;   in Loop: Header=BB4_2226 Depth=4
	s_or_b32 exec_lo, exec_lo, s13
                                        ; implicit-def: $vgpr4
.LBB4_2792:                             ;   in Loop: Header=BB4_2226 Depth=4
	s_and_not1_saveexec_b32 s13, s72
	s_cbranch_execz .LBB4_2798
; %bb.2793:                             ;   in Loop: Header=BB4_2226 Depth=4
	s_mov_b32 s72, exec_lo
                                        ; implicit-def: $vgpr24
	v_cmpx_ne_u64_e32 0, v[2:3]
	s_xor_b32 s72, exec_lo, s72
; %bb.2794:                             ;   in Loop: Header=BB4_2226 Depth=4
	v_lshrrev_b32_e32 v2, 24, v4
                                        ; implicit-def: $vgpr4
	s_delay_alu instid0(VALU_DEP_1)
	v_or_b32_e32 v24, 0x7f, v2
; %bb.2795:                             ;   in Loop: Header=BB4_2226 Depth=4
	s_and_not1_saveexec_b32 s72, s72
; %bb.2796:                             ;   in Loop: Header=BB4_2226 Depth=4
	v_cmp_lt_i32_e32 vcc_lo, -1, v4
	v_cndmask_b32_e64 v24, -4, 0x7c, vcc_lo
; %bb.2797:                             ;   in Loop: Header=BB4_2226 Depth=4
	s_or_b32 exec_lo, exec_lo, s72
.LBB4_2798:                             ;   in Loop: Header=BB4_2226 Depth=4
	s_delay_alu instid0(SALU_CYCLE_1)
	s_or_b32 exec_lo, exec_lo, s13
	v_dual_mov_b32 v2, 0 :: v_dual_mov_b32 v4, 0
	s_mov_b32 s13, exec_lo
	v_cmpx_ne_u16_e32 0, v46
	s_cbranch_execz .LBB4_2808
; %bb.2799:                             ;   in Loop: Header=BB4_2226 Depth=4
	v_bfrev_b32_e32 v4, 1
	s_mov_b32 s72, exec_lo
	v_cmpx_ne_u16_e32 0xff80, v46
	s_cbranch_execz .LBB4_2807
; %bb.2800:                             ;   in Loop: Header=BB4_2226 Depth=4
	v_and_b32_e32 v4, 0x7c, v46
	v_and_b32_e32 v5, 3, v46
	s_delay_alu instid0(VALU_DEP_2) | instskip(SKIP_1) | instid1(SALU_CYCLE_1)
	v_cmp_ne_u32_e32 vcc_lo, 0x7c, v4
                                        ; implicit-def: $vgpr4
	s_and_saveexec_b32 s73, vcc_lo
	s_xor_b32 s73, exec_lo, s73
	s_cbranch_execz .LBB4_2804
; %bb.2801:                             ;   in Loop: Header=BB4_2226 Depth=4
	v_and_b32_e32 v4, 0xff, v46
	s_mov_b32 s74, exec_lo
	s_delay_alu instid0(VALU_DEP_1) | instskip(NEXT) | instid1(VALU_DEP_1)
	v_bfe_u32 v4, v4, 2, 5
	v_cmpx_eq_u32_e32 0, v4
	s_cbranch_execz .LBB4_2803
; %bb.2802:                             ;   in Loop: Header=BB4_2226 Depth=4
	v_clz_i32_u32_e32 v4, v5
	s_delay_alu instid0(VALU_DEP_1) | instskip(SKIP_1) | instid1(VALU_DEP_2)
	v_min_u32_e32 v4, 32, v4
	v_mov_b32_e32 v47, v3
	v_subrev_nc_u32_e32 v5, 29, v4
	v_sub_nc_u32_e32 v4, 30, v4
	s_delay_alu instid0(VALU_DEP_2) | instskip(NEXT) | instid1(VALU_DEP_1)
	v_lshlrev_b64_e32 v[56:57], v5, v[46:47]
	v_and_b32_e32 v5, 3, v56
.LBB4_2803:                             ;   in Loop: Header=BB4_2226 Depth=4
	s_or_b32 exec_lo, exec_lo, s74
	v_bfe_i32 v15, v46, 0, 16
                                        ; implicit-def: $vgpr46
	s_delay_alu instid0(VALU_DEP_1) | instskip(NEXT) | instid1(VALU_DEP_1)
	v_and_b32_e32 v15, 0x80000000, v15
	v_lshl_add_u32 v4, v4, 23, v15
	s_delay_alu instid0(VALU_DEP_1) | instskip(NEXT) | instid1(VALU_DEP_1)
	v_lshl_or_b32 v4, v5, 21, v4
                                        ; implicit-def: $vgpr5
	v_add_nc_u32_e32 v4, 0x38000000, v4
.LBB4_2804:                             ;   in Loop: Header=BB4_2226 Depth=4
	s_and_not1_saveexec_b32 s73, s73
; %bb.2805:                             ;   in Loop: Header=BB4_2226 Depth=4
	v_cmp_lt_i16_e32 vcc_lo, -1, v46
	v_cndmask_b32_e32 v4, 0xff800000, v112, vcc_lo
	v_cmp_eq_u32_e32 vcc_lo, 0, v5
	s_delay_alu instid0(VALU_DEP_2)
	v_cndmask_b32_e32 v4, 0x7f800001, v4, vcc_lo
; %bb.2806:                             ;   in Loop: Header=BB4_2226 Depth=4
	s_or_b32 exec_lo, exec_lo, s73
.LBB4_2807:                             ;   in Loop: Header=BB4_2226 Depth=4
	s_delay_alu instid0(SALU_CYCLE_1)
	s_or_b32 exec_lo, exec_lo, s72
.LBB4_2808:                             ;   in Loop: Header=BB4_2226 Depth=4
	s_delay_alu instid0(SALU_CYCLE_1) | instskip(NEXT) | instid1(SALU_CYCLE_1)
	s_or_b32 exec_lo, exec_lo, s13
	s_mov_b32 s13, exec_lo
	s_wait_loadcnt_dscnt 0x202
	v_cmpx_ne_u16_e32 0, v22
	s_cbranch_execz .LBB4_2818
; %bb.2809:                             ;   in Loop: Header=BB4_2226 Depth=4
	v_bfrev_b32_e32 v2, 1
	s_mov_b32 s72, exec_lo
	v_cmpx_ne_u16_e32 0xff80, v22
	s_cbranch_execz .LBB4_2817
; %bb.2810:                             ;   in Loop: Header=BB4_2226 Depth=4
	v_and_b32_e32 v2, 0x7c, v22
	v_and_b32_e32 v5, 3, v22
	s_delay_alu instid0(VALU_DEP_2) | instskip(SKIP_1) | instid1(SALU_CYCLE_1)
	v_cmp_ne_u32_e32 vcc_lo, 0x7c, v2
                                        ; implicit-def: $vgpr2
	s_and_saveexec_b32 s73, vcc_lo
	s_xor_b32 s73, exec_lo, s73
	s_cbranch_execz .LBB4_2814
; %bb.2811:                             ;   in Loop: Header=BB4_2226 Depth=4
	v_and_b32_e32 v2, 0xff, v22
	s_mov_b32 s74, exec_lo
	s_delay_alu instid0(VALU_DEP_1) | instskip(NEXT) | instid1(VALU_DEP_1)
	v_bfe_u32 v2, v2, 2, 5
	v_cmpx_eq_u32_e32 0, v2
	s_cbranch_execz .LBB4_2813
; %bb.2812:                             ;   in Loop: Header=BB4_2226 Depth=4
	v_clz_i32_u32_e32 v2, v5
	s_delay_alu instid0(VALU_DEP_1) | instskip(SKIP_1) | instid1(VALU_DEP_2)
	v_min_u32_e32 v2, 32, v2
	v_mov_b32_e32 v23, v3
	v_subrev_nc_u32_e32 v5, 29, v2
	v_sub_nc_u32_e32 v2, 30, v2
	s_delay_alu instid0(VALU_DEP_2) | instskip(NEXT) | instid1(VALU_DEP_1)
	v_lshlrev_b64_e32 v[46:47], v5, v[22:23]
	v_and_b32_e32 v5, 3, v46
.LBB4_2813:                             ;   in Loop: Header=BB4_2226 Depth=4
	s_or_b32 exec_lo, exec_lo, s74
	v_bfe_i32 v15, v22, 0, 16
                                        ; implicit-def: $vgpr22
	s_delay_alu instid0(VALU_DEP_1) | instskip(NEXT) | instid1(VALU_DEP_1)
	v_and_b32_e32 v15, 0x80000000, v15
	v_lshl_add_u32 v2, v2, 23, v15
	s_delay_alu instid0(VALU_DEP_1) | instskip(NEXT) | instid1(VALU_DEP_1)
	v_lshl_or_b32 v2, v5, 21, v2
                                        ; implicit-def: $vgpr5
	v_add_nc_u32_e32 v2, 0x38000000, v2
.LBB4_2814:                             ;   in Loop: Header=BB4_2226 Depth=4
	s_and_not1_saveexec_b32 s73, s73
; %bb.2815:                             ;   in Loop: Header=BB4_2226 Depth=4
	v_cmp_lt_i16_e32 vcc_lo, -1, v22
	v_cndmask_b32_e32 v2, 0xff800000, v112, vcc_lo
	v_cmp_eq_u32_e32 vcc_lo, 0, v5
	s_delay_alu instid0(VALU_DEP_2)
	v_cndmask_b32_e32 v2, 0x7f800001, v2, vcc_lo
; %bb.2816:                             ;   in Loop: Header=BB4_2226 Depth=4
	s_or_b32 exec_lo, exec_lo, s73
.LBB4_2817:                             ;   in Loop: Header=BB4_2226 Depth=4
	s_delay_alu instid0(SALU_CYCLE_1)
	s_or_b32 exec_lo, exec_lo, s72
.LBB4_2818:                             ;   in Loop: Header=BB4_2226 Depth=4
	s_delay_alu instid0(SALU_CYCLE_1) | instskip(NEXT) | instid1(VALU_DEP_1)
	s_or_b32 exec_lo, exec_lo, s13
	v_dual_mul_f32 v4, v4, v2 :: v_dual_mov_b32 v23, v3
	s_delay_alu instid0(VALU_DEP_1) | instskip(SKIP_1) | instid1(VALU_DEP_2)
	v_and_b32_e32 v22, 0x7f800000, v4
	v_and_b32_e32 v2, 0x7fffff, v4
	v_cmp_ne_u64_e32 vcc_lo, 0x7f800000, v[22:23]
                                        ; implicit-def: $vgpr22
	s_and_saveexec_b32 s13, vcc_lo
	s_delay_alu instid0(SALU_CYCLE_1)
	s_xor_b32 s72, exec_lo, s13
	s_cbranch_execz .LBB4_2836
; %bb.2819:                             ;   in Loop: Header=BB4_2226 Depth=4
	v_and_b32_e32 v22, 0x7fffffff, v4
	v_dual_mov_b32 v23, v3 :: v_dual_lshrrev_b32 v5, 24, v4
	s_delay_alu instid0(VALU_DEP_1) | instskip(NEXT) | instid1(VALU_DEP_2)
	v_cmp_gt_u64_e32 vcc_lo, 0x47600001, v[22:23]
	v_and_b32_e32 v15, 0x80, v5
                                        ; implicit-def: $vgpr22
	s_and_saveexec_b32 s13, vcc_lo
	s_delay_alu instid0(SALU_CYCLE_1)
	s_xor_b32 s73, exec_lo, s13
	s_cbranch_execz .LBB4_2833
; %bb.2820:                             ;   in Loop: Header=BB4_2226 Depth=4
	v_mov_b32_e32 v22, 0
	s_mov_b32 s74, exec_lo
	v_cmpx_ne_u32_e32 0, v4
	s_cbranch_execz .LBB4_2832
; %bb.2821:                             ;   in Loop: Header=BB4_2226 Depth=4
	v_bfe_u32 v17, v4, 23, 8
	v_or_b32_e32 v21, 0x800000, v2
	s_delay_alu instid0(VALU_DEP_2) | instskip(SKIP_1) | instid1(VALU_DEP_2)
	v_sub_nc_u32_e32 v4, 0x71, v17
	v_cmp_gt_u32_e32 vcc_lo, 0x72, v17
	v_cndmask_b32_e32 v4, 0, v4, vcc_lo
	v_cmp_eq_u32_e32 vcc_lo, 0, v17
	s_delay_alu instid0(VALU_DEP_2) | instskip(NEXT) | instid1(VALU_DEP_1)
	v_cndmask_b32_e64 v19, v4, 0x70, vcc_lo
	v_dual_cndmask_b32 v2, v21, v2, vcc_lo :: v_dual_add_nc_u32 v4, 21, v19
	v_add_nc_u32_e32 v22, 20, v19
	s_delay_alu instid0(VALU_DEP_2) | instskip(NEXT) | instid1(VALU_DEP_2)
	v_lshlrev_b64_e64 v[4:5], v4, -1
	v_lshlrev_b64_e64 v[22:23], v22, 1
	s_delay_alu instid0(VALU_DEP_2) | instskip(NEXT) | instid1(VALU_DEP_3)
	v_bfi_b32 v47, v5, 0, 0
	v_bfi_b32 v46, v4, 0, v2
	v_lshrrev_b64 v[4:5], v19, v[2:3]
	s_delay_alu instid0(VALU_DEP_2) | instskip(NEXT) | instid1(VALU_DEP_2)
	v_cmp_eq_u64_e64 s13, v[46:47], v[22:23]
	v_mov_b64_e32 v[22:23], v[4:5]
	s_and_saveexec_b32 s75, s13
; %bb.2822:                             ;   in Loop: Header=BB4_2226 Depth=4
	v_bfe_u32 v2, v4, 21, 1
	s_delay_alu instid0(VALU_DEP_1) | instskip(NEXT) | instid1(VALU_DEP_1)
	v_add_nc_u64_e32 v[22:23], v[4:5], v[2:3]
	v_add_nc_u64_e32 v[22:23], -1, v[22:23]
; %bb.2823:                             ;   in Loop: Header=BB4_2226 Depth=4
	s_or_b32 exec_lo, exec_lo, s75
	v_add_nc_u32_e32 v2, 0xffffff81, v17
	v_lshrrev_b32_e32 v5, 23, v4
	s_mov_b32 s13, exec_lo
                                        ; implicit-def: $vgpr17
	s_delay_alu instid0(VALU_DEP_2) | instskip(NEXT) | instid1(VALU_DEP_1)
	v_cndmask_b32_e64 v2, v2, 0xffffff82, vcc_lo
	v_add3_u32 v19, v19, v2, v5
	v_and_b32_e32 v2, 0x1fffff, v22
	s_delay_alu instid0(VALU_DEP_1) | instskip(NEXT) | instid1(VALU_DEP_1)
	v_dual_add_nc_u32 v21, 14, v19 :: v_dual_add_nc_u32 v2, v2, v4
                                        ; implicit-def: $vgpr4_vgpr5
	v_cmpx_ne_u32_e32 0, v21
	s_xor_b32 s13, exec_lo, s13
; %bb.2824:                             ;   in Loop: Header=BB4_2226 Depth=4
	s_delay_alu instid0(VALU_DEP_2) | instskip(SKIP_1) | instid1(VALU_DEP_1)
	v_cmp_lt_u64_e32 vcc_lo, 0xffffff, v[2:3]
	v_add_nc_u32_e32 v4, 15, v19
	v_cndmask_b32_e32 v17, v21, v4, vcc_lo
	v_cndmask_b32_e64 v4, 0, 1, vcc_lo
	s_delay_alu instid0(VALU_DEP_1)
	v_lshrrev_b64 v[4:5], v4, v[2:3]
; %bb.2825:                             ;   in Loop: Header=BB4_2226 Depth=4
	s_and_not1_saveexec_b32 s13, s13
; %bb.2826:                             ;   in Loop: Header=BB4_2226 Depth=4
	v_mov_b64_e32 v[4:5], v[2:3]
	v_bfe_u32 v17, v2, 23, 1
; %bb.2827:                             ;   in Loop: Header=BB4_2226 Depth=4
	s_or_b32 exec_lo, exec_lo, s13
	s_delay_alu instid0(VALU_DEP_2) | instskip(NEXT) | instid1(VALU_DEP_2)
	v_lshrrev_b64 v[4:5], 21, v[4:5]
	v_cmp_gt_i32_e32 vcc_lo, 32, v17
	v_cmp_ne_u32_e64 s13, 0, v17
                                        ; implicit-def: $vgpr22
	s_delay_alu instid0(VALU_DEP_3) | instskip(NEXT) | instid1(VALU_DEP_1)
	v_dual_cndmask_b32 v5, 0, v5 :: v_dual_cndmask_b32 v4, 3, v4
	v_cmp_ne_u64_e32 vcc_lo, 0, v[4:5]
	s_or_b32 s13, s13, vcc_lo
	s_delay_alu instid0(SALU_CYCLE_1) | instskip(NEXT) | instid1(SALU_CYCLE_1)
	s_and_saveexec_b32 s75, s13
	s_xor_b32 s13, exec_lo, s75
; %bb.2828:                             ;   in Loop: Header=BB4_2226 Depth=4
	v_min_i32_e32 v2, 31, v17
	s_delay_alu instid0(VALU_DEP_1) | instskip(NEXT) | instid1(VALU_DEP_1)
	v_lshl_or_b32 v2, v2, 2, v15
                                        ; implicit-def: $vgpr15
	v_and_or_b32 v22, v4, 3, v2
; %bb.2829:                             ;   in Loop: Header=BB4_2226 Depth=4
	s_and_not1_saveexec_b32 s13, s13
; %bb.2830:                             ;   in Loop: Header=BB4_2226 Depth=4
	v_mov_b32_e32 v22, v15
; %bb.2831:                             ;   in Loop: Header=BB4_2226 Depth=4
	s_or_b32 exec_lo, exec_lo, s13
.LBB4_2832:                             ;   in Loop: Header=BB4_2226 Depth=4
	s_delay_alu instid0(SALU_CYCLE_1)
	s_or_b32 exec_lo, exec_lo, s74
                                        ; implicit-def: $vgpr15
.LBB4_2833:                             ;   in Loop: Header=BB4_2226 Depth=4
	s_and_not1_saveexec_b32 s13, s73
; %bb.2834:                             ;   in Loop: Header=BB4_2226 Depth=4
	v_or_b32_e32 v22, 0x7b, v15
; %bb.2835:                             ;   in Loop: Header=BB4_2226 Depth=4
	s_or_b32 exec_lo, exec_lo, s13
                                        ; implicit-def: $vgpr4
.LBB4_2836:                             ;   in Loop: Header=BB4_2226 Depth=4
	s_and_not1_saveexec_b32 s13, s72
	s_cbranch_execz .LBB4_2842
; %bb.2837:                             ;   in Loop: Header=BB4_2226 Depth=4
	s_mov_b32 s72, exec_lo
                                        ; implicit-def: $vgpr22
	v_cmpx_ne_u64_e32 0, v[2:3]
	s_xor_b32 s72, exec_lo, s72
; %bb.2838:                             ;   in Loop: Header=BB4_2226 Depth=4
	v_lshrrev_b32_e32 v2, 24, v4
                                        ; implicit-def: $vgpr4
	s_delay_alu instid0(VALU_DEP_1)
	v_or_b32_e32 v22, 0x7f, v2
; %bb.2839:                             ;   in Loop: Header=BB4_2226 Depth=4
	s_and_not1_saveexec_b32 s72, s72
; %bb.2840:                             ;   in Loop: Header=BB4_2226 Depth=4
	v_cmp_lt_i32_e32 vcc_lo, -1, v4
	v_cndmask_b32_e64 v22, -4, 0x7c, vcc_lo
; %bb.2841:                             ;   in Loop: Header=BB4_2226 Depth=4
	s_or_b32 exec_lo, exec_lo, s72
.LBB4_2842:                             ;   in Loop: Header=BB4_2226 Depth=4
	s_delay_alu instid0(SALU_CYCLE_1)
	s_or_b32 exec_lo, exec_lo, s13
	v_dual_mov_b32 v2, 0 :: v_dual_mov_b32 v4, 0
	s_mov_b32 s13, exec_lo
	v_cmpx_ne_u16_e32 0, v20
	s_cbranch_execz .LBB4_2852
; %bb.2843:                             ;   in Loop: Header=BB4_2226 Depth=4
	v_bfrev_b32_e32 v4, 1
	s_mov_b32 s72, exec_lo
	v_cmpx_ne_u16_e32 0xff80, v20
	s_cbranch_execz .LBB4_2851
; %bb.2844:                             ;   in Loop: Header=BB4_2226 Depth=4
	v_and_b32_e32 v4, 0x7c, v20
	v_and_b32_e32 v5, 3, v20
	s_delay_alu instid0(VALU_DEP_2) | instskip(SKIP_1) | instid1(SALU_CYCLE_1)
	v_cmp_ne_u32_e32 vcc_lo, 0x7c, v4
                                        ; implicit-def: $vgpr4
	s_and_saveexec_b32 s73, vcc_lo
	s_xor_b32 s73, exec_lo, s73
	s_cbranch_execz .LBB4_2848
; %bb.2845:                             ;   in Loop: Header=BB4_2226 Depth=4
	v_and_b32_e32 v4, 0xff, v20
	s_mov_b32 s74, exec_lo
	s_delay_alu instid0(VALU_DEP_1) | instskip(NEXT) | instid1(VALU_DEP_1)
	v_bfe_u32 v4, v4, 2, 5
	v_cmpx_eq_u32_e32 0, v4
	s_cbranch_execz .LBB4_2847
; %bb.2846:                             ;   in Loop: Header=BB4_2226 Depth=4
	v_clz_i32_u32_e32 v4, v5
	s_delay_alu instid0(VALU_DEP_1) | instskip(SKIP_1) | instid1(VALU_DEP_2)
	v_min_u32_e32 v4, 32, v4
	v_mov_b32_e32 v21, v3
	v_subrev_nc_u32_e32 v5, 29, v4
	v_sub_nc_u32_e32 v4, 30, v4
	s_delay_alu instid0(VALU_DEP_2) | instskip(NEXT) | instid1(VALU_DEP_1)
	v_lshlrev_b64_e32 v[46:47], v5, v[20:21]
	v_and_b32_e32 v5, 3, v46
.LBB4_2847:                             ;   in Loop: Header=BB4_2226 Depth=4
	s_or_b32 exec_lo, exec_lo, s74
	v_bfe_i32 v15, v20, 0, 16
                                        ; implicit-def: $vgpr20
	s_delay_alu instid0(VALU_DEP_1) | instskip(NEXT) | instid1(VALU_DEP_1)
	v_and_b32_e32 v15, 0x80000000, v15
	v_lshl_add_u32 v4, v4, 23, v15
	s_delay_alu instid0(VALU_DEP_1) | instskip(NEXT) | instid1(VALU_DEP_1)
	v_lshl_or_b32 v4, v5, 21, v4
                                        ; implicit-def: $vgpr5
	v_add_nc_u32_e32 v4, 0x38000000, v4
.LBB4_2848:                             ;   in Loop: Header=BB4_2226 Depth=4
	s_and_not1_saveexec_b32 s73, s73
; %bb.2849:                             ;   in Loop: Header=BB4_2226 Depth=4
	v_cmp_lt_i16_e32 vcc_lo, -1, v20
	v_cndmask_b32_e32 v4, 0xff800000, v112, vcc_lo
	v_cmp_eq_u32_e32 vcc_lo, 0, v5
	s_delay_alu instid0(VALU_DEP_2)
	v_cndmask_b32_e32 v4, 0x7f800001, v4, vcc_lo
; %bb.2850:                             ;   in Loop: Header=BB4_2226 Depth=4
	s_or_b32 exec_lo, exec_lo, s73
.LBB4_2851:                             ;   in Loop: Header=BB4_2226 Depth=4
	s_delay_alu instid0(SALU_CYCLE_1)
	s_or_b32 exec_lo, exec_lo, s72
.LBB4_2852:                             ;   in Loop: Header=BB4_2226 Depth=4
	s_delay_alu instid0(SALU_CYCLE_1) | instskip(NEXT) | instid1(SALU_CYCLE_1)
	s_or_b32 exec_lo, exec_lo, s13
	s_mov_b32 s13, exec_lo
	s_wait_loadcnt_dscnt 0x101
	v_cmpx_ne_u16_e32 0, v18
	s_cbranch_execz .LBB4_2862
; %bb.2853:                             ;   in Loop: Header=BB4_2226 Depth=4
	v_bfrev_b32_e32 v2, 1
	s_mov_b32 s72, exec_lo
	v_cmpx_ne_u16_e32 0xff80, v18
	s_cbranch_execz .LBB4_2861
; %bb.2854:                             ;   in Loop: Header=BB4_2226 Depth=4
	v_and_b32_e32 v2, 0x7c, v18
	v_and_b32_e32 v5, 3, v18
	s_delay_alu instid0(VALU_DEP_2) | instskip(SKIP_1) | instid1(SALU_CYCLE_1)
	v_cmp_ne_u32_e32 vcc_lo, 0x7c, v2
                                        ; implicit-def: $vgpr2
	s_and_saveexec_b32 s73, vcc_lo
	s_xor_b32 s73, exec_lo, s73
	s_cbranch_execz .LBB4_2858
; %bb.2855:                             ;   in Loop: Header=BB4_2226 Depth=4
	v_and_b32_e32 v2, 0xff, v18
	s_mov_b32 s74, exec_lo
	s_delay_alu instid0(VALU_DEP_1) | instskip(NEXT) | instid1(VALU_DEP_1)
	v_bfe_u32 v2, v2, 2, 5
	v_cmpx_eq_u32_e32 0, v2
	s_cbranch_execz .LBB4_2857
; %bb.2856:                             ;   in Loop: Header=BB4_2226 Depth=4
	v_clz_i32_u32_e32 v2, v5
	s_delay_alu instid0(VALU_DEP_1) | instskip(SKIP_1) | instid1(VALU_DEP_2)
	v_min_u32_e32 v2, 32, v2
	v_mov_b32_e32 v19, v3
	v_subrev_nc_u32_e32 v5, 29, v2
	v_sub_nc_u32_e32 v2, 30, v2
	s_delay_alu instid0(VALU_DEP_2) | instskip(NEXT) | instid1(VALU_DEP_1)
	v_lshlrev_b64_e32 v[20:21], v5, v[18:19]
	v_and_b32_e32 v5, 3, v20
.LBB4_2857:                             ;   in Loop: Header=BB4_2226 Depth=4
	s_or_b32 exec_lo, exec_lo, s74
	v_bfe_i32 v15, v18, 0, 16
                                        ; implicit-def: $vgpr18
	s_delay_alu instid0(VALU_DEP_1) | instskip(NEXT) | instid1(VALU_DEP_1)
	v_and_b32_e32 v15, 0x80000000, v15
	v_lshl_add_u32 v2, v2, 23, v15
	s_delay_alu instid0(VALU_DEP_1) | instskip(NEXT) | instid1(VALU_DEP_1)
	v_lshl_or_b32 v2, v5, 21, v2
                                        ; implicit-def: $vgpr5
	v_add_nc_u32_e32 v2, 0x38000000, v2
.LBB4_2858:                             ;   in Loop: Header=BB4_2226 Depth=4
	s_and_not1_saveexec_b32 s73, s73
; %bb.2859:                             ;   in Loop: Header=BB4_2226 Depth=4
	v_cmp_lt_i16_e32 vcc_lo, -1, v18
	v_cndmask_b32_e32 v2, 0xff800000, v112, vcc_lo
	v_cmp_eq_u32_e32 vcc_lo, 0, v5
	s_delay_alu instid0(VALU_DEP_2)
	v_cndmask_b32_e32 v2, 0x7f800001, v2, vcc_lo
; %bb.2860:                             ;   in Loop: Header=BB4_2226 Depth=4
	s_or_b32 exec_lo, exec_lo, s73
.LBB4_2861:                             ;   in Loop: Header=BB4_2226 Depth=4
	s_delay_alu instid0(SALU_CYCLE_1)
	s_or_b32 exec_lo, exec_lo, s72
.LBB4_2862:                             ;   in Loop: Header=BB4_2226 Depth=4
	s_delay_alu instid0(SALU_CYCLE_1) | instskip(NEXT) | instid1(VALU_DEP_1)
	s_or_b32 exec_lo, exec_lo, s13
	v_dual_mul_f32 v4, v4, v2 :: v_dual_mov_b32 v19, v3
	s_delay_alu instid0(VALU_DEP_1) | instskip(SKIP_1) | instid1(VALU_DEP_2)
	v_and_b32_e32 v18, 0x7f800000, v4
	v_and_b32_e32 v2, 0x7fffff, v4
	v_cmp_ne_u64_e32 vcc_lo, 0x7f800000, v[18:19]
                                        ; implicit-def: $vgpr18
	s_and_saveexec_b32 s13, vcc_lo
	s_delay_alu instid0(SALU_CYCLE_1)
	s_xor_b32 s72, exec_lo, s13
	s_cbranch_execz .LBB4_2880
; %bb.2863:                             ;   in Loop: Header=BB4_2226 Depth=4
	v_and_b32_e32 v18, 0x7fffffff, v4
	v_dual_mov_b32 v19, v3 :: v_dual_lshrrev_b32 v5, 24, v4
	s_delay_alu instid0(VALU_DEP_1) | instskip(NEXT) | instid1(VALU_DEP_2)
	v_cmp_gt_u64_e32 vcc_lo, 0x47600001, v[18:19]
	v_and_b32_e32 v15, 0x80, v5
                                        ; implicit-def: $vgpr18
	s_and_saveexec_b32 s13, vcc_lo
	s_delay_alu instid0(SALU_CYCLE_1)
	s_xor_b32 s73, exec_lo, s13
	s_cbranch_execz .LBB4_2877
; %bb.2864:                             ;   in Loop: Header=BB4_2226 Depth=4
	v_mov_b32_e32 v18, 0
	s_mov_b32 s74, exec_lo
	v_cmpx_ne_u32_e32 0, v4
	s_cbranch_execz .LBB4_2876
; %bb.2865:                             ;   in Loop: Header=BB4_2226 Depth=4
	v_bfe_u32 v17, v4, 23, 8
	v_or_b32_e32 v18, 0x800000, v2
	s_delay_alu instid0(VALU_DEP_2) | instskip(SKIP_1) | instid1(VALU_DEP_2)
	v_sub_nc_u32_e32 v4, 0x71, v17
	v_cmp_gt_u32_e32 vcc_lo, 0x72, v17
	v_cndmask_b32_e32 v4, 0, v4, vcc_lo
	v_cmp_eq_u32_e32 vcc_lo, 0, v17
	v_cndmask_b32_e32 v2, v18, v2, vcc_lo
	s_delay_alu instid0(VALU_DEP_3) | instskip(NEXT) | instid1(VALU_DEP_1)
	v_cndmask_b32_e64 v20, v4, 0x70, vcc_lo
	v_dual_add_nc_u32 v4, 21, v20 :: v_dual_add_nc_u32 v19, 20, v20
	s_delay_alu instid0(VALU_DEP_1) | instskip(NEXT) | instid1(VALU_DEP_2)
	v_lshlrev_b64_e64 v[4:5], v4, -1
	v_lshlrev_b64_e64 v[18:19], v19, 1
	s_delay_alu instid0(VALU_DEP_2) | instskip(NEXT) | instid1(VALU_DEP_3)
	v_bfi_b32 v47, v5, 0, 0
	v_bfi_b32 v46, v4, 0, v2
	v_lshrrev_b64 v[4:5], v20, v[2:3]
	s_delay_alu instid0(VALU_DEP_2) | instskip(NEXT) | instid1(VALU_DEP_2)
	v_cmp_eq_u64_e64 s13, v[46:47], v[18:19]
	v_mov_b64_e32 v[18:19], v[4:5]
	s_and_saveexec_b32 s75, s13
; %bb.2866:                             ;   in Loop: Header=BB4_2226 Depth=4
	v_bfe_u32 v2, v4, 21, 1
	s_delay_alu instid0(VALU_DEP_1) | instskip(NEXT) | instid1(VALU_DEP_1)
	v_add_nc_u64_e32 v[18:19], v[4:5], v[2:3]
	v_add_nc_u64_e32 v[18:19], -1, v[18:19]
; %bb.2867:                             ;   in Loop: Header=BB4_2226 Depth=4
	s_or_b32 exec_lo, exec_lo, s75
	v_add_nc_u32_e32 v2, 0xffffff81, v17
	v_lshrrev_b32_e32 v5, 23, v4
	s_mov_b32 s13, exec_lo
                                        ; implicit-def: $vgpr17
	s_delay_alu instid0(VALU_DEP_2) | instskip(NEXT) | instid1(VALU_DEP_1)
	v_cndmask_b32_e64 v2, v2, 0xffffff82, vcc_lo
	v_add3_u32 v19, v20, v2, v5
	v_and_b32_e32 v2, 0x1fffff, v18
	s_delay_alu instid0(VALU_DEP_1) | instskip(NEXT) | instid1(VALU_DEP_1)
	v_dual_add_nc_u32 v18, 14, v19 :: v_dual_add_nc_u32 v2, v2, v4
                                        ; implicit-def: $vgpr4_vgpr5
	v_cmpx_ne_u32_e32 0, v18
	s_xor_b32 s13, exec_lo, s13
; %bb.2868:                             ;   in Loop: Header=BB4_2226 Depth=4
	s_delay_alu instid0(VALU_DEP_2) | instskip(SKIP_1) | instid1(VALU_DEP_1)
	v_cmp_lt_u64_e32 vcc_lo, 0xffffff, v[2:3]
	v_add_nc_u32_e32 v4, 15, v19
	v_cndmask_b32_e32 v17, v18, v4, vcc_lo
	v_cndmask_b32_e64 v4, 0, 1, vcc_lo
	s_delay_alu instid0(VALU_DEP_1)
	v_lshrrev_b64 v[4:5], v4, v[2:3]
; %bb.2869:                             ;   in Loop: Header=BB4_2226 Depth=4
	s_and_not1_saveexec_b32 s13, s13
; %bb.2870:                             ;   in Loop: Header=BB4_2226 Depth=4
	v_mov_b64_e32 v[4:5], v[2:3]
	v_bfe_u32 v17, v2, 23, 1
; %bb.2871:                             ;   in Loop: Header=BB4_2226 Depth=4
	s_or_b32 exec_lo, exec_lo, s13
	s_delay_alu instid0(VALU_DEP_2) | instskip(NEXT) | instid1(VALU_DEP_2)
	v_lshrrev_b64 v[4:5], 21, v[4:5]
	v_cmp_gt_i32_e32 vcc_lo, 32, v17
	v_cmp_ne_u32_e64 s13, 0, v17
                                        ; implicit-def: $vgpr18
	s_delay_alu instid0(VALU_DEP_3) | instskip(NEXT) | instid1(VALU_DEP_1)
	v_dual_cndmask_b32 v5, 0, v5 :: v_dual_cndmask_b32 v4, 3, v4
	v_cmp_ne_u64_e32 vcc_lo, 0, v[4:5]
	s_or_b32 s13, s13, vcc_lo
	s_delay_alu instid0(SALU_CYCLE_1) | instskip(NEXT) | instid1(SALU_CYCLE_1)
	s_and_saveexec_b32 s75, s13
	s_xor_b32 s13, exec_lo, s75
; %bb.2872:                             ;   in Loop: Header=BB4_2226 Depth=4
	v_min_i32_e32 v2, 31, v17
	s_delay_alu instid0(VALU_DEP_1) | instskip(NEXT) | instid1(VALU_DEP_1)
	v_lshl_or_b32 v2, v2, 2, v15
                                        ; implicit-def: $vgpr15
	v_and_or_b32 v18, v4, 3, v2
; %bb.2873:                             ;   in Loop: Header=BB4_2226 Depth=4
	s_and_not1_saveexec_b32 s13, s13
; %bb.2874:                             ;   in Loop: Header=BB4_2226 Depth=4
	v_mov_b32_e32 v18, v15
; %bb.2875:                             ;   in Loop: Header=BB4_2226 Depth=4
	s_or_b32 exec_lo, exec_lo, s13
.LBB4_2876:                             ;   in Loop: Header=BB4_2226 Depth=4
	s_delay_alu instid0(SALU_CYCLE_1)
	s_or_b32 exec_lo, exec_lo, s74
                                        ; implicit-def: $vgpr15
.LBB4_2877:                             ;   in Loop: Header=BB4_2226 Depth=4
	s_and_not1_saveexec_b32 s13, s73
; %bb.2878:                             ;   in Loop: Header=BB4_2226 Depth=4
	v_or_b32_e32 v18, 0x7b, v15
; %bb.2879:                             ;   in Loop: Header=BB4_2226 Depth=4
	s_or_b32 exec_lo, exec_lo, s13
                                        ; implicit-def: $vgpr4
.LBB4_2880:                             ;   in Loop: Header=BB4_2226 Depth=4
	s_and_not1_saveexec_b32 s13, s72
	s_cbranch_execz .LBB4_2886
; %bb.2881:                             ;   in Loop: Header=BB4_2226 Depth=4
	s_mov_b32 s72, exec_lo
                                        ; implicit-def: $vgpr18
	v_cmpx_ne_u64_e32 0, v[2:3]
	s_xor_b32 s72, exec_lo, s72
; %bb.2882:                             ;   in Loop: Header=BB4_2226 Depth=4
	v_lshrrev_b32_e32 v2, 24, v4
                                        ; implicit-def: $vgpr4
	s_delay_alu instid0(VALU_DEP_1)
	v_or_b32_e32 v18, 0x7f, v2
; %bb.2883:                             ;   in Loop: Header=BB4_2226 Depth=4
	s_and_not1_saveexec_b32 s72, s72
; %bb.2884:                             ;   in Loop: Header=BB4_2226 Depth=4
	v_cmp_lt_i32_e32 vcc_lo, -1, v4
	v_cndmask_b32_e64 v18, -4, 0x7c, vcc_lo
; %bb.2885:                             ;   in Loop: Header=BB4_2226 Depth=4
	s_or_b32 exec_lo, exec_lo, s72
.LBB4_2886:                             ;   in Loop: Header=BB4_2226 Depth=4
	s_delay_alu instid0(SALU_CYCLE_1)
	s_or_b32 exec_lo, exec_lo, s13
	v_dual_mov_b32 v2, 0 :: v_dual_mov_b32 v4, 0
	s_mov_b32 s13, exec_lo
	v_cmpx_ne_u16_e32 0, v16
	s_cbranch_execz .LBB4_2896
; %bb.2887:                             ;   in Loop: Header=BB4_2226 Depth=4
	v_bfrev_b32_e32 v4, 1
	s_mov_b32 s72, exec_lo
	v_cmpx_ne_u16_e32 0xff80, v16
	s_cbranch_execz .LBB4_2895
; %bb.2888:                             ;   in Loop: Header=BB4_2226 Depth=4
	v_and_b32_e32 v4, 0x7c, v16
	v_and_b32_e32 v5, 3, v16
	s_delay_alu instid0(VALU_DEP_2) | instskip(SKIP_1) | instid1(SALU_CYCLE_1)
	v_cmp_ne_u32_e32 vcc_lo, 0x7c, v4
                                        ; implicit-def: $vgpr4
	s_and_saveexec_b32 s73, vcc_lo
	s_xor_b32 s73, exec_lo, s73
	s_cbranch_execz .LBB4_2892
; %bb.2889:                             ;   in Loop: Header=BB4_2226 Depth=4
	v_and_b32_e32 v4, 0xff, v16
	s_mov_b32 s74, exec_lo
	s_delay_alu instid0(VALU_DEP_1) | instskip(NEXT) | instid1(VALU_DEP_1)
	v_bfe_u32 v4, v4, 2, 5
	v_cmpx_eq_u32_e32 0, v4
	s_cbranch_execz .LBB4_2891
; %bb.2890:                             ;   in Loop: Header=BB4_2226 Depth=4
	v_clz_i32_u32_e32 v4, v5
	s_delay_alu instid0(VALU_DEP_1) | instskip(SKIP_1) | instid1(VALU_DEP_2)
	v_min_u32_e32 v4, 32, v4
	v_mov_b32_e32 v17, v3
	v_subrev_nc_u32_e32 v5, 29, v4
	v_sub_nc_u32_e32 v4, 30, v4
	s_delay_alu instid0(VALU_DEP_2) | instskip(NEXT) | instid1(VALU_DEP_1)
	v_lshlrev_b64_e32 v[20:21], v5, v[16:17]
	v_and_b32_e32 v5, 3, v20
.LBB4_2891:                             ;   in Loop: Header=BB4_2226 Depth=4
	s_or_b32 exec_lo, exec_lo, s74
	v_bfe_i32 v15, v16, 0, 16
                                        ; implicit-def: $vgpr16
	s_delay_alu instid0(VALU_DEP_1) | instskip(NEXT) | instid1(VALU_DEP_1)
	v_and_b32_e32 v15, 0x80000000, v15
	v_lshl_add_u32 v4, v4, 23, v15
	s_delay_alu instid0(VALU_DEP_1) | instskip(NEXT) | instid1(VALU_DEP_1)
	v_lshl_or_b32 v4, v5, 21, v4
                                        ; implicit-def: $vgpr5
	v_add_nc_u32_e32 v4, 0x38000000, v4
.LBB4_2892:                             ;   in Loop: Header=BB4_2226 Depth=4
	s_and_not1_saveexec_b32 s73, s73
; %bb.2893:                             ;   in Loop: Header=BB4_2226 Depth=4
	v_cmp_lt_i16_e32 vcc_lo, -1, v16
	v_cndmask_b32_e32 v4, 0xff800000, v112, vcc_lo
	v_cmp_eq_u32_e32 vcc_lo, 0, v5
	s_delay_alu instid0(VALU_DEP_2)
	v_cndmask_b32_e32 v4, 0x7f800001, v4, vcc_lo
; %bb.2894:                             ;   in Loop: Header=BB4_2226 Depth=4
	s_or_b32 exec_lo, exec_lo, s73
.LBB4_2895:                             ;   in Loop: Header=BB4_2226 Depth=4
	s_delay_alu instid0(SALU_CYCLE_1)
	s_or_b32 exec_lo, exec_lo, s72
.LBB4_2896:                             ;   in Loop: Header=BB4_2226 Depth=4
	s_delay_alu instid0(SALU_CYCLE_1) | instskip(NEXT) | instid1(SALU_CYCLE_1)
	s_or_b32 exec_lo, exec_lo, s13
	s_mov_b32 s13, exec_lo
	s_wait_loadcnt_dscnt 0x0
	v_cmpx_ne_u16_e32 0, v14
	s_cbranch_execz .LBB4_2906
; %bb.2897:                             ;   in Loop: Header=BB4_2226 Depth=4
	v_bfrev_b32_e32 v2, 1
	s_mov_b32 s72, exec_lo
	v_cmpx_ne_u16_e32 0xff80, v14
	s_cbranch_execz .LBB4_2905
; %bb.2898:                             ;   in Loop: Header=BB4_2226 Depth=4
	v_and_b32_e32 v2, 0x7c, v14
	v_and_b32_e32 v5, 3, v14
	s_delay_alu instid0(VALU_DEP_2) | instskip(SKIP_1) | instid1(SALU_CYCLE_1)
	v_cmp_ne_u32_e32 vcc_lo, 0x7c, v2
                                        ; implicit-def: $vgpr2
	s_and_saveexec_b32 s73, vcc_lo
	s_xor_b32 s73, exec_lo, s73
	s_cbranch_execz .LBB4_2902
; %bb.2899:                             ;   in Loop: Header=BB4_2226 Depth=4
	v_and_b32_e32 v2, 0xff, v14
	s_mov_b32 s74, exec_lo
	s_delay_alu instid0(VALU_DEP_1) | instskip(NEXT) | instid1(VALU_DEP_1)
	v_bfe_u32 v2, v2, 2, 5
	v_cmpx_eq_u32_e32 0, v2
	s_cbranch_execz .LBB4_2901
; %bb.2900:                             ;   in Loop: Header=BB4_2226 Depth=4
	v_clz_i32_u32_e32 v2, v5
	s_delay_alu instid0(VALU_DEP_1) | instskip(SKIP_1) | instid1(VALU_DEP_2)
	v_min_u32_e32 v2, 32, v2
	v_mov_b32_e32 v15, v3
	v_subrev_nc_u32_e32 v5, 29, v2
	v_sub_nc_u32_e32 v2, 30, v2
	s_delay_alu instid0(VALU_DEP_2) | instskip(NEXT) | instid1(VALU_DEP_1)
	v_lshlrev_b64_e32 v[16:17], v5, v[14:15]
	v_and_b32_e32 v5, 3, v16
.LBB4_2901:                             ;   in Loop: Header=BB4_2226 Depth=4
	s_or_b32 exec_lo, exec_lo, s74
	v_bfe_i32 v14, v14, 0, 16
	s_delay_alu instid0(VALU_DEP_1) | instskip(NEXT) | instid1(VALU_DEP_1)
	v_and_b32_e32 v14, 0x80000000, v14
	v_lshl_add_u32 v2, v2, 23, v14
                                        ; implicit-def: $vgpr14
	s_delay_alu instid0(VALU_DEP_1) | instskip(NEXT) | instid1(VALU_DEP_1)
	v_lshl_or_b32 v2, v5, 21, v2
                                        ; implicit-def: $vgpr5
	v_add_nc_u32_e32 v2, 0x38000000, v2
.LBB4_2902:                             ;   in Loop: Header=BB4_2226 Depth=4
	s_and_not1_saveexec_b32 s73, s73
; %bb.2903:                             ;   in Loop: Header=BB4_2226 Depth=4
	v_cmp_lt_i16_e32 vcc_lo, -1, v14
	v_cndmask_b32_e32 v2, 0xff800000, v112, vcc_lo
	v_cmp_eq_u32_e32 vcc_lo, 0, v5
	s_delay_alu instid0(VALU_DEP_2)
	v_cndmask_b32_e32 v2, 0x7f800001, v2, vcc_lo
; %bb.2904:                             ;   in Loop: Header=BB4_2226 Depth=4
	s_or_b32 exec_lo, exec_lo, s73
.LBB4_2905:                             ;   in Loop: Header=BB4_2226 Depth=4
	s_delay_alu instid0(SALU_CYCLE_1)
	s_or_b32 exec_lo, exec_lo, s72
.LBB4_2906:                             ;   in Loop: Header=BB4_2226 Depth=4
	s_delay_alu instid0(SALU_CYCLE_1) | instskip(NEXT) | instid1(VALU_DEP_1)
	s_or_b32 exec_lo, exec_lo, s13
	v_dual_mul_f32 v4, v4, v2 :: v_dual_mov_b32 v15, v3
                                        ; implicit-def: $vgpr5
	s_mov_b32 s13, exec_lo
	s_delay_alu instid0(VALU_DEP_1) | instskip(SKIP_1) | instid1(VALU_DEP_2)
	v_and_b32_e32 v14, 0x7f800000, v4
	v_and_b32_e32 v2, 0x7fffff, v4
	v_cmpx_ne_u64_e32 0x7f800000, v[14:15]
	s_xor_b32 s72, exec_lo, s13
	s_cbranch_execz .LBB4_2924
; %bb.2907:                             ;   in Loop: Header=BB4_2226 Depth=4
	v_dual_mov_b32 v15, v3 :: v_dual_lshrrev_b32 v5, 24, v4
	v_and_b32_e32 v14, 0x7fffffff, v4
	s_mov_b32 s13, exec_lo
	s_delay_alu instid0(VALU_DEP_2) | instskip(NEXT) | instid1(VALU_DEP_2)
	v_and_b32_e32 v16, 0x80, v5
                                        ; implicit-def: $vgpr5
	v_cmpx_gt_u64_e32 0x47600001, v[14:15]
	s_xor_b32 s73, exec_lo, s13
	s_cbranch_execz .LBB4_2921
; %bb.2908:                             ;   in Loop: Header=BB4_2226 Depth=4
	v_mov_b32_e32 v5, 0
	s_mov_b32 s74, exec_lo
	v_cmpx_ne_u32_e32 0, v4
	s_cbranch_execz .LBB4_2920
; %bb.2909:                             ;   in Loop: Header=BB4_2226 Depth=4
	v_bfe_u32 v17, v4, 23, 8
	v_or_b32_e32 v14, 0x800000, v2
	s_delay_alu instid0(VALU_DEP_2) | instskip(SKIP_1) | instid1(VALU_DEP_2)
	v_sub_nc_u32_e32 v4, 0x71, v17
	v_cmp_gt_u32_e32 vcc_lo, 0x72, v17
	v_cndmask_b32_e32 v4, 0, v4, vcc_lo
	v_cmp_eq_u32_e32 vcc_lo, 0, v17
	s_delay_alu instid0(VALU_DEP_2) | instskip(NEXT) | instid1(VALU_DEP_1)
	v_cndmask_b32_e64 v19, v4, 0x70, vcc_lo
	v_dual_cndmask_b32 v2, v14, v2, vcc_lo :: v_dual_add_nc_u32 v4, 21, v19
	v_add_nc_u32_e32 v15, 20, v19
	s_delay_alu instid0(VALU_DEP_2) | instskip(NEXT) | instid1(VALU_DEP_2)
	v_lshlrev_b64_e64 v[4:5], v4, -1
	v_lshlrev_b64_e64 v[14:15], v15, 1
	s_delay_alu instid0(VALU_DEP_2) | instskip(NEXT) | instid1(VALU_DEP_3)
	v_bfi_b32 v21, v5, 0, 0
	v_bfi_b32 v20, v4, 0, v2
	v_lshrrev_b64 v[4:5], v19, v[2:3]
	s_delay_alu instid0(VALU_DEP_2) | instskip(NEXT) | instid1(VALU_DEP_2)
	v_cmp_eq_u64_e64 s13, v[20:21], v[14:15]
	v_mov_b64_e32 v[14:15], v[4:5]
	s_and_saveexec_b32 s75, s13
; %bb.2910:                             ;   in Loop: Header=BB4_2226 Depth=4
	v_bfe_u32 v2, v4, 21, 1
	s_delay_alu instid0(VALU_DEP_1) | instskip(NEXT) | instid1(VALU_DEP_1)
	v_add_nc_u64_e32 v[14:15], v[4:5], v[2:3]
	v_add_nc_u64_e32 v[14:15], -1, v[14:15]
; %bb.2911:                             ;   in Loop: Header=BB4_2226 Depth=4
	s_or_b32 exec_lo, exec_lo, s75
	v_add_nc_u32_e32 v2, 0xffffff81, v17
	v_lshrrev_b32_e32 v5, 23, v4
	s_mov_b32 s13, exec_lo
	s_delay_alu instid0(VALU_DEP_2) | instskip(NEXT) | instid1(VALU_DEP_1)
	v_cndmask_b32_e64 v2, v2, 0xffffff82, vcc_lo
	v_add3_u32 v15, v19, v2, v5
	v_and_b32_e32 v2, 0x1fffff, v14
                                        ; implicit-def: $vgpr14
	s_delay_alu instid0(VALU_DEP_1) | instskip(NEXT) | instid1(VALU_DEP_1)
	v_dual_add_nc_u32 v17, 14, v15 :: v_dual_add_nc_u32 v2, v2, v4
                                        ; implicit-def: $vgpr4_vgpr5
	v_cmpx_ne_u32_e32 0, v17
	s_xor_b32 s13, exec_lo, s13
; %bb.2912:                             ;   in Loop: Header=BB4_2226 Depth=4
	s_delay_alu instid0(VALU_DEP_2) | instskip(SKIP_1) | instid1(VALU_DEP_1)
	v_cmp_lt_u64_e32 vcc_lo, 0xffffff, v[2:3]
	v_add_nc_u32_e32 v4, 15, v15
	v_cndmask_b32_e32 v14, v17, v4, vcc_lo
	v_cndmask_b32_e64 v4, 0, 1, vcc_lo
	s_delay_alu instid0(VALU_DEP_1)
	v_lshrrev_b64 v[4:5], v4, v[2:3]
; %bb.2913:                             ;   in Loop: Header=BB4_2226 Depth=4
	s_and_not1_saveexec_b32 s13, s13
; %bb.2914:                             ;   in Loop: Header=BB4_2226 Depth=4
	v_mov_b64_e32 v[4:5], v[2:3]
	v_bfe_u32 v14, v2, 23, 1
; %bb.2915:                             ;   in Loop: Header=BB4_2226 Depth=4
	s_or_b32 exec_lo, exec_lo, s13
	s_delay_alu instid0(VALU_DEP_2) | instskip(NEXT) | instid1(VALU_DEP_2)
	v_lshrrev_b64 v[4:5], 21, v[4:5]
	v_cmp_gt_i32_e32 vcc_lo, 32, v14
	v_cmp_ne_u32_e64 s13, 0, v14
	s_delay_alu instid0(VALU_DEP_3) | instskip(NEXT) | instid1(VALU_DEP_1)
	v_dual_cndmask_b32 v5, 0, v5 :: v_dual_cndmask_b32 v4, 3, v4
	v_cmp_ne_u64_e32 vcc_lo, 0, v[4:5]
                                        ; implicit-def: $vgpr5
	s_or_b32 s13, s13, vcc_lo
	s_delay_alu instid0(SALU_CYCLE_1) | instskip(NEXT) | instid1(SALU_CYCLE_1)
	s_and_saveexec_b32 s75, s13
	s_xor_b32 s13, exec_lo, s75
; %bb.2916:                             ;   in Loop: Header=BB4_2226 Depth=4
	v_min_i32_e32 v2, 31, v14
	s_delay_alu instid0(VALU_DEP_1) | instskip(NEXT) | instid1(VALU_DEP_1)
	v_lshl_or_b32 v2, v2, 2, v16
                                        ; implicit-def: $vgpr16
	v_and_or_b32 v5, v4, 3, v2
; %bb.2917:                             ;   in Loop: Header=BB4_2226 Depth=4
	s_and_not1_saveexec_b32 s13, s13
; %bb.2918:                             ;   in Loop: Header=BB4_2226 Depth=4
	v_mov_b32_e32 v5, v16
; %bb.2919:                             ;   in Loop: Header=BB4_2226 Depth=4
	s_or_b32 exec_lo, exec_lo, s13
.LBB4_2920:                             ;   in Loop: Header=BB4_2226 Depth=4
	s_delay_alu instid0(SALU_CYCLE_1)
	s_or_b32 exec_lo, exec_lo, s74
                                        ; implicit-def: $vgpr16
.LBB4_2921:                             ;   in Loop: Header=BB4_2226 Depth=4
	s_and_not1_saveexec_b32 s13, s73
; %bb.2922:                             ;   in Loop: Header=BB4_2226 Depth=4
	v_or_b32_e32 v5, 0x7b, v16
; %bb.2923:                             ;   in Loop: Header=BB4_2226 Depth=4
	s_or_b32 exec_lo, exec_lo, s13
                                        ; implicit-def: $vgpr4
.LBB4_2924:                             ;   in Loop: Header=BB4_2226 Depth=4
	s_and_not1_saveexec_b32 s13, s72
	s_cbranch_execz .LBB4_2225
; %bb.2925:                             ;   in Loop: Header=BB4_2226 Depth=4
	s_mov_b32 s72, exec_lo
                                        ; implicit-def: $vgpr5
	v_cmpx_ne_u64_e32 0, v[2:3]
	s_xor_b32 s72, exec_lo, s72
; %bb.2926:                             ;   in Loop: Header=BB4_2226 Depth=4
	v_lshrrev_b32_e32 v2, 24, v4
                                        ; implicit-def: $vgpr4
	s_delay_alu instid0(VALU_DEP_1)
	v_or_b32_e32 v5, 0x7f, v2
; %bb.2927:                             ;   in Loop: Header=BB4_2226 Depth=4
	s_and_not1_saveexec_b32 s72, s72
	s_cbranch_execz .LBB4_2224
; %bb.2928:                             ;   in Loop: Header=BB4_2226 Depth=4
	v_cmp_lt_i32_e32 vcc_lo, -1, v4
	v_cndmask_b32_e64 v5, -4, 0x7c, vcc_lo
	s_branch .LBB4_2224
.LBB4_2929:                             ;   in Loop: Header=BB4_274 Depth=3
	s_or_b32 exec_lo, exec_lo, s63
	v_mov_b64_e32 v[60:61], 0
	v_add_nc_u64_e32 v[62:63], 0x200, v[86:87]
.LBB4_2930:                             ;   in Loop: Header=BB4_274 Depth=3
	s_or_b32 exec_lo, exec_lo, s62
	v_lshlrev_b32_e32 v2, 9, v100
	s_delay_alu instid0(VALU_DEP_1)
	v_cmp_ne_u32_e32 vcc_lo, v124, v2
	s_and_b32 exec_lo, exec_lo, vcc_lo
	s_cbranch_execz .LBB4_2978
; %bb.2931:                             ;   in Loop: Header=BB4_274 Depth=3
	v_dual_add_nc_u32 v4, v125, v103 :: v_dual_lshlrev_b32 v5, 5, v102
	s_delay_alu instid0(VALU_DEP_1) | instskip(NEXT) | instid1(VALU_DEP_1)
	v_and_b32_e32 v4, 0xffffffe0, v4
	v_sub_nc_u32_e32 v4, v125, v4
	s_delay_alu instid0(VALU_DEP_1) | instskip(NEXT) | instid1(VALU_DEP_1)
	v_sub_nc_u32_e32 v4, v4, v5
	v_add_nc_u32_e32 v2, v2, v4
	s_delay_alu instid0(VALU_DEP_1) | instskip(NEXT) | instid1(VALU_DEP_1)
	v_sub_nc_u32_e32 v16, v124, v2
	v_cmp_lt_i32_e32 vcc_lo, 0, v16
	s_and_b32 exec_lo, exec_lo, vcc_lo
	s_cbranch_execz .LBB4_2978
; %bb.2932:                             ;   in Loop: Header=BB4_274 Depth=3
	s_trap 2
	ds_load_b128 v[8:11], v0
	ds_load_b64 v[12:13], v0
	v_add_nc_u32_e32 v14, v2, v43
	s_mov_b32 s62, 0
	s_delay_alu instid0(VALU_DEP_1) | instskip(SKIP_1) | instid1(VALU_DEP_1)
	v_ashrrev_i32_e32 v15, 31, v14
	s_wait_dscnt 0x1
	v_add_nc_u64_e32 v[4:5], v[8:9], v[14:15]
	v_add_nc_u64_e32 v[8:9], v[10:11], v[14:15]
	s_wait_dscnt 0x0
	v_add_nc_u64_e32 v[10:11], v[12:13], v[14:15]
	s_branch .LBB4_2935
.LBB4_2933:                             ;   in Loop: Header=BB4_2935 Depth=4
	s_or_b32 exec_lo, exec_lo, s63
.LBB4_2934:                             ;   in Loop: Header=BB4_2935 Depth=4
	s_delay_alu instid0(SALU_CYCLE_1)
	s_or_b32 exec_lo, exec_lo, s13
	v_sub_nc_u32_e32 v16, v16, v54
	flat_store_b8 v[10:11], v13 th:TH_STORE_NT
	v_add_nc_u64_e32 v[4:5], v[4:5], v[54:55]
	v_add_nc_u64_e32 v[8:9], v[8:9], v[54:55]
	s_wait_xcnt 0x0
	v_add_nc_u64_e32 v[10:11], v[10:11], v[54:55]
	v_cmp_gt_i32_e32 vcc_lo, 1, v16
	s_or_b32 s62, vcc_lo, s62
	s_delay_alu instid0(SALU_CYCLE_1)
	s_and_not1_b32 exec_lo, exec_lo, s62
	s_cbranch_execz .LBB4_2978
.LBB4_2935:                             ;   Parent Loop BB4_47 Depth=1
                                        ;     Parent Loop BB4_271 Depth=2
                                        ;       Parent Loop BB4_274 Depth=3
                                        ; =>      This Inner Loop Header: Depth=4
	flat_load_i8 v2, v[4:5] th:TH_LOAD_NT
	flat_load_i8 v12, v[8:9] th:TH_LOAD_NT
	v_dual_mov_b32 v13, 0 :: v_dual_mov_b32 v14, 0
	s_mov_b32 s13, exec_lo
	s_wait_loadcnt_dscnt 0x101
	s_wait_xcnt 0x0
	v_cmpx_ne_u16_e32 0, v2
	s_cbranch_execz .LBB4_2945
; %bb.2936:                             ;   in Loop: Header=BB4_2935 Depth=4
	v_bfrev_b32_e32 v14, 1
	s_mov_b32 s63, exec_lo
	v_cmpx_ne_u16_e32 0xff80, v2
	s_cbranch_execz .LBB4_2944
; %bb.2937:                             ;   in Loop: Header=BB4_2935 Depth=4
	v_and_b32_e32 v14, 0x7c, v2
	v_and_b32_e32 v15, 3, v2
	s_delay_alu instid0(VALU_DEP_2) | instskip(SKIP_1) | instid1(SALU_CYCLE_1)
	v_cmp_ne_u32_e32 vcc_lo, 0x7c, v14
                                        ; implicit-def: $vgpr14
	s_and_saveexec_b32 s72, vcc_lo
	s_xor_b32 s72, exec_lo, s72
	s_cbranch_execz .LBB4_2941
; %bb.2938:                             ;   in Loop: Header=BB4_2935 Depth=4
	v_and_b32_e32 v14, 0xff, v2
	s_mov_b32 s73, exec_lo
	s_delay_alu instid0(VALU_DEP_1) | instskip(NEXT) | instid1(VALU_DEP_1)
	v_bfe_u32 v14, v14, 2, 5
	v_cmpx_eq_u32_e32 0, v14
; %bb.2939:                             ;   in Loop: Header=BB4_2935 Depth=4
	v_clz_i32_u32_e32 v14, v15
	s_delay_alu instid0(VALU_DEP_1) | instskip(NEXT) | instid1(VALU_DEP_1)
	v_min_u32_e32 v14, 32, v14
	v_subrev_nc_u32_e32 v15, 29, v14
	v_sub_nc_u32_e32 v14, 30, v14
	s_delay_alu instid0(VALU_DEP_2) | instskip(NEXT) | instid1(VALU_DEP_1)
	v_lshlrev_b64_e32 v[18:19], v15, v[2:3]
	v_and_b32_e32 v15, 3, v18
; %bb.2940:                             ;   in Loop: Header=BB4_2935 Depth=4
	s_or_b32 exec_lo, exec_lo, s73
	v_bfe_i32 v2, v2, 0, 16
	s_delay_alu instid0(VALU_DEP_1) | instskip(NEXT) | instid1(VALU_DEP_1)
	v_and_b32_e32 v2, 0x80000000, v2
	v_lshl_add_u32 v2, v14, 23, v2
	s_delay_alu instid0(VALU_DEP_1) | instskip(NEXT) | instid1(VALU_DEP_1)
	v_lshl_or_b32 v2, v15, 21, v2
                                        ; implicit-def: $vgpr15
	v_add_nc_u32_e32 v14, 0x38000000, v2
.LBB4_2941:                             ;   in Loop: Header=BB4_2935 Depth=4
	s_and_not1_saveexec_b32 s72, s72
; %bb.2942:                             ;   in Loop: Header=BB4_2935 Depth=4
	v_cmp_lt_i16_e32 vcc_lo, -1, v2
	v_cndmask_b32_e32 v2, 0xff800000, v112, vcc_lo
	v_cmp_eq_u32_e32 vcc_lo, 0, v15
	s_delay_alu instid0(VALU_DEP_2)
	v_cndmask_b32_e32 v14, 0x7f800001, v2, vcc_lo
; %bb.2943:                             ;   in Loop: Header=BB4_2935 Depth=4
	s_or_b32 exec_lo, exec_lo, s72
.LBB4_2944:                             ;   in Loop: Header=BB4_2935 Depth=4
	s_delay_alu instid0(SALU_CYCLE_1)
	s_or_b32 exec_lo, exec_lo, s63
.LBB4_2945:                             ;   in Loop: Header=BB4_2935 Depth=4
	s_delay_alu instid0(SALU_CYCLE_1) | instskip(NEXT) | instid1(SALU_CYCLE_1)
	s_or_b32 exec_lo, exec_lo, s13
	s_mov_b32 s13, exec_lo
	s_wait_loadcnt_dscnt 0x0
	v_cmpx_ne_u16_e32 0, v12
	s_cbranch_execz .LBB4_2955
; %bb.2946:                             ;   in Loop: Header=BB4_2935 Depth=4
	v_bfrev_b32_e32 v13, 1
	s_mov_b32 s63, exec_lo
	v_cmpx_ne_u16_e32 0xff80, v12
	s_cbranch_execz .LBB4_2954
; %bb.2947:                             ;   in Loop: Header=BB4_2935 Depth=4
	v_and_b32_e32 v13, 0x7c, v12
	v_and_b32_e32 v2, 3, v12
	s_delay_alu instid0(VALU_DEP_2) | instskip(SKIP_1) | instid1(SALU_CYCLE_1)
	v_cmp_ne_u32_e32 vcc_lo, 0x7c, v13
                                        ; implicit-def: $vgpr13
	s_and_saveexec_b32 s72, vcc_lo
	s_xor_b32 s72, exec_lo, s72
	s_cbranch_execz .LBB4_2951
; %bb.2948:                             ;   in Loop: Header=BB4_2935 Depth=4
	v_and_b32_e32 v13, 0xff, v12
	s_mov_b32 s73, exec_lo
	s_delay_alu instid0(VALU_DEP_1) | instskip(NEXT) | instid1(VALU_DEP_1)
	v_bfe_u32 v13, v13, 2, 5
	v_cmpx_eq_u32_e32 0, v13
	s_cbranch_execz .LBB4_2950
; %bb.2949:                             ;   in Loop: Header=BB4_2935 Depth=4
	v_clz_i32_u32_e32 v2, v2
	v_mov_b32_e32 v13, v3
	s_delay_alu instid0(VALU_DEP_2) | instskip(NEXT) | instid1(VALU_DEP_1)
	v_min_u32_e32 v2, 32, v2
	v_subrev_nc_u32_e32 v15, 29, v2
	s_delay_alu instid0(VALU_DEP_1) | instskip(SKIP_1) | instid1(VALU_DEP_2)
	v_lshlrev_b64_e32 v[18:19], v15, v[12:13]
	v_sub_nc_u32_e32 v13, 30, v2
	v_and_b32_e32 v2, 3, v18
.LBB4_2950:                             ;   in Loop: Header=BB4_2935 Depth=4
	s_or_b32 exec_lo, exec_lo, s73
	v_bfe_i32 v12, v12, 0, 16
	s_delay_alu instid0(VALU_DEP_1) | instskip(NEXT) | instid1(VALU_DEP_1)
	v_and_b32_e32 v12, 0x80000000, v12
	v_lshl_add_u32 v12, v13, 23, v12
	s_delay_alu instid0(VALU_DEP_1) | instskip(NEXT) | instid1(VALU_DEP_1)
	v_lshl_or_b32 v2, v2, 21, v12
                                        ; implicit-def: $vgpr12
	v_add_nc_u32_e32 v13, 0x38000000, v2
                                        ; implicit-def: $vgpr2
.LBB4_2951:                             ;   in Loop: Header=BB4_2935 Depth=4
	s_and_not1_saveexec_b32 s72, s72
; %bb.2952:                             ;   in Loop: Header=BB4_2935 Depth=4
	v_cmp_lt_i16_e32 vcc_lo, -1, v12
	v_cndmask_b32_e32 v12, 0xff800000, v112, vcc_lo
	v_cmp_eq_u32_e32 vcc_lo, 0, v2
	s_delay_alu instid0(VALU_DEP_2)
	v_cndmask_b32_e32 v13, 0x7f800001, v12, vcc_lo
; %bb.2953:                             ;   in Loop: Header=BB4_2935 Depth=4
	s_or_b32 exec_lo, exec_lo, s72
.LBB4_2954:                             ;   in Loop: Header=BB4_2935 Depth=4
	s_delay_alu instid0(SALU_CYCLE_1)
	s_or_b32 exec_lo, exec_lo, s63
.LBB4_2955:                             ;   in Loop: Header=BB4_2935 Depth=4
	s_delay_alu instid0(SALU_CYCLE_1) | instskip(NEXT) | instid1(VALU_DEP_1)
	s_or_b32 exec_lo, exec_lo, s13
	v_dual_mul_f32 v12, v14, v13 :: v_dual_mov_b32 v15, v3
                                        ; implicit-def: $vgpr13
	s_mov_b32 s13, exec_lo
	s_delay_alu instid0(VALU_DEP_1) | instskip(SKIP_1) | instid1(VALU_DEP_2)
	v_and_b32_e32 v14, 0x7f800000, v12
	v_and_b32_e32 v2, 0x7fffff, v12
	v_cmpx_ne_u64_e32 0x7f800000, v[14:15]
	s_xor_b32 s63, exec_lo, s13
	s_cbranch_execz .LBB4_2973
; %bb.2956:                             ;   in Loop: Header=BB4_2935 Depth=4
	v_dual_mov_b32 v15, v3 :: v_dual_lshrrev_b32 v13, 24, v12
	v_and_b32_e32 v14, 0x7fffffff, v12
	s_mov_b32 s13, exec_lo
	s_delay_alu instid0(VALU_DEP_2) | instskip(NEXT) | instid1(VALU_DEP_2)
	v_and_b32_e32 v17, 0x80, v13
                                        ; implicit-def: $vgpr13
	v_cmpx_gt_u64_e32 0x47600001, v[14:15]
	s_xor_b32 s72, exec_lo, s13
	s_cbranch_execz .LBB4_2970
; %bb.2957:                             ;   in Loop: Header=BB4_2935 Depth=4
	v_mov_b32_e32 v13, 0
	s_mov_b32 s73, exec_lo
	v_cmpx_ne_u32_e32 0, v12
	s_cbranch_execz .LBB4_2969
; %bb.2958:                             ;   in Loop: Header=BB4_2935 Depth=4
	v_bfe_u32 v18, v12, 23, 8
	v_or_b32_e32 v14, 0x800000, v2
	s_delay_alu instid0(VALU_DEP_2) | instskip(SKIP_1) | instid1(VALU_DEP_2)
	v_sub_nc_u32_e32 v12, 0x71, v18
	v_cmp_gt_u32_e32 vcc_lo, 0x72, v18
	v_cndmask_b32_e32 v12, 0, v12, vcc_lo
	v_cmp_eq_u32_e32 vcc_lo, 0, v18
	s_delay_alu instid0(VALU_DEP_2) | instskip(NEXT) | instid1(VALU_DEP_1)
	v_cndmask_b32_e64 v19, v12, 0x70, vcc_lo
	v_dual_cndmask_b32 v2, v14, v2, vcc_lo :: v_dual_add_nc_u32 v12, 21, v19
	v_add_nc_u32_e32 v15, 20, v19
	s_delay_alu instid0(VALU_DEP_2) | instskip(NEXT) | instid1(VALU_DEP_2)
	v_lshlrev_b64_e64 v[12:13], v12, -1
	v_lshlrev_b64_e64 v[14:15], v15, 1
	s_delay_alu instid0(VALU_DEP_2) | instskip(NEXT) | instid1(VALU_DEP_3)
	v_bfi_b32 v21, v13, 0, 0
	v_bfi_b32 v20, v12, 0, v2
	v_lshrrev_b64 v[12:13], v19, v[2:3]
	s_delay_alu instid0(VALU_DEP_2) | instskip(NEXT) | instid1(VALU_DEP_2)
	v_cmp_eq_u64_e64 s13, v[20:21], v[14:15]
	v_mov_b64_e32 v[14:15], v[12:13]
	s_and_saveexec_b32 s74, s13
; %bb.2959:                             ;   in Loop: Header=BB4_2935 Depth=4
	v_bfe_u32 v2, v12, 21, 1
	s_delay_alu instid0(VALU_DEP_1) | instskip(NEXT) | instid1(VALU_DEP_1)
	v_add_nc_u64_e32 v[14:15], v[12:13], v[2:3]
	v_add_nc_u64_e32 v[14:15], -1, v[14:15]
; %bb.2960:                             ;   in Loop: Header=BB4_2935 Depth=4
	s_or_b32 exec_lo, exec_lo, s74
	v_add_nc_u32_e32 v2, 0xffffff81, v18
	v_lshrrev_b32_e32 v13, 23, v12
	s_mov_b32 s13, exec_lo
	s_delay_alu instid0(VALU_DEP_2) | instskip(NEXT) | instid1(VALU_DEP_1)
	v_cndmask_b32_e64 v2, v2, 0xffffff82, vcc_lo
	v_add3_u32 v15, v19, v2, v13
	v_and_b32_e32 v2, 0x1fffff, v14
                                        ; implicit-def: $vgpr14
	s_delay_alu instid0(VALU_DEP_1) | instskip(NEXT) | instid1(VALU_DEP_1)
	v_dual_add_nc_u32 v18, 14, v15 :: v_dual_add_nc_u32 v2, v2, v12
                                        ; implicit-def: $vgpr12_vgpr13
	v_cmpx_ne_u32_e32 0, v18
	s_xor_b32 s13, exec_lo, s13
; %bb.2961:                             ;   in Loop: Header=BB4_2935 Depth=4
	s_delay_alu instid0(VALU_DEP_2) | instskip(SKIP_1) | instid1(VALU_DEP_1)
	v_cmp_lt_u64_e32 vcc_lo, 0xffffff, v[2:3]
	v_add_nc_u32_e32 v12, 15, v15
	v_cndmask_b32_e32 v14, v18, v12, vcc_lo
	v_cndmask_b32_e64 v12, 0, 1, vcc_lo
	s_delay_alu instid0(VALU_DEP_1)
	v_lshrrev_b64 v[12:13], v12, v[2:3]
; %bb.2962:                             ;   in Loop: Header=BB4_2935 Depth=4
	s_and_not1_saveexec_b32 s13, s13
; %bb.2963:                             ;   in Loop: Header=BB4_2935 Depth=4
	v_mov_b64_e32 v[12:13], v[2:3]
	v_bfe_u32 v14, v2, 23, 1
; %bb.2964:                             ;   in Loop: Header=BB4_2935 Depth=4
	s_or_b32 exec_lo, exec_lo, s13
	s_delay_alu instid0(VALU_DEP_2) | instskip(NEXT) | instid1(VALU_DEP_2)
	v_lshrrev_b64 v[12:13], 21, v[12:13]
	v_cmp_gt_i32_e32 vcc_lo, 32, v14
	v_cmp_ne_u32_e64 s13, 0, v14
	s_delay_alu instid0(VALU_DEP_3) | instskip(NEXT) | instid1(VALU_DEP_1)
	v_dual_cndmask_b32 v13, 0, v13 :: v_dual_cndmask_b32 v12, 3, v12
	v_cmp_ne_u64_e32 vcc_lo, 0, v[12:13]
                                        ; implicit-def: $vgpr13
	s_or_b32 s13, s13, vcc_lo
	s_delay_alu instid0(SALU_CYCLE_1) | instskip(NEXT) | instid1(SALU_CYCLE_1)
	s_and_saveexec_b32 s74, s13
	s_xor_b32 s13, exec_lo, s74
; %bb.2965:                             ;   in Loop: Header=BB4_2935 Depth=4
	v_min_i32_e32 v2, 31, v14
	s_delay_alu instid0(VALU_DEP_1) | instskip(NEXT) | instid1(VALU_DEP_1)
	v_lshl_or_b32 v2, v2, 2, v17
                                        ; implicit-def: $vgpr17
	v_and_or_b32 v13, v12, 3, v2
; %bb.2966:                             ;   in Loop: Header=BB4_2935 Depth=4
	s_and_not1_saveexec_b32 s13, s13
; %bb.2967:                             ;   in Loop: Header=BB4_2935 Depth=4
	v_mov_b32_e32 v13, v17
; %bb.2968:                             ;   in Loop: Header=BB4_2935 Depth=4
	s_or_b32 exec_lo, exec_lo, s13
.LBB4_2969:                             ;   in Loop: Header=BB4_2935 Depth=4
	s_delay_alu instid0(SALU_CYCLE_1)
	s_or_b32 exec_lo, exec_lo, s73
                                        ; implicit-def: $vgpr17
.LBB4_2970:                             ;   in Loop: Header=BB4_2935 Depth=4
	s_and_not1_saveexec_b32 s13, s72
; %bb.2971:                             ;   in Loop: Header=BB4_2935 Depth=4
	v_or_b32_e32 v13, 0x7b, v17
; %bb.2972:                             ;   in Loop: Header=BB4_2935 Depth=4
	s_or_b32 exec_lo, exec_lo, s13
                                        ; implicit-def: $vgpr12
.LBB4_2973:                             ;   in Loop: Header=BB4_2935 Depth=4
	s_and_not1_saveexec_b32 s13, s63
	s_cbranch_execz .LBB4_2934
; %bb.2974:                             ;   in Loop: Header=BB4_2935 Depth=4
	s_mov_b32 s63, exec_lo
                                        ; implicit-def: $vgpr13
	v_cmpx_ne_u64_e32 0, v[2:3]
	s_xor_b32 s63, exec_lo, s63
; %bb.2975:                             ;   in Loop: Header=BB4_2935 Depth=4
	v_lshrrev_b32_e32 v2, 24, v12
                                        ; implicit-def: $vgpr12
	s_delay_alu instid0(VALU_DEP_1)
	v_or_b32_e32 v13, 0x7f, v2
; %bb.2976:                             ;   in Loop: Header=BB4_2935 Depth=4
	s_and_not1_saveexec_b32 s63, s63
	s_cbranch_execz .LBB4_2933
; %bb.2977:                             ;   in Loop: Header=BB4_2935 Depth=4
	v_cmp_lt_i32_e32 vcc_lo, -1, v12
	v_cndmask_b32_e64 v13, -4, 0x7c, vcc_lo
	s_branch .LBB4_2933
.LBB4_2978:                             ;   in Loop: Header=BB4_274 Depth=3
	s_or_b32 exec_lo, exec_lo, s14
	v_cmp_lt_i32_e64 s13, 0, v41
	s_and_saveexec_b32 s14, s2
	s_cbranch_execz .LBB4_349
.LBB4_2979:                             ;   in Loop: Header=BB4_274 Depth=3
	s_and_saveexec_b32 s62, s3
	s_delay_alu instid0(SALU_CYCLE_1)
	s_xor_b32 s62, exec_lo, s62
	s_cbranch_execz .LBB4_2994
; %bb.2980:                             ;   in Loop: Header=BB4_274 Depth=3
	s_and_saveexec_b32 s63, s6
	s_cbranch_execz .LBB4_2993
; %bb.2981:                             ;   in Loop: Header=BB4_274 Depth=3
	s_mov_b32 s73, exec_lo
	s_mov_b32 s72, exec_lo
	v_mbcnt_lo_u32_b32 v2, s73, 0
	global_wb scope:SCOPE_DEV
	s_wait_storecnt 0x0
	s_wait_loadcnt_dscnt 0x0
	global_inv scope:SCOPE_DEV
	v_cmpx_eq_u32_e32 0, v2
	s_cbranch_execz .LBB4_2983
; %bb.2982:                             ;   in Loop: Header=BB4_274 Depth=3
	s_bcnt1_i32_b32 s73, s73
	s_delay_alu instid0(SALU_CYCLE_1)
	v_dual_mov_b32 v5, v3 :: v_dual_mov_b32 v4, s73
	s_wait_loadcnt 0x0
	ds_add_u64 v0, v[4:5]
	s_trap 2
.LBB4_2983:                             ;   in Loop: Header=BB4_274 Depth=3
	s_or_b32 exec_lo, exec_lo, s72
	s_trap 2
	ds_load_b64 v[4:5], v0
	s_wait_dscnt 0x0
	v_add_nc_u64_e32 v[48:49], v[48:49], v[52:53]
	s_mov_b32 s72, exec_lo
	s_delay_alu instid0(VALU_DEP_1)
	v_cmpx_lt_u64_e64 v[4:5], v[48:49]
	s_cbranch_execz .LBB4_2992
; %bb.2984:                             ;   in Loop: Header=BB4_274 Depth=3
	s_mov_b32 s73, 0
	s_mov_b32 s76, 0
                                        ; implicit-def: $sgpr74
                                        ; implicit-def: $sgpr75
	s_branch .LBB4_2986
.LBB4_2985:                             ;   in Loop: Header=BB4_2986 Depth=4
	s_or_b32 exec_lo, exec_lo, s78
	s_delay_alu instid0(SALU_CYCLE_1) | instskip(NEXT) | instid1(SALU_CYCLE_1)
	s_and_b32 s77, exec_lo, s79
	s_or_b32 s73, s77, s73
	s_and_not1_b32 s74, s74, exec_lo
	s_and_b32 s77, s75, exec_lo
	s_delay_alu instid0(SALU_CYCLE_1)
	s_or_b32 s74, s74, s77
	s_and_not1_b32 exec_lo, exec_lo, s73
	s_cbranch_execz .LBB4_2990
.LBB4_2986:                             ;   Parent Loop BB4_47 Depth=1
                                        ;     Parent Loop BB4_271 Depth=2
                                        ;       Parent Loop BB4_274 Depth=3
                                        ; =>      This Inner Loop Header: Depth=4
	s_add_co_i32 s76, s76, 1
	s_delay_alu instid0(SALU_CYCLE_1) | instskip(SKIP_1) | instid1(SALU_CYCLE_1)
	s_cmp_lg_u32 s76, 0x2710
	s_cselect_b32 s77, -1, 0
	s_and_b32 vcc_lo, exec_lo, s77
	s_cbranch_vccz .LBB4_2988
; %bb.2987:                             ;   in Loop: Header=BB4_2986 Depth=4
	s_mov_b32 s79, -1
	s_or_b32 s75, s75, exec_lo
	s_and_saveexec_b32 s78, s77
	s_cbranch_execz .LBB4_2985
	s_branch .LBB4_2989
.LBB4_2988:                             ;   in Loop: Header=BB4_2986 Depth=4
	s_trap 2
	ds_load_b64 v[4:5], v0
	s_and_not1_b32 s77, s77, exec_lo
	s_mov_b32 s76, 0
	s_wait_loadcnt_dscnt 0x0
	flat_load_b32 v2, v[4:5] scope:SCOPE_SYS
	s_wait_loadcnt_dscnt 0x0
	global_inv scope:SCOPE_SYS
	v_cmp_eq_u32_e32 vcc_lo, 0, v2
	s_and_b32 s78, vcc_lo, exec_lo
	s_delay_alu instid0(SALU_CYCLE_1)
	s_or_b32 s77, s77, s78
	s_mov_b32 s79, -1
	s_or_b32 s75, s75, exec_lo
	s_wait_xcnt 0x0
	s_and_saveexec_b32 s78, s77
	s_cbranch_execz .LBB4_2985
.LBB4_2989:                             ;   in Loop: Header=BB4_2986 Depth=4
	s_sleep 1
	s_trap 2
	ds_load_b64 v[4:5], v0
	s_wait_dscnt 0x0
	s_and_not1_b32 s75, s75, exec_lo
	v_cmp_ge_u64_e32 vcc_lo, v[4:5], v[48:49]
	s_or_not1_b32 s79, vcc_lo, exec_lo
	s_branch .LBB4_2985
.LBB4_2990:                             ;   in Loop: Header=BB4_274 Depth=3
	s_or_b32 exec_lo, exec_lo, s73
	s_and_saveexec_b32 s73, s74
	s_delay_alu instid0(SALU_CYCLE_1)
	s_xor_b32 s73, exec_lo, s73
	s_cbranch_execz .LBB4_2992
; %bb.2991:                             ;   in Loop: Header=BB4_274 Depth=3
	ds_store_b32 v0, v64
	s_trap 2
.LBB4_2992:                             ;   in Loop: Header=BB4_274 Depth=3
	s_or_b32 exec_lo, exec_lo, s72
	;;#ASMSTART
	s_wakeup
	;;#ASMEND
.LBB4_2993:                             ;   in Loop: Header=BB4_274 Depth=3
	s_or_b32 exec_lo, exec_lo, s63
.LBB4_2994:                             ;   in Loop: Header=BB4_274 Depth=3
	s_and_not1_saveexec_b32 s62, s62
	s_cbranch_execz .LBB4_2996
; %bb.2995:                             ;   in Loop: Header=BB4_274 Depth=3
	global_wb scope:SCOPE_DEV
	s_wait_storecnt 0x0
	s_wait_loadcnt_dscnt 0x0
	global_inv scope:SCOPE_DEV
	s_barrier_signal -1
	s_barrier_wait -1
.LBB4_2996:                             ;   in Loop: Header=BB4_274 Depth=3
	s_or_b32 exec_lo, exec_lo, s62
	s_delay_alu instid0(SALU_CYCLE_1) | instskip(SKIP_1) | instid1(SALU_CYCLE_1)
	s_or_b32 exec_lo, exec_lo, s14
                                        ; implicit-def: $vgpr2
	s_and_saveexec_b32 s14, s10
	s_xor_b32 s14, exec_lo, s14
	s_cbranch_execnz .LBB4_350
.LBB4_2997:                             ;   in Loop: Header=BB4_274 Depth=3
	s_and_not1_saveexec_b32 s13, s14
	s_cbranch_execz .LBB4_3016
.LBB4_2998:                             ;   in Loop: Header=BB4_274 Depth=3
	s_and_saveexec_b32 s14, s3
	s_delay_alu instid0(SALU_CYCLE_1)
	s_xor_b32 s14, exec_lo, s14
	s_cbranch_execz .LBB4_3013
; %bb.2999:                             ;   in Loop: Header=BB4_274 Depth=3
	s_and_saveexec_b32 s62, s6
	s_cbranch_execz .LBB4_3012
; %bb.3000:                             ;   in Loop: Header=BB4_274 Depth=3
	s_mov_b32 s72, exec_lo
	s_mov_b32 s63, exec_lo
	v_mbcnt_lo_u32_b32 v2, s72, 0
	;;#ASMSTART
	s_waitcnt lgkmcnt(0) vmcnt(0)
	;;#ASMEND
	s_delay_alu instid0(VALU_DEP_1)
	v_cmpx_eq_u32_e32 0, v2
	s_cbranch_execz .LBB4_3002
; %bb.3001:                             ;   in Loop: Header=BB4_274 Depth=3
	s_bcnt1_i32_b32 s72, s72
	s_delay_alu instid0(SALU_CYCLE_1)
	v_dual_mov_b32 v5, v3 :: v_dual_mov_b32 v4, s72
	s_wait_storecnt 0x0
	s_wait_loadcnt_dscnt 0x0
	ds_add_u64 v0, v[4:5]
	s_trap 2
.LBB4_3002:                             ;   in Loop: Header=BB4_274 Depth=3
	s_or_b32 exec_lo, exec_lo, s63
	s_trap 2
	ds_load_b64 v[4:5], v0
	s_wait_dscnt 0x0
	v_add_nc_u64_e32 v[48:49], v[48:49], v[52:53]
	s_mov_b32 s63, exec_lo
	s_delay_alu instid0(VALU_DEP_1)
	v_cmpx_lt_u64_e64 v[4:5], v[48:49]
	s_cbranch_execz .LBB4_3011
; %bb.3003:                             ;   in Loop: Header=BB4_274 Depth=3
	s_mov_b32 s72, 0
	s_mov_b32 s75, 0
                                        ; implicit-def: $sgpr73
                                        ; implicit-def: $sgpr74
	s_branch .LBB4_3005
.LBB4_3004:                             ;   in Loop: Header=BB4_3005 Depth=4
	s_or_b32 exec_lo, exec_lo, s77
	s_delay_alu instid0(SALU_CYCLE_1) | instskip(NEXT) | instid1(SALU_CYCLE_1)
	s_and_b32 s76, exec_lo, s78
	s_or_b32 s72, s76, s72
	s_and_not1_b32 s73, s73, exec_lo
	s_and_b32 s76, s74, exec_lo
	s_delay_alu instid0(SALU_CYCLE_1)
	s_or_b32 s73, s73, s76
	s_and_not1_b32 exec_lo, exec_lo, s72
	s_cbranch_execz .LBB4_3009
.LBB4_3005:                             ;   Parent Loop BB4_47 Depth=1
                                        ;     Parent Loop BB4_271 Depth=2
                                        ;       Parent Loop BB4_274 Depth=3
                                        ; =>      This Inner Loop Header: Depth=4
	s_add_co_i32 s75, s75, 1
	s_delay_alu instid0(SALU_CYCLE_1) | instskip(SKIP_1) | instid1(SALU_CYCLE_1)
	s_cmp_lg_u32 s75, 0x2710
	s_cselect_b32 s76, -1, 0
	s_and_b32 vcc_lo, exec_lo, s76
	s_cbranch_vccz .LBB4_3007
; %bb.3006:                             ;   in Loop: Header=BB4_3005 Depth=4
	s_mov_b32 s78, -1
	s_or_b32 s74, s74, exec_lo
	s_and_saveexec_b32 s77, s76
	s_cbranch_execz .LBB4_3004
	s_branch .LBB4_3008
.LBB4_3007:                             ;   in Loop: Header=BB4_3005 Depth=4
	s_trap 2
	ds_load_b64 v[4:5], v0
	s_and_not1_b32 s76, s76, exec_lo
	s_mov_b32 s75, 0
	s_wait_storecnt 0x0
	s_wait_loadcnt_dscnt 0x0
	flat_load_b32 v2, v[4:5] scope:SCOPE_SYS
	s_wait_loadcnt_dscnt 0x0
	global_inv scope:SCOPE_SYS
	v_cmp_eq_u32_e32 vcc_lo, 0, v2
	s_and_b32 s77, vcc_lo, exec_lo
	s_delay_alu instid0(SALU_CYCLE_1)
	s_or_b32 s76, s76, s77
	s_mov_b32 s78, -1
	s_or_b32 s74, s74, exec_lo
	s_wait_xcnt 0x0
	s_and_saveexec_b32 s77, s76
	s_cbranch_execz .LBB4_3004
.LBB4_3008:                             ;   in Loop: Header=BB4_3005 Depth=4
	s_sleep 1
	s_trap 2
	ds_load_b64 v[4:5], v0
	s_wait_dscnt 0x0
	s_and_not1_b32 s74, s74, exec_lo
	v_cmp_ge_u64_e32 vcc_lo, v[4:5], v[48:49]
	s_or_not1_b32 s78, vcc_lo, exec_lo
	s_branch .LBB4_3004
.LBB4_3009:                             ;   in Loop: Header=BB4_274 Depth=3
	s_or_b32 exec_lo, exec_lo, s72
	s_and_saveexec_b32 s72, s73
	s_delay_alu instid0(SALU_CYCLE_1)
	s_xor_b32 s72, exec_lo, s72
	s_cbranch_execz .LBB4_3011
; %bb.3010:                             ;   in Loop: Header=BB4_274 Depth=3
	ds_store_b32 v0, v64
	s_trap 2
.LBB4_3011:                             ;   in Loop: Header=BB4_274 Depth=3
	s_or_b32 exec_lo, exec_lo, s63
	;;#ASMSTART
	s_wakeup
	;;#ASMEND
.LBB4_3012:                             ;   in Loop: Header=BB4_274 Depth=3
	s_or_b32 exec_lo, exec_lo, s62
.LBB4_3013:                             ;   in Loop: Header=BB4_274 Depth=3
	s_and_not1_saveexec_b32 s14, s14
	s_cbranch_execz .LBB4_3015
; %bb.3014:                             ;   in Loop: Header=BB4_274 Depth=3
	;;#ASMSTART
	s_waitcnt lgkmcnt(0) vmcnt(0)
	;;#ASMEND
	s_barrier_signal -1
	s_barrier_wait -1
.LBB4_3015:                             ;   in Loop: Header=BB4_274 Depth=3
	s_or_b32 exec_lo, exec_lo, s14
	v_and_b32_e32 v2, 16, v126
.LBB4_3016:                             ;   in Loop: Header=BB4_274 Depth=3
	s_or_b32 exec_lo, exec_lo, s13
	s_delay_alu instid0(VALU_DEP_1) | instskip(SKIP_1) | instid1(SALU_CYCLE_1)
	v_cmp_ne_u32_e32 vcc_lo, 0, v2
	s_xor_b32 s13, s4, -1
	s_and_b32 s14, vcc_lo, s13
	s_delay_alu instid0(SALU_CYCLE_1)
	s_and_saveexec_b32 s13, s14
	s_cbranch_execz .LBB4_3018
; %bb.3017:                             ;   in Loop: Header=BB4_274 Depth=3
	global_wb scope:SCOPE_SYS
	s_wait_storecnt 0x0
	s_wait_loadcnt_dscnt 0x0
	flat_store_b32 v[38:39], v64 scope:SCOPE_SYS
.LBB4_3018:                             ;   in Loop: Header=BB4_274 Depth=3
	s_wait_xcnt 0x0
	s_or_b32 exec_lo, exec_lo, s13
	v_and_b32_e32 v2, 48, v126
	s_mov_b32 s13, exec_lo
	s_delay_alu instid0(VALU_DEP_1)
	v_cmpx_ne_u32_e32 0, v2
	s_cbranch_execz .LBB4_273
; %bb.3019:                             ;   in Loop: Header=BB4_274 Depth=3
	v_add_nc_u64_e32 v[114:115], 2, v[114:115]
	global_wb scope:SCOPE_SYS
	s_wait_storecnt 0x0
	s_wait_loadcnt_dscnt 0x0
	flat_store_b64 v[32:33], v[114:115] scope:SCOPE_SYS
	s_branch .LBB4_273
.LBB4_3020:                             ;   in Loop: Header=BB4_271 Depth=2
	s_or_b32 exec_lo, exec_lo, s29
.LBB4_3021:                             ;   in Loop: Header=BB4_271 Depth=2
	s_delay_alu instid0(SALU_CYCLE_1) | instskip(NEXT) | instid1(SALU_CYCLE_1)
	s_or_b32 exec_lo, exec_lo, s18
	s_mov_b32 s14, exec_lo
	v_cmpx_gt_i32_e32 2, v2
	s_cbranch_execz .LBB4_270
; %bb.3022:                             ;   in Loop: Header=BB4_271 Depth=2
	v_cmp_eq_u32_e64 s29, 0, v2
	s_mov_b32 s18, 0
	s_branch .LBB4_3024
.LBB4_3023:                             ;   in Loop: Header=BB4_3024 Depth=3
	s_wait_xcnt 0x0
	s_or_b32 exec_lo, exec_lo, s13
	v_add_nc_u32_e32 v42, v40, v42
	s_mov_b32 s29, 0
	s_and_not1_b32 exec_lo, exec_lo, s18
	s_cbranch_execz .LBB4_269
.LBB4_3024:                             ;   Parent Loop BB4_47 Depth=1
                                        ;     Parent Loop BB4_271 Depth=2
                                        ; =>    This Loop Header: Depth=3
                                        ;         Child Loop BB4_3030 Depth 4
                                        ;         Child Loop BB4_3058 Depth 4
	;; [unrolled: 1-line block ×3, first 2 shown]
	s_delay_alu instid0(VALU_DEP_1) | instskip(SKIP_2) | instid1(VALU_DEP_2)
	v_sub_nc_u32_e32 v2, v1, v42
	v_and_b32_e32 v4, 12, v126
	s_mov_b32 s42, exec_lo
	v_min_i32_e32 v40, v40, v2
	s_delay_alu instid0(VALU_DEP_2)
	v_cmpx_ne_u32_e32 0, v4
	s_cbranch_execz .LBB4_3050
; %bb.3025:                             ;   in Loop: Header=BB4_3024 Depth=3
	v_and_b32_e32 v2, 8, v126
	v_add_nc_u64_e32 v[4:5], 2, v[114:115]
	s_mov_b32 s43, exec_lo
	s_wait_loadcnt_dscnt 0x1
	s_delay_alu instid0(VALU_DEP_2) | instskip(NEXT) | instid1(VALU_DEP_1)
	v_add_nc_u64_e32 v[8:9], v[50:51], v[2:3]
	v_cmpx_lt_u64_e64 v[8:9], v[4:5]
	s_cbranch_execz .LBB4_3037
; %bb.3026:                             ;   in Loop: Header=BB4_3024 Depth=3
	v_and_b32_e32 v8, 64, v126
	s_mov_b32 s62, 0
	s_mov_b32 s74, 0
                                        ; implicit-def: $sgpr63
                                        ; implicit-def: $sgpr72
                                        ; implicit-def: $sgpr73
	s_delay_alu instid0(VALU_DEP_1)
	v_cmp_eq_u32_e32 vcc_lo, 0, v8
	s_branch .LBB4_3030
.LBB4_3027:                             ;   in Loop: Header=BB4_3030 Depth=4
	s_wait_loadcnt_dscnt 0x0
	v_add_nc_u64_e32 v[10:11], v[50:51], v[2:3]
	s_or_b32 s77, s77, exec_lo
	s_delay_alu instid0(VALU_DEP_1)
	v_cmp_ge_u64_e64 s13, v[10:11], v[4:5]
	s_or_not1_b32 s76, s13, exec_lo
.LBB4_3028:                             ;   in Loop: Header=BB4_3030 Depth=4
	s_or_b32 exec_lo, exec_lo, s79
	s_delay_alu instid0(SALU_CYCLE_1)
	s_and_not1_b32 s13, s73, exec_lo
	s_and_b32 s73, s77, exec_lo
	s_and_not1_b32 s72, s72, exec_lo
	s_and_b32 s76, s76, exec_lo
	s_or_b32 s73, s13, s73
	s_or_b32 s72, s72, s76
.LBB4_3029:                             ;   in Loop: Header=BB4_3030 Depth=4
	s_or_b32 exec_lo, exec_lo, s75
	s_delay_alu instid0(SALU_CYCLE_1) | instskip(NEXT) | instid1(SALU_CYCLE_1)
	s_and_b32 s13, exec_lo, s72
	s_or_b32 s62, s13, s62
	s_and_not1_b32 s13, s63, exec_lo
	s_and_b32 s63, s73, exec_lo
	s_delay_alu instid0(SALU_CYCLE_1)
	s_or_b32 s63, s13, s63
	s_and_not1_b32 exec_lo, exec_lo, s62
	s_cbranch_execz .LBB4_3034
.LBB4_3030:                             ;   Parent Loop BB4_47 Depth=1
                                        ;     Parent Loop BB4_271 Depth=2
                                        ;       Parent Loop BB4_3024 Depth=3
                                        ; =>      This Inner Loop Header: Depth=4
	s_sleep 1
	s_wait_loadcnt_dscnt 0x0
	flat_load_b64 v[50:51], v[32:33] scope:SCOPE_SYS
	s_or_b32 s73, s73, exec_lo
	s_or_b32 s72, s72, exec_lo
                                        ; implicit-def: $vgpr8
	s_wait_xcnt 0x0
	s_and_saveexec_b32 s75, vcc_lo
	s_cbranch_execz .LBB4_3029
; %bb.3031:                             ;   in Loop: Header=BB4_3030 Depth=4
	s_cmp_lt_i32 s74, 0x270f
	s_mov_b32 s76, -1
	s_cselect_b32 s78, -1, 0
	s_cmp_gt_i32 s74, 0x270e
	s_cbranch_scc0 .LBB4_3033
; %bb.3032:                             ;   in Loop: Header=BB4_3030 Depth=4
	s_trap 2
	ds_load_b64 v[8:9], v0
	s_and_not1_b32 s74, s78, exec_lo
	s_mov_b32 s77, 0
	s_wait_storecnt 0x0
	s_wait_loadcnt_dscnt 0x0
	flat_load_b32 v8, v[8:9] scope:SCOPE_SYS
	s_wait_loadcnt_dscnt 0x0
	global_inv scope:SCOPE_SYS
	v_cmp_eq_u32_e64 s13, 0, v8
	s_and_b32 s13, s13, exec_lo
	s_delay_alu instid0(SALU_CYCLE_1)
	s_or_b32 s78, s74, s13
	s_mov_b32 s74, 0
	s_wait_xcnt 0x0
	s_and_saveexec_b32 s79, s78
	s_cbranch_execz .LBB4_3028
	s_branch .LBB4_3027
.LBB4_3033:                             ;   in Loop: Header=BB4_3030 Depth=4
	s_add_co_i32 s74, s74, 1
	s_mov_b32 s77, -1
                                        ; implicit-def: $vgpr8
	s_and_saveexec_b32 s79, s78
	s_cbranch_execz .LBB4_3028
	s_branch .LBB4_3027
.LBB4_3034:                             ;   in Loop: Header=BB4_3024 Depth=3
	s_or_b32 exec_lo, exec_lo, s62
	s_xor_b32 s13, s63, -1
	s_delay_alu instid0(SALU_CYCLE_1) | instskip(NEXT) | instid1(SALU_CYCLE_1)
	s_and_saveexec_b32 s62, s13
	s_xor_b32 s13, exec_lo, s62
	s_cbranch_execz .LBB4_3036
; %bb.3035:                             ;   in Loop: Header=BB4_3024 Depth=3
	v_or_b32_e32 v126, 64, v126
	s_wait_storecnt 0x0
	s_wait_loadcnt_dscnt 0x0
	ds_store_b32 v0, v8
	s_trap 2
.LBB4_3036:                             ;   in Loop: Header=BB4_3024 Depth=3
	s_or_b32 exec_lo, exec_lo, s13
.LBB4_3037:                             ;   in Loop: Header=BB4_3024 Depth=3
	s_delay_alu instid0(SALU_CYCLE_1) | instskip(SKIP_2) | instid1(VALU_DEP_1)
	s_or_b32 exec_lo, exec_lo, s43
	v_and_b32_e32 v8, 0x108, v126
	;;#ASMSTART
	s_wakeup
	;;#ASMEND
	v_cmp_ne_u32_e32 vcc_lo, 0x108, v8
                                        ; implicit-def: $vgpr8_vgpr9
	s_and_saveexec_b32 s13, vcc_lo
	s_delay_alu instid0(SALU_CYCLE_1)
	s_xor_b32 s13, exec_lo, s13
; %bb.3038:                             ;   in Loop: Header=BB4_3024 Depth=3
	v_dual_mov_b32 v9, v3 :: v_dual_bitop2_b32 v8, 7, v114 bitop3:0x40
                                        ; implicit-def: $vgpr114_vgpr115
; %bb.3039:                             ;   in Loop: Header=BB4_3024 Depth=3
	s_and_not1_saveexec_b32 s13, s13
	s_cbranch_execz .LBB4_3041
; %bb.3040:                             ;   in Loop: Header=BB4_3024 Depth=3
	v_dual_ashrrev_i32 v41, 31, v40 :: v_dual_bitop2_b32 v8, 7, v114 bitop3:0x40
	v_mov_b32_e32 v9, v3
	s_delay_alu instid0(VALU_DEP_2)
	v_mad_nc_u64_u32 v[10:11], v8, 24, v[6:7]
	flat_store_b64 v[10:11], v[40:41] offset:8
.LBB4_3041:                             ;   in Loop: Header=BB4_3024 Depth=3
	s_wait_xcnt 0x0
	s_or_b32 exec_lo, exec_lo, s13
	v_and_b32_e32 v10, 0x100, v126
	s_mov_b32 s13, -1
	s_delay_alu instid0(VALU_DEP_1)
	v_cmp_ne_u32_e32 vcc_lo, 0, v10
                                        ; implicit-def: $vgpr10_vgpr11
	s_and_saveexec_b32 s43, vcc_lo
	s_cbranch_execz .LBB4_3045
; %bb.3042:                             ;   in Loop: Header=BB4_3024 Depth=3
	v_mad_nc_u64_u32 v[12:13], v8, 24, v[6:7]
	s_delay_alu instid0(VALU_DEP_1)
	v_mad_u32 v13, v9, 24, v13
	flat_load_b32 v10, v[12:13]
	s_wait_loadcnt_dscnt 0x0
	v_cmp_eq_u32_e64 s13, 1, v10
	v_cmp_ne_u32_e32 vcc_lo, 1, v10
                                        ; implicit-def: $vgpr10_vgpr11
	s_wait_xcnt 0x0
	s_and_saveexec_b32 s62, s13
	s_cbranch_execz .LBB4_3044
; %bb.3043:                             ;   in Loop: Header=BB4_3024 Depth=3
	flat_load_b32 v10, v[12:13] offset:4 scope:SCOPE_SYS
	s_wait_loadcnt_dscnt 0x0
	v_ashrrev_i32_e32 v11, 31, v10
.LBB4_3044:                             ;   in Loop: Header=BB4_3024 Depth=3
	s_wait_xcnt 0x0
	s_or_b32 exec_lo, exec_lo, s62
	s_delay_alu instid0(SALU_CYCLE_1)
	s_or_not1_b32 s13, vcc_lo, exec_lo
.LBB4_3045:                             ;   in Loop: Header=BB4_3024 Depth=3
	s_or_b32 exec_lo, exec_lo, s43
	s_and_saveexec_b32 s43, s13
; %bb.3046:                             ;   in Loop: Header=BB4_3024 Depth=3
	v_mul_u64_e32 v[10:11], v[8:9], v[34:35]
; %bb.3047:                             ;   in Loop: Header=BB4_3024 Depth=3
	s_or_b32 exec_lo, exec_lo, s43
	v_cmp_eq_u32_e32 vcc_lo, 0, v2
	s_delay_alu instid0(VALU_DEP_2) | instskip(SKIP_3) | instid1(VALU_DEP_1)
	v_add_nc_u64_e32 v[8:9], v[36:37], v[10:11]
	v_and_b32_e32 v12, 0x2000, v126
	s_mov_b32 s13, exec_lo
	v_cndmask_b32_e32 v2, 0xc8, v65, vcc_lo
	v_add_nc_u32_e32 v2, v0, v2
	ds_store_b64 v2, v[8:9] offset:584
	v_cmpx_ne_u32_e32 0, v12
	s_cbranch_execz .LBB4_3049
; %bb.3048:                             ;   in Loop: Header=BB4_3024 Depth=3
	ds_load_b64 v[8:9], v0 offset:872
	s_wait_dscnt 0x0
	v_add_nc_u64_e32 v[8:9], 1, v[8:9]
	ds_store_b64 v0, v[8:9] offset:872
.LBB4_3049:                             ;   in Loop: Header=BB4_3024 Depth=3
	s_or_b32 exec_lo, exec_lo, s13
	v_mov_b64_e32 v[114:115], v[4:5]
.LBB4_3050:                             ;   in Loop: Header=BB4_3024 Depth=3
	s_or_b32 exec_lo, exec_lo, s42
	s_xor_b32 s13, s29, -1
	s_delay_alu instid0(SALU_CYCLE_1) | instskip(NEXT) | instid1(SALU_CYCLE_1)
	s_and_b32 s13, exec_lo, s13
	s_or_b32 s18, s13, s18
	s_and_saveexec_b32 s13, s2
	s_cbranch_execz .LBB4_3069
; %bb.3051:                             ;   in Loop: Header=BB4_3024 Depth=3
	s_and_saveexec_b32 s29, s3
	s_delay_alu instid0(SALU_CYCLE_1)
	s_xor_b32 s29, exec_lo, s29
	s_cbranch_execz .LBB4_3066
; %bb.3052:                             ;   in Loop: Header=BB4_3024 Depth=3
	s_and_saveexec_b32 s42, s6
	s_cbranch_execz .LBB4_3065
; %bb.3053:                             ;   in Loop: Header=BB4_3024 Depth=3
	s_mov_b32 s62, exec_lo
	s_mov_b32 s43, exec_lo
	v_mbcnt_lo_u32_b32 v2, s62, 0
	global_wb scope:SCOPE_DEV
	s_wait_storecnt 0x0
	s_wait_loadcnt_dscnt 0x0
	global_inv scope:SCOPE_DEV
	v_cmpx_eq_u32_e32 0, v2
	s_cbranch_execz .LBB4_3055
; %bb.3054:                             ;   in Loop: Header=BB4_3024 Depth=3
	s_bcnt1_i32_b32 s62, s62
	s_delay_alu instid0(SALU_CYCLE_1)
	v_dual_mov_b32 v5, v3 :: v_dual_mov_b32 v4, s62
	s_wait_loadcnt 0x0
	ds_add_u64 v0, v[4:5]
	s_trap 2
.LBB4_3055:                             ;   in Loop: Header=BB4_3024 Depth=3
	s_or_b32 exec_lo, exec_lo, s43
	s_trap 2
	ds_load_b64 v[4:5], v0
	s_wait_dscnt 0x0
	v_add_nc_u64_e32 v[48:49], v[48:49], v[52:53]
	s_mov_b32 s43, exec_lo
	s_delay_alu instid0(VALU_DEP_1)
	v_cmpx_lt_u64_e64 v[4:5], v[48:49]
	s_cbranch_execz .LBB4_3064
; %bb.3056:                             ;   in Loop: Header=BB4_3024 Depth=3
	s_mov_b32 s62, 0
	s_mov_b32 s73, 0
                                        ; implicit-def: $sgpr63
                                        ; implicit-def: $sgpr72
	s_branch .LBB4_3058
.LBB4_3057:                             ;   in Loop: Header=BB4_3058 Depth=4
	s_or_b32 exec_lo, exec_lo, s75
	s_delay_alu instid0(SALU_CYCLE_1) | instskip(NEXT) | instid1(SALU_CYCLE_1)
	s_and_b32 s74, exec_lo, s76
	s_or_b32 s62, s74, s62
	s_and_not1_b32 s63, s63, exec_lo
	s_and_b32 s74, s72, exec_lo
	s_delay_alu instid0(SALU_CYCLE_1)
	s_or_b32 s63, s63, s74
	s_and_not1_b32 exec_lo, exec_lo, s62
	s_cbranch_execz .LBB4_3062
.LBB4_3058:                             ;   Parent Loop BB4_47 Depth=1
                                        ;     Parent Loop BB4_271 Depth=2
                                        ;       Parent Loop BB4_3024 Depth=3
                                        ; =>      This Inner Loop Header: Depth=4
	s_add_co_i32 s73, s73, 1
	s_delay_alu instid0(SALU_CYCLE_1) | instskip(SKIP_1) | instid1(SALU_CYCLE_1)
	s_cmp_lg_u32 s73, 0x2710
	s_cselect_b32 s74, -1, 0
	s_and_b32 vcc_lo, exec_lo, s74
	s_cbranch_vccz .LBB4_3060
; %bb.3059:                             ;   in Loop: Header=BB4_3058 Depth=4
	s_mov_b32 s76, -1
	s_or_b32 s72, s72, exec_lo
	s_and_saveexec_b32 s75, s74
	s_cbranch_execz .LBB4_3057
	s_branch .LBB4_3061
.LBB4_3060:                             ;   in Loop: Header=BB4_3058 Depth=4
	s_trap 2
	ds_load_b64 v[4:5], v0
	s_and_not1_b32 s74, s74, exec_lo
	s_mov_b32 s73, 0
	s_wait_loadcnt_dscnt 0x0
	flat_load_b32 v2, v[4:5] scope:SCOPE_SYS
	s_wait_loadcnt_dscnt 0x0
	global_inv scope:SCOPE_SYS
	v_cmp_eq_u32_e32 vcc_lo, 0, v2
	s_and_b32 s75, vcc_lo, exec_lo
	s_delay_alu instid0(SALU_CYCLE_1)
	s_or_b32 s74, s74, s75
	s_mov_b32 s76, -1
	s_or_b32 s72, s72, exec_lo
	s_wait_xcnt 0x0
	s_and_saveexec_b32 s75, s74
	s_cbranch_execz .LBB4_3057
.LBB4_3061:                             ;   in Loop: Header=BB4_3058 Depth=4
	s_sleep 1
	s_trap 2
	ds_load_b64 v[4:5], v0
	s_wait_dscnt 0x0
	s_and_not1_b32 s72, s72, exec_lo
	v_cmp_ge_u64_e32 vcc_lo, v[4:5], v[48:49]
	s_or_not1_b32 s76, vcc_lo, exec_lo
	s_branch .LBB4_3057
.LBB4_3062:                             ;   in Loop: Header=BB4_3024 Depth=3
	s_or_b32 exec_lo, exec_lo, s62
	s_and_saveexec_b32 s62, s63
	s_delay_alu instid0(SALU_CYCLE_1)
	s_xor_b32 s62, exec_lo, s62
	s_cbranch_execz .LBB4_3064
; %bb.3063:                             ;   in Loop: Header=BB4_3024 Depth=3
	ds_store_b32 v0, v64
	s_trap 2
.LBB4_3064:                             ;   in Loop: Header=BB4_3024 Depth=3
	s_or_b32 exec_lo, exec_lo, s43
	;;#ASMSTART
	s_wakeup
	;;#ASMEND
.LBB4_3065:                             ;   in Loop: Header=BB4_3024 Depth=3
	s_or_b32 exec_lo, exec_lo, s42
.LBB4_3066:                             ;   in Loop: Header=BB4_3024 Depth=3
	s_and_not1_saveexec_b32 s29, s29
	s_cbranch_execz .LBB4_3068
; %bb.3067:                             ;   in Loop: Header=BB4_3024 Depth=3
	global_wb scope:SCOPE_DEV
	s_wait_storecnt 0x0
	s_wait_loadcnt_dscnt 0x0
	global_inv scope:SCOPE_DEV
	s_barrier_signal -1
	s_barrier_wait -1
.LBB4_3068:                             ;   in Loop: Header=BB4_3024 Depth=3
	s_or_b32 exec_lo, exec_lo, s29
.LBB4_3069:                             ;   in Loop: Header=BB4_3024 Depth=3
	s_delay_alu instid0(SALU_CYCLE_1) | instskip(SKIP_1) | instid1(SALU_CYCLE_1)
	s_or_b32 exec_lo, exec_lo, s13
                                        ; implicit-def: $vgpr2
	s_and_saveexec_b32 s13, s57
	s_xor_b32 s13, exec_lo, s13
	s_cbranch_execz .LBB4_3081
; %bb.3070:                             ;   in Loop: Header=BB4_3024 Depth=3
	s_and_saveexec_b32 s29, s3
	s_delay_alu instid0(SALU_CYCLE_1)
	s_xor_b32 s29, exec_lo, s29
	s_cbranch_execz .LBB4_3086
; %bb.3071:                             ;   in Loop: Header=BB4_3024 Depth=3
	s_and_saveexec_b32 s42, s6
	s_cbranch_execz .LBB4_3085
; %bb.3072:                             ;   in Loop: Header=BB4_3024 Depth=3
	s_mov_b32 s62, exec_lo
	s_mov_b32 s43, exec_lo
	v_mbcnt_lo_u32_b32 v2, s62, 0
	;;#ASMSTART
	s_waitcnt lgkmcnt(0) vmcnt(0)
	;;#ASMEND
	s_delay_alu instid0(VALU_DEP_1)
	v_cmpx_eq_u32_e32 0, v2
	s_cbranch_execz .LBB4_3074
; %bb.3073:                             ;   in Loop: Header=BB4_3024 Depth=3
	s_bcnt1_i32_b32 s62, s62
	s_delay_alu instid0(SALU_CYCLE_1)
	v_dual_mov_b32 v5, v3 :: v_dual_mov_b32 v4, s62
	s_wait_storecnt 0x0
	s_wait_loadcnt_dscnt 0x0
	ds_add_u64 v0, v[4:5]
	s_trap 2
.LBB4_3074:                             ;   in Loop: Header=BB4_3024 Depth=3
	s_or_b32 exec_lo, exec_lo, s43
	s_trap 2
	ds_load_b64 v[4:5], v0
	s_wait_dscnt 0x0
	v_add_nc_u64_e32 v[48:49], v[48:49], v[52:53]
	s_mov_b32 s43, exec_lo
	s_delay_alu instid0(VALU_DEP_1)
	v_cmpx_lt_u64_e64 v[4:5], v[48:49]
	s_cbranch_execz .LBB4_3084
; %bb.3075:                             ;   in Loop: Header=BB4_3024 Depth=3
	s_mov_b32 s62, 0
	s_mov_b32 s73, 0
                                        ; implicit-def: $sgpr63
                                        ; implicit-def: $sgpr72
	s_branch .LBB4_3077
.LBB4_3076:                             ;   in Loop: Header=BB4_3077 Depth=4
	s_or_b32 exec_lo, exec_lo, s75
	s_delay_alu instid0(SALU_CYCLE_1) | instskip(NEXT) | instid1(SALU_CYCLE_1)
	s_and_b32 s74, exec_lo, s76
	s_or_b32 s62, s74, s62
	s_and_not1_b32 s63, s63, exec_lo
	s_and_b32 s74, s72, exec_lo
	s_delay_alu instid0(SALU_CYCLE_1)
	s_or_b32 s63, s63, s74
	s_and_not1_b32 exec_lo, exec_lo, s62
	s_cbranch_execz .LBB4_3082
.LBB4_3077:                             ;   Parent Loop BB4_47 Depth=1
                                        ;     Parent Loop BB4_271 Depth=2
                                        ;       Parent Loop BB4_3024 Depth=3
                                        ; =>      This Inner Loop Header: Depth=4
	s_add_co_i32 s73, s73, 1
	s_delay_alu instid0(SALU_CYCLE_1) | instskip(SKIP_1) | instid1(SALU_CYCLE_1)
	s_cmp_lg_u32 s73, 0x2710
	s_cselect_b32 s74, -1, 0
	s_and_b32 vcc_lo, exec_lo, s74
	s_cbranch_vccz .LBB4_3079
; %bb.3078:                             ;   in Loop: Header=BB4_3077 Depth=4
	s_mov_b32 s76, -1
	s_or_b32 s72, s72, exec_lo
	s_and_saveexec_b32 s75, s74
	s_cbranch_execz .LBB4_3076
	s_branch .LBB4_3080
.LBB4_3079:                             ;   in Loop: Header=BB4_3077 Depth=4
	s_trap 2
	ds_load_b64 v[4:5], v0
	s_and_not1_b32 s74, s74, exec_lo
	s_mov_b32 s73, 0
	s_wait_storecnt 0x0
	s_wait_loadcnt_dscnt 0x0
	flat_load_b32 v2, v[4:5] scope:SCOPE_SYS
	s_wait_loadcnt_dscnt 0x0
	global_inv scope:SCOPE_SYS
	v_cmp_eq_u32_e32 vcc_lo, 0, v2
	s_and_b32 s75, vcc_lo, exec_lo
	s_delay_alu instid0(SALU_CYCLE_1)
	s_or_b32 s74, s74, s75
	s_mov_b32 s76, -1
	s_or_b32 s72, s72, exec_lo
	s_wait_xcnt 0x0
	s_and_saveexec_b32 s75, s74
	s_cbranch_execz .LBB4_3076
.LBB4_3080:                             ;   in Loop: Header=BB4_3077 Depth=4
	s_sleep 1
	s_trap 2
	ds_load_b64 v[4:5], v0
	s_wait_dscnt 0x0
	s_and_not1_b32 s72, s72, exec_lo
	v_cmp_ge_u64_e32 vcc_lo, v[4:5], v[48:49]
	s_or_not1_b32 s76, vcc_lo, exec_lo
	s_branch .LBB4_3076
.LBB4_3081:                             ;   in Loop: Header=BB4_3024 Depth=3
	s_and_not1_saveexec_b32 s29, s13
	s_cbranch_execnz .LBB4_3089
	s_branch .LBB4_3092
.LBB4_3082:                             ;   in Loop: Header=BB4_3024 Depth=3
	s_or_b32 exec_lo, exec_lo, s62
	s_and_saveexec_b32 s62, s63
	s_delay_alu instid0(SALU_CYCLE_1)
	s_xor_b32 s62, exec_lo, s62
	s_cbranch_execz .LBB4_3084
; %bb.3083:                             ;   in Loop: Header=BB4_3024 Depth=3
	ds_store_b32 v0, v64
	s_trap 2
.LBB4_3084:                             ;   in Loop: Header=BB4_3024 Depth=3
	s_or_b32 exec_lo, exec_lo, s43
	;;#ASMSTART
	s_wakeup
	;;#ASMEND
.LBB4_3085:                             ;   in Loop: Header=BB4_3024 Depth=3
	s_or_b32 exec_lo, exec_lo, s42
.LBB4_3086:                             ;   in Loop: Header=BB4_3024 Depth=3
	s_and_not1_saveexec_b32 s29, s29
	s_cbranch_execz .LBB4_3088
; %bb.3087:                             ;   in Loop: Header=BB4_3024 Depth=3
	;;#ASMSTART
	s_waitcnt lgkmcnt(0) vmcnt(0)
	;;#ASMEND
	s_barrier_signal -1
	s_barrier_wait -1
.LBB4_3088:                             ;   in Loop: Header=BB4_3024 Depth=3
	s_or_b32 exec_lo, exec_lo, s29
	v_and_b32_e32 v2, 16, v126
	s_and_not1_saveexec_b32 s29, s13
	s_cbranch_execz .LBB4_3092
.LBB4_3089:                             ;   in Loop: Header=BB4_3024 Depth=3
	s_trap 2
	ds_load_b32 v2, v0
	v_cmp_lt_i32_e32 vcc_lo, 0, v40
	s_wait_dscnt 0x0
	v_readfirstlane_b32 s13, v2
	v_and_b32_e32 v2, 16, v126
	s_cmp_eq_u32 s13, 0
	s_delay_alu instid0(VALU_DEP_1) | instskip(SKIP_3) | instid1(SALU_CYCLE_1)
	v_cmp_ne_u32_e64 s13, 0, v2
	s_cselect_b32 s42, -1, 0
	v_and_b32_e32 v2, 16, v126
	s_and_b32 s42, vcc_lo, s42
	s_and_b32 s42, s13, s42
	s_delay_alu instid0(SALU_CYCLE_1)
	s_and_saveexec_b32 s13, s42
	s_cbranch_execz .LBB4_3091
; %bb.3090:                             ;   in Loop: Header=BB4_3024 Depth=3
	v_mov_b32_e32 v2, 1
	global_wb scope:SCOPE_SYS
	s_wait_loadcnt 0x0
	s_wait_storecnt 0x0
	global_inv scope:SCOPE_SYS
.LBB4_3091:                             ;   in Loop: Header=BB4_3024 Depth=3
	s_or_b32 exec_lo, exec_lo, s13
.LBB4_3092:                             ;   in Loop: Header=BB4_3024 Depth=3
	s_delay_alu instid0(SALU_CYCLE_1) | instskip(NEXT) | instid1(VALU_DEP_1)
	s_or_b32 exec_lo, exec_lo, s29
	v_cmp_ne_u32_e32 vcc_lo, 0, v2
	s_xor_b32 s13, s4, -1
	s_delay_alu instid0(SALU_CYCLE_1) | instskip(NEXT) | instid1(SALU_CYCLE_1)
	s_and_b32 s29, vcc_lo, s13
	s_and_saveexec_b32 s13, s29
	s_cbranch_execz .LBB4_3094
; %bb.3093:                             ;   in Loop: Header=BB4_3024 Depth=3
	global_wb scope:SCOPE_SYS
	s_wait_storecnt 0x0
	s_wait_loadcnt_dscnt 0x0
	flat_store_b32 v[38:39], v64 scope:SCOPE_SYS
.LBB4_3094:                             ;   in Loop: Header=BB4_3024 Depth=3
	s_wait_xcnt 0x0
	s_or_b32 exec_lo, exec_lo, s13
	v_and_b32_e32 v2, 48, v126
	s_mov_b32 s13, exec_lo
	s_delay_alu instid0(VALU_DEP_1)
	v_cmpx_ne_u32_e32 0, v2
	s_cbranch_execz .LBB4_3023
; %bb.3095:                             ;   in Loop: Header=BB4_3024 Depth=3
	v_add_nc_u64_e32 v[114:115], 2, v[114:115]
	global_wb scope:SCOPE_SYS
	s_wait_storecnt 0x0
	s_wait_loadcnt_dscnt 0x0
	flat_store_b64 v[32:33], v[114:115] scope:SCOPE_SYS
	s_branch .LBB4_3023
.LBB4_3096:                             ;   in Loop: Header=BB4_47 Depth=1
	s_clause 0x1
	scratch_load_b64 v[10:11], off, s33 offset:208
	scratch_load_b64 v[8:9], off, s33 offset:200
	v_mov_b32_e32 v42, 0
	s_wait_loadcnt 0x1
	v_mul_u64_e32 v[4:5], s[16:17], v[10:11]
	s_wait_loadcnt 0x0
	s_delay_alu instid0(VALU_DEP_1) | instskip(NEXT) | instid1(VALU_DEP_1)
	v_sub_nc_u64_e32 v[8:9], v[8:9], v[4:5]
	v_min_i64 v[8:9], v[10:11], v[8:9]
	s_delay_alu instid0(VALU_DEP_1) | instskip(SKIP_1) | instid1(VALU_DEP_2)
	v_max_i32_e32 v1, 0, v8
	v_cmp_lt_i32_e32 vcc_lo, 0, v8
	v_add_nc_u32_e32 v2, 31, v1
	s_and_b32 s13, s59, vcc_lo
	s_delay_alu instid0(VALU_DEP_1) | instskip(NEXT) | instid1(VALU_DEP_1)
	v_lshrrev_b32_e32 v2, 1, v2
	v_and_b32_e32 v9, 0x3ffffff0, v2
	s_delay_alu instid0(VALU_DEP_1)
	v_dual_mov_b32 v2, 0 :: v_dual_max_i32 v40, s47, v9
	s_wait_xcnt 0x0
	s_and_saveexec_b32 s18, s13
	s_cbranch_execnz .LBB4_3097
; %bb.9079:                             ;   in Loop: Header=BB4_47 Depth=1
	s_add_pc_i64 .LBB4_8485-.Lpost_addpc10
.Lpost_addpc10:
.LBB4_3097:                             ;   in Loop: Header=BB4_47 Depth=1
	scratch_load_b64 v[8:9], off, s33 offset:188 ; 8-byte Folded Reload
	v_mov_b32_e32 v42, 0
	s_mov_b32 s63, 1
	s_mov_b32 s62, -1
	s_mov_b32 s29, 0
	s_wait_loadcnt 0x0
	v_add_nc_u64_e32 v[78:79], v[4:5], v[8:9]
	scratch_store_b64 off, v[78:79], s33 offset:256 ; 8-byte Folded Spill
	s_branch .LBB4_3099
.LBB4_3098:                             ;   in Loop: Header=BB4_3099 Depth=2
	s_wait_xcnt 0x0
	s_or_b32 exec_lo, exec_lo, s13
	v_dual_add_nc_u32 v42, v40, v42 :: v_dual_mov_b32 v2, s63
	s_xor_b32 s13, s62, -1
	s_mov_b32 s62, 0
	s_mov_b32 s63, 2
	s_delay_alu instid0(VALU_DEP_1) | instskip(SKIP_1) | instid1(SALU_CYCLE_1)
	v_cmp_ge_i32_e32 vcc_lo, v42, v1
	s_or_b32 s13, s13, vcc_lo
	s_and_b32 s13, exec_lo, s13
	s_delay_alu instid0(SALU_CYCLE_1) | instskip(NEXT) | instid1(SALU_CYCLE_1)
	s_or_b32 s29, s13, s29
	s_and_not1_b32 exec_lo, exec_lo, s29
	s_cbranch_execnz .LBB4_3099
; %bb.9081:                             ;   in Loop: Header=BB4_47 Depth=1
	s_add_pc_i64 .LBB4_8484-.Lpost_addpc11
.Lpost_addpc11:
.LBB4_3099:                             ;   Parent Loop BB4_47 Depth=1
                                        ; =>  This Loop Header: Depth=2
                                        ;       Child Loop BB4_3107 Depth 3
                                        ;       Child Loop BB4_3135 Depth 3
	;; [unrolled: 1-line block ×5, first 2 shown]
                                        ;         Child Loop BB4_5019 Depth 4
                                        ;       Child Loop BB4_5054 Depth 3
                                        ;       Child Loop BB4_5761 Depth 3
                                        ;         Child Loop BB4_5806 Depth 4
                                        ;       Child Loop BB4_5820 Depth 3
                                        ;       Child Loop BB4_7105 Depth 3
	;; [unrolled: 1-line block ×6, first 2 shown]
	s_wait_xcnt 0x0
	s_and_saveexec_b32 s13, s0
	s_cbranch_execz .LBB4_3101
; %bb.3100:                             ;   in Loop: Header=BB4_3099 Depth=2
	s_trap 2
	ds_load_b64 v[4:5], v0
	ds_load_2addr_b64 v[8:11], v0 offset1:1
	s_wait_loadcnt_dscnt 0x1
	v_add_nc_u64_e32 v[12:13], v[4:5], v[78:79]
	v_cmp_ne_u64_e32 vcc_lo, 0, v[4:5]
	v_ashrrev_i32_e32 v43, 31, v42
	s_wait_dscnt 0x0
	v_add_nc_u64_e32 v[8:9], v[8:9], v[78:79]
	v_add_nc_u64_e32 v[10:11], v[10:11], v[78:79]
	s_delay_alu instid0(VALU_DEP_3) | instskip(NEXT) | instid1(VALU_DEP_3)
	v_add_nc_u64_e32 v[12:13], v[12:13], v[42:43]
	v_add_nc_u64_e32 v[4:5], v[8:9], v[42:43]
	s_delay_alu instid0(VALU_DEP_3) | instskip(NEXT) | instid1(VALU_DEP_3)
	v_add_nc_u64_e32 v[8:9], v[10:11], v[42:43]
	v_dual_cndmask_b32 v11, 0, v13 :: v_dual_cndmask_b32 v10, 0, v12
	ds_store_b64 v0, v[4:5]
	ds_store_b64 v0, v[8:9]
	;; [unrolled: 1-line block ×3, first 2 shown]
.LBB4_3101:                             ;   in Loop: Header=BB4_3099 Depth=2
	s_or_b32 exec_lo, exec_lo, s13
	v_sub_nc_u32_e32 v2, v1, v42
	v_and_b32_e32 v4, 12, v126
	s_mov_b32 s14, exec_lo
	s_delay_alu instid0(VALU_DEP_2) | instskip(NEXT) | instid1(VALU_DEP_2)
	v_min_i32_e32 v40, v40, v2
	v_cmpx_ne_u32_e32 0, v4
	s_cbranch_execz .LBB4_3127
; %bb.3102:                             ;   in Loop: Header=BB4_3099 Depth=2
	v_dual_mov_b32 v9, v3 :: v_dual_bitop2_b32 v8, 8, v126 bitop3:0x40
	v_add_nc_u64_e32 v[4:5], 2, v[114:115]
	s_mov_b32 s15, exec_lo
	s_wait_loadcnt_dscnt 0x1
	s_delay_alu instid0(VALU_DEP_2) | instskip(NEXT) | instid1(VALU_DEP_1)
	v_add_nc_u64_e32 v[10:11], v[50:51], v[8:9]
	v_cmpx_lt_u64_e64 v[10:11], v[4:5]
	s_cbranch_execz .LBB4_3114
; %bb.3103:                             ;   in Loop: Header=BB4_3099 Depth=2
	v_and_b32_e32 v2, 64, v126
	s_mov_b32 s42, 0
	s_mov_b32 s74, 0
                                        ; implicit-def: $sgpr43
                                        ; implicit-def: $sgpr72
                                        ; implicit-def: $sgpr73
	s_delay_alu instid0(VALU_DEP_1)
	v_cmp_eq_u32_e32 vcc_lo, 0, v2
	s_branch .LBB4_3107
.LBB4_3104:                             ;   in Loop: Header=BB4_3107 Depth=3
	s_wait_loadcnt_dscnt 0x0
	v_add_nc_u64_e32 v[10:11], v[50:51], v[8:9]
	s_or_b32 s77, s77, exec_lo
	s_delay_alu instid0(VALU_DEP_1)
	v_cmp_ge_u64_e64 s13, v[10:11], v[4:5]
	s_or_not1_b32 s76, s13, exec_lo
.LBB4_3105:                             ;   in Loop: Header=BB4_3107 Depth=3
	s_or_b32 exec_lo, exec_lo, s79
	s_delay_alu instid0(SALU_CYCLE_1)
	s_and_not1_b32 s13, s73, exec_lo
	s_and_b32 s73, s77, exec_lo
	s_and_not1_b32 s72, s72, exec_lo
	s_and_b32 s76, s76, exec_lo
	s_or_b32 s73, s13, s73
	s_or_b32 s72, s72, s76
.LBB4_3106:                             ;   in Loop: Header=BB4_3107 Depth=3
	s_or_b32 exec_lo, exec_lo, s75
	s_delay_alu instid0(SALU_CYCLE_1) | instskip(NEXT) | instid1(SALU_CYCLE_1)
	s_and_b32 s13, exec_lo, s72
	s_or_b32 s42, s13, s42
	s_and_not1_b32 s13, s43, exec_lo
	s_and_b32 s43, s73, exec_lo
	s_delay_alu instid0(SALU_CYCLE_1)
	s_or_b32 s43, s13, s43
	s_and_not1_b32 exec_lo, exec_lo, s42
	s_cbranch_execz .LBB4_3111
.LBB4_3107:                             ;   Parent Loop BB4_47 Depth=1
                                        ;     Parent Loop BB4_3099 Depth=2
                                        ; =>    This Inner Loop Header: Depth=3
	s_sleep 1
	s_wait_loadcnt_dscnt 0x0
	flat_load_b64 v[50:51], v[32:33] scope:SCOPE_SYS
	s_or_b32 s73, s73, exec_lo
	s_or_b32 s72, s72, exec_lo
                                        ; implicit-def: $vgpr2
	s_wait_xcnt 0x0
	s_and_saveexec_b32 s75, vcc_lo
	s_cbranch_execz .LBB4_3106
; %bb.3108:                             ;   in Loop: Header=BB4_3107 Depth=3
	s_cmp_lt_i32 s74, 0x270f
	s_mov_b32 s76, -1
	s_cselect_b32 s78, -1, 0
	s_cmp_gt_i32 s74, 0x270e
	s_cbranch_scc0 .LBB4_3110
; %bb.3109:                             ;   in Loop: Header=BB4_3107 Depth=3
	s_trap 2
	ds_load_b64 v[10:11], v0
	s_and_not1_b32 s74, s78, exec_lo
	s_mov_b32 s77, 0
	s_wait_storecnt 0x0
	s_wait_loadcnt_dscnt 0x0
	flat_load_b32 v2, v[10:11] scope:SCOPE_SYS
	s_wait_loadcnt_dscnt 0x0
	global_inv scope:SCOPE_SYS
	v_cmp_eq_u32_e64 s13, 0, v2
	s_and_b32 s13, s13, exec_lo
	s_delay_alu instid0(SALU_CYCLE_1)
	s_or_b32 s78, s74, s13
	s_mov_b32 s74, 0
	s_wait_xcnt 0x0
	s_and_saveexec_b32 s79, s78
	s_cbranch_execz .LBB4_3105
	s_branch .LBB4_3104
.LBB4_3110:                             ;   in Loop: Header=BB4_3107 Depth=3
	s_add_co_i32 s74, s74, 1
	s_mov_b32 s77, -1
                                        ; implicit-def: $vgpr2
	s_and_saveexec_b32 s79, s78
	s_cbranch_execz .LBB4_3105
	s_branch .LBB4_3104
.LBB4_3111:                             ;   in Loop: Header=BB4_3099 Depth=2
	s_or_b32 exec_lo, exec_lo, s42
	s_xor_b32 s13, s43, -1
	s_delay_alu instid0(SALU_CYCLE_1) | instskip(NEXT) | instid1(SALU_CYCLE_1)
	s_and_saveexec_b32 s42, s13
	s_xor_b32 s13, exec_lo, s42
	s_cbranch_execz .LBB4_3113
; %bb.3112:                             ;   in Loop: Header=BB4_3099 Depth=2
	v_or_b32_e32 v126, 64, v126
	s_wait_storecnt 0x0
	s_wait_loadcnt_dscnt 0x0
	ds_store_b32 v0, v2
	s_trap 2
.LBB4_3113:                             ;   in Loop: Header=BB4_3099 Depth=2
	s_or_b32 exec_lo, exec_lo, s13
.LBB4_3114:                             ;   in Loop: Header=BB4_3099 Depth=2
	s_delay_alu instid0(SALU_CYCLE_1) | instskip(SKIP_3) | instid1(VALU_DEP_1)
	s_or_b32 exec_lo, exec_lo, s15
	v_and_b32_e32 v2, 0x108, v126
	s_mov_b32 s13, exec_lo
	;;#ASMSTART
	s_wakeup
	;;#ASMEND
                                        ; implicit-def: $vgpr10_vgpr11
	v_cmpx_ne_u32_e32 0x108, v2
	s_xor_b32 s13, exec_lo, s13
; %bb.3115:                             ;   in Loop: Header=BB4_3099 Depth=2
	v_dual_mov_b32 v11, v3 :: v_dual_bitop2_b32 v10, 7, v114 bitop3:0x40
                                        ; implicit-def: $vgpr114_vgpr115
; %bb.3116:                             ;   in Loop: Header=BB4_3099 Depth=2
	s_and_not1_saveexec_b32 s13, s13
	s_cbranch_execz .LBB4_3118
; %bb.3117:                             ;   in Loop: Header=BB4_3099 Depth=2
	v_dual_ashrrev_i32 v41, 31, v40 :: v_dual_bitop2_b32 v10, 7, v114 bitop3:0x40
	v_mov_b32_e32 v11, v3
	s_delay_alu instid0(VALU_DEP_2)
	v_mad_nc_u64_u32 v[12:13], v10, 24, v[6:7]
	flat_store_b64 v[12:13], v[40:41] offset:8
.LBB4_3118:                             ;   in Loop: Header=BB4_3099 Depth=2
	s_wait_xcnt 0x0
	s_or_b32 exec_lo, exec_lo, s13
	v_and_b32_e32 v2, 0x100, v126
	s_mov_b32 s13, -1
	s_mov_b32 s15, exec_lo
                                        ; implicit-def: $vgpr12_vgpr13
	s_delay_alu instid0(VALU_DEP_1)
	v_cmpx_ne_u32_e32 0, v2
	s_cbranch_execz .LBB4_3122
; %bb.3119:                             ;   in Loop: Header=BB4_3099 Depth=2
	v_mad_nc_u64_u32 v[14:15], v10, 24, v[6:7]
	s_mov_b32 s42, exec_lo
                                        ; implicit-def: $vgpr12_vgpr13
	s_delay_alu instid0(VALU_DEP_1)
	v_mad_u32 v15, v11, 24, v15
	flat_load_b32 v2, v[14:15]
	s_wait_loadcnt_dscnt 0x0
	v_cmp_ne_u32_e32 vcc_lo, 1, v2
	s_wait_xcnt 0x0
	v_cmpx_eq_u32_e32 1, v2
	s_cbranch_execz .LBB4_3121
; %bb.3120:                             ;   in Loop: Header=BB4_3099 Depth=2
	flat_load_b32 v12, v[14:15] offset:4 scope:SCOPE_SYS
	s_wait_loadcnt_dscnt 0x0
	v_ashrrev_i32_e32 v13, 31, v12
.LBB4_3121:                             ;   in Loop: Header=BB4_3099 Depth=2
	s_wait_xcnt 0x0
	s_or_b32 exec_lo, exec_lo, s42
	s_delay_alu instid0(SALU_CYCLE_1)
	s_or_not1_b32 s13, vcc_lo, exec_lo
.LBB4_3122:                             ;   in Loop: Header=BB4_3099 Depth=2
	s_or_b32 exec_lo, exec_lo, s15
	s_and_saveexec_b32 s15, s13
; %bb.3123:                             ;   in Loop: Header=BB4_3099 Depth=2
	v_mul_u64_e32 v[12:13], v[10:11], v[34:35]
; %bb.3124:                             ;   in Loop: Header=BB4_3099 Depth=2
	s_or_b32 exec_lo, exec_lo, s15
	v_cmp_eq_u32_e32 vcc_lo, 0, v8
	s_delay_alu instid0(VALU_DEP_2) | instskip(SKIP_3) | instid1(VALU_DEP_1)
	v_add_nc_u64_e32 v[8:9], v[36:37], v[12:13]
	v_and_b32_e32 v10, 0x2000, v126
	s_mov_b32 s13, exec_lo
	v_cndmask_b32_e32 v2, 0xd0, v65, vcc_lo
	v_add_nc_u32_e32 v2, v0, v2
	ds_store_b64 v2, v[8:9] offset:584
	v_cmpx_ne_u32_e32 0, v10
	s_cbranch_execz .LBB4_3126
; %bb.3125:                             ;   in Loop: Header=BB4_3099 Depth=2
	ds_load_b64 v[8:9], v0 offset:872
	s_wait_dscnt 0x0
	v_add_nc_u64_e32 v[8:9], 1, v[8:9]
	ds_store_b64 v0, v[8:9] offset:872
.LBB4_3126:                             ;   in Loop: Header=BB4_3099 Depth=2
	s_or_b32 exec_lo, exec_lo, s13
	v_mov_b64_e32 v[114:115], v[4:5]
.LBB4_3127:                             ;   in Loop: Header=BB4_3099 Depth=2
	s_or_b32 exec_lo, exec_lo, s14
	s_and_saveexec_b32 s13, s2
	s_cbranch_execz .LBB4_3146
; %bb.3128:                             ;   in Loop: Header=BB4_3099 Depth=2
	s_and_saveexec_b32 s14, s3
	s_delay_alu instid0(SALU_CYCLE_1)
	s_xor_b32 s14, exec_lo, s14
	s_cbranch_execz .LBB4_3143
; %bb.3129:                             ;   in Loop: Header=BB4_3099 Depth=2
	s_and_saveexec_b32 s15, s6
	s_cbranch_execz .LBB4_3142
; %bb.3130:                             ;   in Loop: Header=BB4_3099 Depth=2
	s_mov_b32 s43, exec_lo
	s_mov_b32 s42, exec_lo
	v_mbcnt_lo_u32_b32 v2, s43, 0
	global_wb scope:SCOPE_DEV
	s_wait_storecnt 0x0
	s_wait_loadcnt_dscnt 0x0
	global_inv scope:SCOPE_DEV
	v_cmpx_eq_u32_e32 0, v2
	s_cbranch_execz .LBB4_3132
; %bb.3131:                             ;   in Loop: Header=BB4_3099 Depth=2
	s_bcnt1_i32_b32 s43, s43
	s_delay_alu instid0(SALU_CYCLE_1)
	v_dual_mov_b32 v5, v3 :: v_dual_mov_b32 v4, s43
	s_wait_loadcnt 0x0
	ds_add_u64 v0, v[4:5]
	s_trap 2
.LBB4_3132:                             ;   in Loop: Header=BB4_3099 Depth=2
	s_or_b32 exec_lo, exec_lo, s42
	s_trap 2
	ds_load_b64 v[4:5], v0
	s_wait_dscnt 0x0
	v_add_nc_u64_e32 v[48:49], v[48:49], v[52:53]
	s_mov_b32 s42, exec_lo
	s_delay_alu instid0(VALU_DEP_1)
	v_cmpx_lt_u64_e64 v[4:5], v[48:49]
	s_cbranch_execz .LBB4_3141
; %bb.3133:                             ;   in Loop: Header=BB4_3099 Depth=2
	s_mov_b32 s43, 0
	s_mov_b32 s74, 0
                                        ; implicit-def: $sgpr72
                                        ; implicit-def: $sgpr73
	s_branch .LBB4_3135
.LBB4_3134:                             ;   in Loop: Header=BB4_3135 Depth=3
	s_or_b32 exec_lo, exec_lo, s76
	s_delay_alu instid0(SALU_CYCLE_1) | instskip(NEXT) | instid1(SALU_CYCLE_1)
	s_and_b32 s75, exec_lo, s77
	s_or_b32 s43, s75, s43
	s_and_not1_b32 s72, s72, exec_lo
	s_and_b32 s75, s73, exec_lo
	s_delay_alu instid0(SALU_CYCLE_1)
	s_or_b32 s72, s72, s75
	s_and_not1_b32 exec_lo, exec_lo, s43
	s_cbranch_execz .LBB4_3139
.LBB4_3135:                             ;   Parent Loop BB4_47 Depth=1
                                        ;     Parent Loop BB4_3099 Depth=2
                                        ; =>    This Inner Loop Header: Depth=3
	s_add_co_i32 s74, s74, 1
	s_delay_alu instid0(SALU_CYCLE_1) | instskip(SKIP_1) | instid1(SALU_CYCLE_1)
	s_cmp_lg_u32 s74, 0x2710
	s_cselect_b32 s75, -1, 0
	s_and_b32 vcc_lo, exec_lo, s75
	s_cbranch_vccz .LBB4_3137
; %bb.3136:                             ;   in Loop: Header=BB4_3135 Depth=3
	s_mov_b32 s77, -1
	s_or_b32 s73, s73, exec_lo
	s_and_saveexec_b32 s76, s75
	s_cbranch_execz .LBB4_3134
	s_branch .LBB4_3138
.LBB4_3137:                             ;   in Loop: Header=BB4_3135 Depth=3
	s_trap 2
	ds_load_b64 v[4:5], v0
	s_and_not1_b32 s75, s75, exec_lo
	s_mov_b32 s74, 0
	s_wait_loadcnt_dscnt 0x0
	flat_load_b32 v2, v[4:5] scope:SCOPE_SYS
	s_wait_loadcnt_dscnt 0x0
	global_inv scope:SCOPE_SYS
	v_cmp_eq_u32_e32 vcc_lo, 0, v2
	s_and_b32 s76, vcc_lo, exec_lo
	s_delay_alu instid0(SALU_CYCLE_1)
	s_or_b32 s75, s75, s76
	s_mov_b32 s77, -1
	s_or_b32 s73, s73, exec_lo
	s_wait_xcnt 0x0
	s_and_saveexec_b32 s76, s75
	s_cbranch_execz .LBB4_3134
.LBB4_3138:                             ;   in Loop: Header=BB4_3135 Depth=3
	s_sleep 1
	s_trap 2
	ds_load_b64 v[4:5], v0
	s_wait_dscnt 0x0
	s_and_not1_b32 s73, s73, exec_lo
	v_cmp_ge_u64_e32 vcc_lo, v[4:5], v[48:49]
	s_or_not1_b32 s77, vcc_lo, exec_lo
	s_branch .LBB4_3134
.LBB4_3139:                             ;   in Loop: Header=BB4_3099 Depth=2
	s_or_b32 exec_lo, exec_lo, s43
	s_and_saveexec_b32 s43, s72
	s_delay_alu instid0(SALU_CYCLE_1)
	s_xor_b32 s43, exec_lo, s43
	s_cbranch_execz .LBB4_3141
; %bb.3140:                             ;   in Loop: Header=BB4_3099 Depth=2
	ds_store_b32 v0, v64
	s_trap 2
.LBB4_3141:                             ;   in Loop: Header=BB4_3099 Depth=2
	s_or_b32 exec_lo, exec_lo, s42
	;;#ASMSTART
	s_wakeup
	;;#ASMEND
.LBB4_3142:                             ;   in Loop: Header=BB4_3099 Depth=2
	s_or_b32 exec_lo, exec_lo, s15
.LBB4_3143:                             ;   in Loop: Header=BB4_3099 Depth=2
	s_and_not1_saveexec_b32 s14, s14
	s_cbranch_execz .LBB4_3145
; %bb.3144:                             ;   in Loop: Header=BB4_3099 Depth=2
	global_wb scope:SCOPE_DEV
	s_wait_storecnt 0x0
	s_wait_loadcnt_dscnt 0x0
	global_inv scope:SCOPE_DEV
	s_barrier_signal -1
	s_barrier_wait -1
.LBB4_3145:                             ;   in Loop: Header=BB4_3099 Depth=2
	s_or_b32 exec_lo, exec_lo, s14
.LBB4_3146:                             ;   in Loop: Header=BB4_3099 Depth=2
	s_delay_alu instid0(SALU_CYCLE_1) | instskip(SKIP_4) | instid1(VALU_DEP_1)
	s_or_b32 exec_lo, exec_lo, s13
	s_trap 2
	ds_load_b32 v2, v0
	v_and_b32_e32 v4, 0x4000, v126
	s_xor_b32 s13, s1, -1
	v_cmp_ne_u32_e32 vcc_lo, 0, v4
	s_and_b32 s14, s13, vcc_lo
	s_delay_alu instid0(SALU_CYCLE_1)
	s_and_saveexec_b32 s13, s14
	s_cbranch_execz .LBB4_3165
; %bb.3147:                             ;   in Loop: Header=BB4_3099 Depth=2
	s_and_saveexec_b32 s14, s3
	s_delay_alu instid0(SALU_CYCLE_1)
	s_xor_b32 s14, exec_lo, s14
	s_cbranch_execz .LBB4_3162
; %bb.3148:                             ;   in Loop: Header=BB4_3099 Depth=2
	s_and_saveexec_b32 s15, s6
	s_cbranch_execz .LBB4_3161
; %bb.3149:                             ;   in Loop: Header=BB4_3099 Depth=2
	s_mov_b32 s43, exec_lo
	s_mov_b32 s42, exec_lo
	v_mbcnt_lo_u32_b32 v4, s43, 0
	global_wb scope:SCOPE_DEV
	s_wait_storecnt 0x0
	s_wait_loadcnt_dscnt 0x0
	global_inv scope:SCOPE_DEV
	v_cmpx_eq_u32_e32 0, v4
	s_cbranch_execz .LBB4_3151
; %bb.3150:                             ;   in Loop: Header=BB4_3099 Depth=2
	s_bcnt1_i32_b32 s43, s43
	s_delay_alu instid0(SALU_CYCLE_1)
	v_dual_mov_b32 v5, v3 :: v_dual_mov_b32 v4, s43
	s_wait_loadcnt 0x0
	ds_add_u64 v0, v[4:5]
	s_trap 2
.LBB4_3151:                             ;   in Loop: Header=BB4_3099 Depth=2
	s_or_b32 exec_lo, exec_lo, s42
	s_trap 2
	ds_load_b64 v[4:5], v0
	s_wait_dscnt 0x0
	v_add_nc_u64_e32 v[48:49], v[48:49], v[52:53]
	s_mov_b32 s42, exec_lo
	s_delay_alu instid0(VALU_DEP_1)
	v_cmpx_lt_u64_e64 v[4:5], v[48:49]
	s_cbranch_execz .LBB4_3160
; %bb.3152:                             ;   in Loop: Header=BB4_3099 Depth=2
	s_mov_b32 s43, 0
	s_mov_b32 s74, 0
                                        ; implicit-def: $sgpr72
                                        ; implicit-def: $sgpr73
	s_branch .LBB4_3154
.LBB4_3153:                             ;   in Loop: Header=BB4_3154 Depth=3
	s_or_b32 exec_lo, exec_lo, s76
	s_delay_alu instid0(SALU_CYCLE_1) | instskip(NEXT) | instid1(SALU_CYCLE_1)
	s_and_b32 s75, exec_lo, s77
	s_or_b32 s43, s75, s43
	s_and_not1_b32 s72, s72, exec_lo
	s_and_b32 s75, s73, exec_lo
	s_delay_alu instid0(SALU_CYCLE_1)
	s_or_b32 s72, s72, s75
	s_and_not1_b32 exec_lo, exec_lo, s43
	s_cbranch_execz .LBB4_3158
.LBB4_3154:                             ;   Parent Loop BB4_47 Depth=1
                                        ;     Parent Loop BB4_3099 Depth=2
                                        ; =>    This Inner Loop Header: Depth=3
	s_add_co_i32 s74, s74, 1
	s_delay_alu instid0(SALU_CYCLE_1) | instskip(SKIP_1) | instid1(SALU_CYCLE_1)
	s_cmp_lg_u32 s74, 0x2710
	s_cselect_b32 s75, -1, 0
	s_and_b32 vcc_lo, exec_lo, s75
	s_cbranch_vccz .LBB4_3156
; %bb.3155:                             ;   in Loop: Header=BB4_3154 Depth=3
	s_mov_b32 s77, -1
	s_or_b32 s73, s73, exec_lo
	s_and_saveexec_b32 s76, s75
	s_cbranch_execz .LBB4_3153
	s_branch .LBB4_3157
.LBB4_3156:                             ;   in Loop: Header=BB4_3154 Depth=3
	s_trap 2
	ds_load_b64 v[4:5], v0
	s_and_not1_b32 s75, s75, exec_lo
	s_mov_b32 s74, 0
	s_wait_loadcnt_dscnt 0x0
	flat_load_b32 v4, v[4:5] scope:SCOPE_SYS
	s_wait_loadcnt_dscnt 0x0
	global_inv scope:SCOPE_SYS
	v_cmp_eq_u32_e32 vcc_lo, 0, v4
	s_and_b32 s76, vcc_lo, exec_lo
	s_delay_alu instid0(SALU_CYCLE_1)
	s_or_b32 s75, s75, s76
	s_mov_b32 s77, -1
	s_or_b32 s73, s73, exec_lo
	s_wait_xcnt 0x0
	s_and_saveexec_b32 s76, s75
	s_cbranch_execz .LBB4_3153
.LBB4_3157:                             ;   in Loop: Header=BB4_3154 Depth=3
	s_sleep 1
	s_trap 2
	ds_load_b64 v[4:5], v0
	s_wait_dscnt 0x0
	s_and_not1_b32 s73, s73, exec_lo
	v_cmp_ge_u64_e32 vcc_lo, v[4:5], v[48:49]
	s_or_not1_b32 s77, vcc_lo, exec_lo
	s_branch .LBB4_3153
.LBB4_3158:                             ;   in Loop: Header=BB4_3099 Depth=2
	s_or_b32 exec_lo, exec_lo, s43
	s_and_saveexec_b32 s43, s72
	s_delay_alu instid0(SALU_CYCLE_1)
	s_xor_b32 s43, exec_lo, s43
	s_cbranch_execz .LBB4_3160
; %bb.3159:                             ;   in Loop: Header=BB4_3099 Depth=2
	ds_store_b32 v0, v64
	s_trap 2
.LBB4_3160:                             ;   in Loop: Header=BB4_3099 Depth=2
	s_or_b32 exec_lo, exec_lo, s42
	;;#ASMSTART
	s_wakeup
	;;#ASMEND
.LBB4_3161:                             ;   in Loop: Header=BB4_3099 Depth=2
	s_or_b32 exec_lo, exec_lo, s15
.LBB4_3162:                             ;   in Loop: Header=BB4_3099 Depth=2
	s_and_not1_saveexec_b32 s14, s14
	s_cbranch_execz .LBB4_3164
; %bb.3163:                             ;   in Loop: Header=BB4_3099 Depth=2
	global_wb scope:SCOPE_DEV
	s_wait_storecnt 0x0
	s_wait_loadcnt_dscnt 0x0
	global_inv scope:SCOPE_DEV
	s_barrier_signal -1
	s_barrier_wait -1
.LBB4_3164:                             ;   in Loop: Header=BB4_3099 Depth=2
	s_or_b32 exec_lo, exec_lo, s14
.LBB4_3165:                             ;   in Loop: Header=BB4_3099 Depth=2
	s_delay_alu instid0(SALU_CYCLE_1)
	s_or_b32 exec_lo, exec_lo, s13
	s_trap 2
	s_wait_loadcnt 0x0
	ds_load_b64 v[56:57], v0
	s_wait_dscnt 0x0
	v_cmp_eq_u64_e32 vcc_lo, 0, v[56:57]
	s_cbranch_vccnz .LBB4_3174
; %bb.3166:                             ;   in Loop: Header=BB4_3099 Depth=2
	s_trap 2
	ds_load_b64 v[4:5], v0
	s_wait_dscnt 0x0
	v_cmp_eq_u64_e32 vcc_lo, 0, v[4:5]
	scratch_store_b64 off, v[4:5], s33 offset:224 ; 8-byte Folded Spill
	s_cbranch_vccnz .LBB4_3174
; %bb.3167:                             ;   in Loop: Header=BB4_3099 Depth=2
	s_trap 2
	ds_load_b64 v[58:59], v0
	v_cmp_eq_u32_e64 s13, 0, v2
	s_delay_alu instid0(VALU_DEP_1)
	v_cndmask_b32_e64 v88, 0, v40, s13
	s_mov_b32 s13, -1
	s_wait_dscnt 0x0
	v_cmp_ne_u64_e32 vcc_lo, 0, v[58:59]
	s_cbranch_vccz .LBB4_5809
; %bb.3168:                             ;   in Loop: Header=BB4_3099 Depth=2
	s_wait_xcnt 0x0
	s_and_saveexec_b32 s14, s12
	s_cbranch_execz .LBB4_3170
; %bb.3169:                             ;   in Loop: Header=BB4_3099 Depth=2
	ds_load_b32 v2, v0 offset:720
	s_wait_dscnt 0x0
	v_and_b32_e32 v2, 15, v2
	s_delay_alu instid0(VALU_DEP_1)
	v_cmp_eq_u32_e32 vcc_lo, 0, v2
	s_or_not1_b32 s13, vcc_lo, exec_lo
.LBB4_3170:                             ;   in Loop: Header=BB4_3099 Depth=2
	s_or_b32 exec_lo, exec_lo, s14
	s_and_saveexec_b32 s14, s12
	s_cbranch_execz .LBB4_3172
; %bb.3171:                             ;   in Loop: Header=BB4_3099 Depth=2
	ds_load_b32 v2, v0 offset:784
	s_wait_dscnt 0x0
	v_and_b32_e32 v2, 15, v2
	s_delay_alu instid0(VALU_DEP_1) | instskip(SKIP_3) | instid1(SALU_CYCLE_1)
	v_cmp_eq_u32_e32 vcc_lo, 0, v2
	s_and_b32 s15, s13, vcc_lo
	s_and_not1_b32 s13, s13, exec_lo
	s_and_b32 s15, s15, exec_lo
	s_or_b32 s13, s13, s15
.LBB4_3172:                             ;   in Loop: Header=BB4_3099 Depth=2
	s_or_b32 exec_lo, exec_lo, s14
	s_xor_b32 s13, s13, -1
	v_dual_mov_b32 v43, 0 :: v_dual_mov_b32 v41, v88
	v_cndmask_b32_e64 v2, 0, 1, s13
	v_mov_b32_e32 v46, v0
	s_mov_b32 s13, -1
	scratch_store_b64 off, v[56:57], s33 offset:248 ; 8-byte Folded Spill
	v_cmp_ne_u32_e32 vcc_lo, 0, v2
	v_mov_b32_e32 v2, v119
	s_cbranch_vccz .LBB4_3179
; %bb.3173:                             ;   in Loop: Header=BB4_3099 Depth=2
	s_wait_xcnt 0x0
	s_and_saveexec_b32 s15, s13
	s_cbranch_execz .LBB4_5808
	s_branch .LBB4_5050
.LBB4_3174:                             ;   in Loop: Header=BB4_3099 Depth=2
	s_mov_b32 s13, 0
	s_wait_xcnt 0x0
	s_and_saveexec_b32 s14, s2
	s_cbranch_execz .LBB4_3175
; %bb.9083:                             ;   in Loop: Header=BB4_3099 Depth=2
	s_add_pc_i64 .LBB4_8443-.Lpost_addpc12
.Lpost_addpc12:
.LBB4_3175:                             ;   in Loop: Header=BB4_3099 Depth=2
	s_or_b32 exec_lo, exec_lo, s14
                                        ; implicit-def: $vgpr2
	s_and_saveexec_b32 s14, s10
	s_delay_alu instid0(SALU_CYCLE_1)
	s_xor_b32 s14, exec_lo, s14
	s_cbranch_execnz .LBB4_3176
; %bb.9085:                             ;   in Loop: Header=BB4_3099 Depth=2
	s_add_pc_i64 .LBB4_8461-.Lpost_addpc13
.Lpost_addpc13:
.LBB4_3176:                             ;   in Loop: Header=BB4_3099 Depth=2
	v_and_b32_e32 v2, 16, v126
	s_delay_alu instid0(VALU_DEP_1) | instskip(SKIP_2) | instid1(SALU_CYCLE_1)
	v_cmp_ne_u32_e32 vcc_lo, 0, v2
	v_and_b32_e32 v2, 16, v126
	s_and_b32 s15, vcc_lo, s13
	s_and_saveexec_b32 s13, s15
	s_cbranch_execz .LBB4_3178
; %bb.3177:                             ;   in Loop: Header=BB4_3099 Depth=2
	v_mov_b32_e32 v2, 1
	global_wb scope:SCOPE_SYS
	s_wait_storecnt 0x0
	s_wait_loadcnt_dscnt 0x0
	global_inv scope:SCOPE_SYS
.LBB4_3178:                             ;   in Loop: Header=BB4_3099 Depth=2
	s_or_b32 exec_lo, exec_lo, s13
	s_and_not1_saveexec_b32 s13, s14
	s_cbranch_execnz .LBB4_9069
; %bb.9087:                             ;   in Loop: Header=BB4_3099 Depth=2
	s_add_pc_i64 .LBB4_8480-.Lpost_addpc14
.Lpost_addpc14:
.LBB4_9069:                             ;   in Loop: Header=BB4_3099 Depth=2
	s_add_pc_i64 .LBB4_8462-.Lpost_addpc5
.Lpost_addpc5:
.LBB4_3179:                             ;   in Loop: Header=BB4_3099 Depth=2
	v_ashrrev_i32_e32 v2, 31, v88
	s_mov_b32 s14, exec_lo
	s_delay_alu instid0(VALU_DEP_1) | instskip(NEXT) | instid1(VALU_DEP_1)
	v_lshrrev_b32_e32 v2, 22, v2
	v_add_nc_u32_e32 v2, v88, v2
	s_delay_alu instid0(VALU_DEP_1) | instskip(NEXT) | instid1(VALU_DEP_1)
	v_ashrrev_i32_e32 v27, 10, v2
	v_sub_nc_u32_e32 v26, v27, v119
	s_wait_xcnt 0x0
	s_delay_alu instid0(VALU_DEP_1)
	v_cmpx_lt_i32_e32 0, v26
	s_cbranch_execz .LBB4_4463
; %bb.3180:                             ;   in Loop: Header=BB4_3099 Depth=2
	s_trap 2
	ds_load_b64 v[4:5], v0
	s_clause 0x1
	scratch_load_b64 v[8:9], off, s33 offset:216
	scratch_load_b64 v[10:11], off, s33 offset:224
	s_mov_b32 s15, 0
	s_wait_loadcnt 0x1
	v_add_nc_u64_e32 v[62:63], v[58:59], v[8:9]
	s_wait_loadcnt 0x0
	v_add_nc_u64_e32 v[60:61], v[10:11], v[8:9]
	scratch_load_b64 v[10:11], off, s33 offset:248 ; 8-byte Folded Reload
	s_wait_dscnt 0x0
	v_add_nc_u64_e32 v[74:75], v[4:5], v[8:9]
	s_wait_loadcnt 0x0
	v_add_nc_u64_e32 v[72:73], v[10:11], v[8:9]
	s_branch .LBB4_3183
.LBB4_3181:                             ;   in Loop: Header=BB4_3183 Depth=3
	s_or_b32 exec_lo, exec_lo, s42
.LBB4_3182:                             ;   in Loop: Header=BB4_3183 Depth=3
	s_delay_alu instid0(SALU_CYCLE_1)
	s_or_b32 exec_lo, exec_lo, s13
	v_lshl_or_b32 v2, v67, 8, v66
	v_dual_lshlrev_b32 v5, 16, v24 :: v_dual_lshlrev_b32 v11, 16, v30
	v_dual_lshlrev_b32 v8, 24, v20 :: v_dual_lshlrev_b32 v14, 24, v31
	v_lshl_or_b32 v10, v29, 8, v28
	v_lshl_or_b32 v15, v25, 8, v21
	v_dual_lshlrev_b32 v20, 16, v84 :: v_dual_lshlrev_b32 v21, 24, v85
	s_delay_alu instid0(VALU_DEP_4) | instskip(NEXT) | instid1(VALU_DEP_4)
	v_or3_b32 v9, v2, v5, v8
	v_or3_b32 v8, v10, v11, v14
	v_dual_lshlrev_b32 v2, 24, v18 :: v_dual_lshlrev_b32 v5, 16, v43
	v_lshl_or_b32 v11, v117, 8, v116
	v_or3_b32 v10, v15, v20, v21
	v_lshl_or_b32 v14, v102, 8, v101
	v_dual_lshlrev_b32 v15, 16, v16 :: v_dual_lshlrev_b32 v18, 16, v23
	v_dual_lshlrev_b32 v12, 24, v12 :: v_dual_lshlrev_b32 v20, 16, v103
	v_lshl_or_b32 v16, v22, 8, v19
	v_dual_lshlrev_b32 v19, 24, v100 :: v_dual_lshlrev_b32 v21, 24, v41
	v_lshl_or_b32 v17, v17, 8, v13
	v_dual_lshlrev_b32 v4, 24, v4 :: v_dual_lshlrev_b32 v22, 16, v46
	v_lshl_or_b32 v23, v45, 8, v44
	v_or3_b32 v11, v11, v5, v2
	v_sub_nc_u32_e32 v26, v26, v52
	v_or3_b32 v13, v14, v15, v12
	v_or3_b32 v12, v16, v18, v19
	v_or3_b32 v14, v17, v20, v21
	v_or3_b32 v15, v23, v22, v4
	s_clause 0x1
	global_store_b128 v[60:61], v[8:11], off th:TH_STORE_NT
	global_store_b128 v[60:61], v[12:15], off offset:512 th:TH_STORE_NT
	s_clause 0x1
	global_store_b128 v[62:63], v[8:11], off th:TH_STORE_NT
	global_store_b128 v[62:63], v[12:15], off offset:512 th:TH_STORE_NT
	v_add_nc_u64_e32 v[72:73], v[72:73], v[80:81]
	v_add_nc_u64_e32 v[74:75], v[74:75], v[80:81]
	s_wait_xcnt 0x2
	v_add_nc_u64_e32 v[60:61], v[60:61], v[80:81]
	v_cmp_gt_i32_e32 vcc_lo, 1, v26
	s_wait_xcnt 0x0
	v_add_nc_u64_e32 v[62:63], v[62:63], v[80:81]
	s_or_b32 s15, vcc_lo, s15
	s_delay_alu instid0(SALU_CYCLE_1)
	s_and_not1_b32 exec_lo, exec_lo, s15
	s_cbranch_execz .LBB4_4462
.LBB4_3183:                             ;   Parent Loop BB4_47 Depth=1
                                        ;     Parent Loop BB4_3099 Depth=2
                                        ; =>    This Inner Loop Header: Depth=3
	s_clause 0x1
	global_load_b128 v[20:23], v[72:73], off th:TH_LOAD_NT
	global_load_b128 v[12:15], v[72:73], off offset:512 th:TH_LOAD_NT
	s_clause 0x1
	global_load_b128 v[16:19], v[74:75], off th:TH_LOAD_NT
	global_load_b128 v[8:11], v[74:75], off offset:512 th:TH_LOAD_NT
	v_mov_b32_e32 v2, 0
	s_wait_loadcnt 0x3
	v_and_b32_e32 v4, 0xff, v20
	s_delay_alu instid0(VALU_DEP_1)
	v_cmp_ne_u16_e32 vcc_lo, 0, v4
	v_mov_b32_e32 v4, 0
	s_wait_xcnt 0x0
	s_and_saveexec_b32 s13, vcc_lo
	s_cbranch_execz .LBB4_3193
; %bb.3184:                             ;   in Loop: Header=BB4_3183 Depth=3
	v_bfe_i32 v24, v20, 0, 8
	v_bfrev_b32_e32 v4, 1
	s_mov_b32 s42, exec_lo
	s_delay_alu instid0(VALU_DEP_2)
	v_cmpx_ne_u16_e32 0xff80, v24
	s_cbranch_execz .LBB4_3192
; %bb.3185:                             ;   in Loop: Header=BB4_3183 Depth=3
	v_and_b32_e32 v4, 0x7c, v20
	v_and_b32_e32 v5, 3, v20
	s_delay_alu instid0(VALU_DEP_2) | instskip(SKIP_1) | instid1(SALU_CYCLE_1)
	v_cmp_ne_u32_e32 vcc_lo, 0x7c, v4
                                        ; implicit-def: $vgpr4
	s_and_saveexec_b32 s43, vcc_lo
	s_xor_b32 s43, exec_lo, s43
	s_cbranch_execz .LBB4_3189
; %bb.3186:                             ;   in Loop: Header=BB4_3183 Depth=3
	v_bfe_u32 v4, v20, 2, 5
	s_mov_b32 s72, exec_lo
	s_delay_alu instid0(VALU_DEP_1)
	v_cmpx_eq_u32_e32 0, v4
; %bb.3187:                             ;   in Loop: Header=BB4_3183 Depth=3
	v_clz_i32_u32_e32 v4, v5
	s_delay_alu instid0(VALU_DEP_1) | instskip(NEXT) | instid1(VALU_DEP_1)
	v_min_u32_e32 v4, 32, v4
	v_subrev_nc_u32_e32 v5, 29, v4
	v_sub_nc_u32_e32 v4, 30, v4
	s_delay_alu instid0(VALU_DEP_2) | instskip(NEXT) | instid1(VALU_DEP_1)
	v_lshlrev_b64_e32 v[24:25], v5, v[20:21]
	v_and_b32_e32 v5, 3, v24
; %bb.3188:                             ;   in Loop: Header=BB4_3183 Depth=3
	s_or_b32 exec_lo, exec_lo, s72
	v_lshlrev_b32_e32 v24, 24, v20
	s_delay_alu instid0(VALU_DEP_1) | instskip(NEXT) | instid1(VALU_DEP_1)
	v_and_b32_e32 v24, 0x80000000, v24
	v_lshl_add_u32 v4, v4, 23, v24
                                        ; implicit-def: $vgpr24
	s_delay_alu instid0(VALU_DEP_1) | instskip(NEXT) | instid1(VALU_DEP_1)
	v_lshl_or_b32 v4, v5, 21, v4
                                        ; implicit-def: $vgpr5
	v_add_nc_u32_e32 v4, 0x38000000, v4
.LBB4_3189:                             ;   in Loop: Header=BB4_3183 Depth=3
	s_and_not1_saveexec_b32 s43, s43
; %bb.3190:                             ;   in Loop: Header=BB4_3183 Depth=3
	v_cmp_lt_i16_e32 vcc_lo, -1, v24
	v_cndmask_b32_e32 v4, 0xff800000, v112, vcc_lo
	v_cmp_eq_u32_e32 vcc_lo, 0, v5
	s_delay_alu instid0(VALU_DEP_2)
	v_cndmask_b32_e32 v4, 0x7f800001, v4, vcc_lo
; %bb.3191:                             ;   in Loop: Header=BB4_3183 Depth=3
	s_or_b32 exec_lo, exec_lo, s43
.LBB4_3192:                             ;   in Loop: Header=BB4_3183 Depth=3
	s_delay_alu instid0(SALU_CYCLE_1)
	s_or_b32 exec_lo, exec_lo, s42
.LBB4_3193:                             ;   in Loop: Header=BB4_3183 Depth=3
	s_delay_alu instid0(SALU_CYCLE_1) | instskip(SKIP_3) | instid1(VALU_DEP_1)
	s_or_b32 exec_lo, exec_lo, s13
	s_wait_loadcnt 0x1
	v_and_b32_e32 v5, 0xff, v16
	s_mov_b32 s13, exec_lo
	v_cmpx_ne_u16_e32 0, v5
	s_cbranch_execz .LBB4_3203
; %bb.3194:                             ;   in Loop: Header=BB4_3183 Depth=3
	v_bfe_i32 v24, v16, 0, 8
	v_bfrev_b32_e32 v2, 1
	s_mov_b32 s42, exec_lo
	s_delay_alu instid0(VALU_DEP_2)
	v_cmpx_ne_u16_e32 0xff80, v24
	s_cbranch_execz .LBB4_3202
; %bb.3195:                             ;   in Loop: Header=BB4_3183 Depth=3
	v_and_b32_e32 v2, 0x7c, v16
	v_and_b32_e32 v5, 3, v16
	s_delay_alu instid0(VALU_DEP_2) | instskip(SKIP_1) | instid1(SALU_CYCLE_1)
	v_cmp_ne_u32_e32 vcc_lo, 0x7c, v2
                                        ; implicit-def: $vgpr2
	s_and_saveexec_b32 s43, vcc_lo
	s_xor_b32 s43, exec_lo, s43
	s_cbranch_execz .LBB4_3199
; %bb.3196:                             ;   in Loop: Header=BB4_3183 Depth=3
	v_bfe_u32 v2, v16, 2, 5
	s_mov_b32 s72, exec_lo
	s_delay_alu instid0(VALU_DEP_1)
	v_cmpx_eq_u32_e32 0, v2
; %bb.3197:                             ;   in Loop: Header=BB4_3183 Depth=3
	v_clz_i32_u32_e32 v2, v5
	s_delay_alu instid0(VALU_DEP_1) | instskip(NEXT) | instid1(VALU_DEP_1)
	v_min_u32_e32 v2, 32, v2
	v_subrev_nc_u32_e32 v5, 29, v2
	s_delay_alu instid0(VALU_DEP_1) | instskip(NEXT) | instid1(VALU_DEP_1)
	v_lshlrev_b64_e32 v[24:25], v5, v[16:17]
	v_dual_sub_nc_u32 v2, 30, v2 :: v_dual_bitop2_b32 v5, 3, v24 bitop3:0x40
; %bb.3198:                             ;   in Loop: Header=BB4_3183 Depth=3
	s_or_b32 exec_lo, exec_lo, s72
	v_lshlrev_b32_e32 v24, 24, v16
	s_delay_alu instid0(VALU_DEP_1) | instskip(NEXT) | instid1(VALU_DEP_1)
	v_and_b32_e32 v24, 0x80000000, v24
	v_lshl_add_u32 v2, v2, 23, v24
                                        ; implicit-def: $vgpr24
	s_delay_alu instid0(VALU_DEP_1) | instskip(NEXT) | instid1(VALU_DEP_1)
	v_lshl_or_b32 v2, v5, 21, v2
                                        ; implicit-def: $vgpr5
	v_add_nc_u32_e32 v2, 0x38000000, v2
.LBB4_3199:                             ;   in Loop: Header=BB4_3183 Depth=3
	s_and_not1_saveexec_b32 s43, s43
; %bb.3200:                             ;   in Loop: Header=BB4_3183 Depth=3
	v_cmp_lt_i16_e32 vcc_lo, -1, v24
	v_cndmask_b32_e32 v2, 0xff800000, v112, vcc_lo
	v_cmp_eq_u32_e32 vcc_lo, 0, v5
	s_delay_alu instid0(VALU_DEP_2)
	v_cndmask_b32_e32 v2, 0x7f800001, v2, vcc_lo
; %bb.3201:                             ;   in Loop: Header=BB4_3183 Depth=3
	s_or_b32 exec_lo, exec_lo, s43
.LBB4_3202:                             ;   in Loop: Header=BB4_3183 Depth=3
	s_delay_alu instid0(SALU_CYCLE_1)
	s_or_b32 exec_lo, exec_lo, s42
.LBB4_3203:                             ;   in Loop: Header=BB4_3183 Depth=3
	s_delay_alu instid0(SALU_CYCLE_1) | instskip(NEXT) | instid1(VALU_DEP_1)
	s_or_b32 exec_lo, exec_lo, s13
	v_dual_mul_f32 v4, v4, v2 :: v_dual_mov_b32 v25, v3
                                        ; implicit-def: $vgpr28
	s_mov_b32 s13, exec_lo
	s_delay_alu instid0(VALU_DEP_1) | instskip(SKIP_2) | instid1(VALU_DEP_3)
	v_and_b32_e32 v24, 0x7f800000, v4
	v_and_b32_e32 v2, 0x7fffff, v4
	v_lshrrev_b32_e32 v5, 24, v4
	v_cmpx_ne_u64_e32 0x7f800000, v[24:25]
	s_xor_b32 s42, exec_lo, s13
	s_cbranch_execz .LBB4_3217
; %bb.3204:                             ;   in Loop: Header=BB4_3183 Depth=3
	v_and_b32_e32 v24, 0x7fffffff, v4
	v_mov_b32_e32 v25, v3
	v_and_b32_e32 v29, 0x80, v5
                                        ; implicit-def: $vgpr28
	s_mov_b32 s13, exec_lo
	s_delay_alu instid0(VALU_DEP_2)
	v_cmpx_gt_u64_e32 0x47600001, v[24:25]
	s_xor_b32 s43, exec_lo, s13
	s_cbranch_execz .LBB4_3214
; %bb.3205:                             ;   in Loop: Header=BB4_3183 Depth=3
	v_mov_b32_e32 v28, 0
	s_mov_b32 s72, exec_lo
	v_cmpx_ne_u32_e32 0, v4
	s_cbranch_execz .LBB4_3213
; %bb.3206:                             ;   in Loop: Header=BB4_3183 Depth=3
	v_bfe_u32 v28, v4, 23, 8
	v_or_b32_e32 v24, 0x800000, v2
	s_mov_b32 s73, exec_lo
	s_delay_alu instid0(VALU_DEP_2) | instskip(SKIP_1) | instid1(VALU_DEP_2)
	v_dual_mov_b32 v25, v3 :: v_dual_sub_nc_u32 v4, 0x71, v28
	v_cmp_gt_u32_e32 vcc_lo, 0x72, v28
	v_cndmask_b32_e32 v4, 0, v4, vcc_lo
	v_cmp_eq_u32_e32 vcc_lo, 0, v28
	s_delay_alu instid0(VALU_DEP_2) | instskip(SKIP_1) | instid1(VALU_DEP_2)
	v_cndmask_b32_e64 v30, v4, 0x70, vcc_lo
	v_cndmask_b32_e32 v24, v24, v2, vcc_lo
	v_dual_add_nc_u32 v4, 21, v30 :: v_dual_add_nc_u32 v31, 20, v30
	s_delay_alu instid0(VALU_DEP_1) | instskip(NEXT) | instid1(VALU_DEP_2)
	v_lshlrev_b64_e64 v[4:5], v4, -1
	v_lshlrev_b64_e64 v[66:67], v31, 1
	s_delay_alu instid0(VALU_DEP_2) | instskip(NEXT) | instid1(VALU_DEP_3)
	v_bfi_b32 v85, v5, 0, 0
	v_bfi_b32 v84, v4, 0, v24
	v_lshrrev_b64 v[4:5], v30, v[24:25]
	s_delay_alu instid0(VALU_DEP_1) | instskip(NEXT) | instid1(VALU_DEP_3)
	v_mov_b64_e32 v[24:25], v[4:5]
	v_cmpx_eq_u64_e64 v[84:85], v[66:67]
; %bb.3207:                             ;   in Loop: Header=BB4_3183 Depth=3
	v_bfe_u32 v24, v4, 21, 1
	v_mov_b32_e32 v25, v3
	s_delay_alu instid0(VALU_DEP_1) | instskip(NEXT) | instid1(VALU_DEP_1)
	v_add_nc_u64_e32 v[24:25], v[4:5], v[24:25]
	v_add_nc_u64_e32 v[24:25], -1, v[24:25]
; %bb.3208:                             ;   in Loop: Header=BB4_3183 Depth=3
	s_or_b32 exec_lo, exec_lo, s73
	v_add_nc_u32_e32 v2, 0xffffff81, v28
	v_lshrrev_b32_e32 v5, 23, v4
	s_mov_b32 s13, exec_lo
	s_delay_alu instid0(VALU_DEP_2) | instskip(NEXT) | instid1(VALU_DEP_1)
	v_cndmask_b32_e64 v2, v2, 0xffffff82, vcc_lo
	v_add3_u32 v25, v30, v2, v5
	v_and_b32_e32 v2, 0x1fffff, v24
                                        ; implicit-def: $vgpr24
	s_delay_alu instid0(VALU_DEP_1) | instskip(NEXT) | instid1(VALU_DEP_1)
	v_dual_add_nc_u32 v28, 14, v25 :: v_dual_add_nc_u32 v2, v2, v4
                                        ; implicit-def: $vgpr4_vgpr5
	v_cmpx_ne_u32_e32 0, v28
	s_xor_b32 s13, exec_lo, s13
; %bb.3209:                             ;   in Loop: Header=BB4_3183 Depth=3
	s_delay_alu instid0(VALU_DEP_2) | instskip(SKIP_1) | instid1(VALU_DEP_1)
	v_cmp_lt_u64_e32 vcc_lo, 0xffffff, v[2:3]
	v_add_nc_u32_e32 v4, 15, v25
	v_cndmask_b32_e32 v24, v28, v4, vcc_lo
	v_cndmask_b32_e64 v4, 0, 1, vcc_lo
	s_delay_alu instid0(VALU_DEP_1)
	v_lshrrev_b64 v[4:5], v4, v[2:3]
; %bb.3210:                             ;   in Loop: Header=BB4_3183 Depth=3
	s_and_not1_saveexec_b32 s13, s13
; %bb.3211:                             ;   in Loop: Header=BB4_3183 Depth=3
	v_mov_b64_e32 v[4:5], v[2:3]
	v_bfe_u32 v24, v2, 23, 1
; %bb.3212:                             ;   in Loop: Header=BB4_3183 Depth=3
	s_or_b32 exec_lo, exec_lo, s13
	s_delay_alu instid0(VALU_DEP_2) | instskip(NEXT) | instid1(VALU_DEP_2)
	v_lshrrev_b64 v[4:5], 21, v[4:5]
	v_cmp_gt_i32_e32 vcc_lo, 32, v24
	v_min_i32_e32 v2, 31, v24
	v_cmp_eq_u32_e64 s13, 0, v24
	s_delay_alu instid0(VALU_DEP_2) | instskip(SKIP_1) | instid1(VALU_DEP_2)
	v_dual_cndmask_b32 v5, 0, v5 :: v_dual_lshlrev_b32 v2, 2, v2
	v_cndmask_b32_e32 v4, 3, v4, vcc_lo
	v_and_b32_e32 v2, 0xfc, v2
	s_delay_alu instid0(VALU_DEP_2) | instskip(NEXT) | instid1(VALU_DEP_2)
	v_cmp_eq_u64_e32 vcc_lo, 0, v[4:5]
	v_and_or_b32 v2, v4, 3, v2
	s_and_b32 s13, s13, vcc_lo
	s_delay_alu instid0(VALU_DEP_1) | instid1(SALU_CYCLE_1)
	v_cndmask_b32_e64 v2, v2, 0, s13
	s_delay_alu instid0(VALU_DEP_1)
	v_or_b32_e32 v28, v2, v29
.LBB4_3213:                             ;   in Loop: Header=BB4_3183 Depth=3
	s_or_b32 exec_lo, exec_lo, s72
                                        ; implicit-def: $vgpr29
.LBB4_3214:                             ;   in Loop: Header=BB4_3183 Depth=3
	s_and_not1_saveexec_b32 s13, s43
; %bb.3215:                             ;   in Loop: Header=BB4_3183 Depth=3
	v_or_b32_e32 v28, 0x7b, v29
; %bb.3216:                             ;   in Loop: Header=BB4_3183 Depth=3
	s_or_b32 exec_lo, exec_lo, s13
                                        ; implicit-def: $vgpr4
                                        ; implicit-def: $vgpr5
.LBB4_3217:                             ;   in Loop: Header=BB4_3183 Depth=3
	s_and_not1_saveexec_b32 s13, s42
	s_cbranch_execz .LBB4_3223
; %bb.3218:                             ;   in Loop: Header=BB4_3183 Depth=3
	s_mov_b32 s42, exec_lo
                                        ; implicit-def: $vgpr28
	v_cmpx_ne_u64_e32 0, v[2:3]
	s_xor_b32 s42, exec_lo, s42
; %bb.3219:                             ;   in Loop: Header=BB4_3183 Depth=3
	v_or_b32_e32 v28, 0x7f, v5
                                        ; implicit-def: $vgpr4
; %bb.3220:                             ;   in Loop: Header=BB4_3183 Depth=3
	s_and_not1_saveexec_b32 s42, s42
; %bb.3221:                             ;   in Loop: Header=BB4_3183 Depth=3
	v_cmp_lt_i32_e32 vcc_lo, -1, v4
	v_cndmask_b32_e32 v28, 0xfc, v113, vcc_lo
; %bb.3222:                             ;   in Loop: Header=BB4_3183 Depth=3
	s_or_b32 exec_lo, exec_lo, s42
.LBB4_3223:                             ;   in Loop: Header=BB4_3183 Depth=3
	s_delay_alu instid0(SALU_CYCLE_1) | instskip(SKIP_3) | instid1(VALU_DEP_2)
	s_or_b32 exec_lo, exec_lo, s13
	v_lshrrev_b16 v4, 8, v20
	v_dual_mov_b32 v2, 0 :: v_dual_mov_b32 v24, 0
	s_mov_b32 s13, exec_lo
	v_cmpx_ne_u16_e32 0, v4
	s_cbranch_execz .LBB4_3233
; %bb.3224:                             ;   in Loop: Header=BB4_3183 Depth=3
	v_bfrev_b32_e32 v24, 1
	s_mov_b32 s42, exec_lo
	v_cmpx_ne_u16_e32 0x80, v4
	s_cbranch_execz .LBB4_3232
; %bb.3225:                             ;   in Loop: Header=BB4_3183 Depth=3
	v_and_b32_e32 v25, 0xffff, v4
	s_delay_alu instid0(VALU_DEP_1) | instskip(SKIP_1) | instid1(VALU_DEP_2)
	v_and_b32_e32 v24, 0x7c, v25
	v_and_b32_e32 v5, 3, v25
	v_cmp_ne_u32_e32 vcc_lo, 0x7c, v24
                                        ; implicit-def: $vgpr24
	s_and_saveexec_b32 s43, vcc_lo
	s_delay_alu instid0(SALU_CYCLE_1)
	s_xor_b32 s43, exec_lo, s43
	s_cbranch_execz .LBB4_3229
; %bb.3226:                             ;   in Loop: Header=BB4_3183 Depth=3
	v_bfe_u32 v24, v25, 2, 5
	s_mov_b32 s72, exec_lo
	s_delay_alu instid0(VALU_DEP_1)
	v_cmpx_eq_u32_e32 0, v24
	s_cbranch_execz .LBB4_3228
; %bb.3227:                             ;   in Loop: Header=BB4_3183 Depth=3
	v_clz_i32_u32_e32 v5, v5
	s_delay_alu instid0(VALU_DEP_1) | instskip(SKIP_1) | instid1(VALU_DEP_2)
	v_min_u32_e32 v24, 32, v5
	v_mov_b32_e32 v5, v3
	v_subrev_nc_u32_e32 v25, 29, v24
	v_sub_nc_u32_e32 v24, 30, v24
	s_delay_alu instid0(VALU_DEP_2) | instskip(NEXT) | instid1(VALU_DEP_1)
	v_lshlrev_b64_e32 v[4:5], v25, v[4:5]
	v_and_b32_e32 v5, 3, v4
.LBB4_3228:                             ;   in Loop: Header=BB4_3183 Depth=3
	s_or_b32 exec_lo, exec_lo, s72
	v_lshlrev_b32_e32 v4, 16, v20
	s_delay_alu instid0(VALU_DEP_1) | instskip(NEXT) | instid1(VALU_DEP_1)
	v_and_b32_e32 v4, 0x80000000, v4
	v_lshl_add_u32 v4, v24, 23, v4
	s_delay_alu instid0(VALU_DEP_1) | instskip(NEXT) | instid1(VALU_DEP_1)
	v_lshl_or_b32 v4, v5, 21, v4
                                        ; implicit-def: $vgpr5
	v_add_nc_u32_e32 v24, 0x38000000, v4
.LBB4_3229:                             ;   in Loop: Header=BB4_3183 Depth=3
	s_and_not1_saveexec_b32 s43, s43
; %bb.3230:                             ;   in Loop: Header=BB4_3183 Depth=3
	v_cmp_lt_i16_e32 vcc_lo, -1, v20
	v_cndmask_b32_e32 v4, 0xff800000, v112, vcc_lo
	v_cmp_eq_u32_e32 vcc_lo, 0, v5
	s_delay_alu instid0(VALU_DEP_2)
	v_cndmask_b32_e32 v24, 0x7f800001, v4, vcc_lo
; %bb.3231:                             ;   in Loop: Header=BB4_3183 Depth=3
	s_or_b32 exec_lo, exec_lo, s43
.LBB4_3232:                             ;   in Loop: Header=BB4_3183 Depth=3
	s_delay_alu instid0(SALU_CYCLE_1)
	s_or_b32 exec_lo, exec_lo, s42
.LBB4_3233:                             ;   in Loop: Header=BB4_3183 Depth=3
	s_delay_alu instid0(SALU_CYCLE_1) | instskip(SKIP_2) | instid1(VALU_DEP_1)
	s_or_b32 exec_lo, exec_lo, s13
	v_lshrrev_b16 v4, 8, v16
	s_mov_b32 s13, exec_lo
	v_cmpx_ne_u16_e32 0, v4
	s_cbranch_execz .LBB4_3243
; %bb.3234:                             ;   in Loop: Header=BB4_3183 Depth=3
	v_bfrev_b32_e32 v2, 1
	s_mov_b32 s42, exec_lo
	v_cmpx_ne_u16_e32 0x80, v4
	s_cbranch_execz .LBB4_3242
; %bb.3235:                             ;   in Loop: Header=BB4_3183 Depth=3
	v_and_b32_e32 v25, 0xffff, v4
	s_delay_alu instid0(VALU_DEP_1) | instskip(SKIP_1) | instid1(VALU_DEP_2)
	v_and_b32_e32 v2, 0x7c, v25
	v_and_b32_e32 v5, 3, v25
	v_cmp_ne_u32_e32 vcc_lo, 0x7c, v2
                                        ; implicit-def: $vgpr2
	s_and_saveexec_b32 s43, vcc_lo
	s_delay_alu instid0(SALU_CYCLE_1)
	s_xor_b32 s43, exec_lo, s43
	s_cbranch_execz .LBB4_3239
; %bb.3236:                             ;   in Loop: Header=BB4_3183 Depth=3
	v_bfe_u32 v2, v25, 2, 5
	s_mov_b32 s72, exec_lo
	s_delay_alu instid0(VALU_DEP_1)
	v_cmpx_eq_u32_e32 0, v2
	s_cbranch_execz .LBB4_3238
; %bb.3237:                             ;   in Loop: Header=BB4_3183 Depth=3
	v_clz_i32_u32_e32 v2, v5
	s_delay_alu instid0(VALU_DEP_1) | instskip(SKIP_1) | instid1(VALU_DEP_2)
	v_min_u32_e32 v2, 32, v2
	v_mov_b32_e32 v5, v3
	v_subrev_nc_u32_e32 v25, 29, v2
	v_sub_nc_u32_e32 v2, 30, v2
	s_delay_alu instid0(VALU_DEP_2) | instskip(NEXT) | instid1(VALU_DEP_1)
	v_lshlrev_b64_e32 v[4:5], v25, v[4:5]
	v_and_b32_e32 v5, 3, v4
.LBB4_3238:                             ;   in Loop: Header=BB4_3183 Depth=3
	s_or_b32 exec_lo, exec_lo, s72
	v_lshlrev_b32_e32 v4, 16, v16
	s_delay_alu instid0(VALU_DEP_1) | instskip(NEXT) | instid1(VALU_DEP_1)
	v_and_b32_e32 v4, 0x80000000, v4
	v_lshl_add_u32 v2, v2, 23, v4
	s_delay_alu instid0(VALU_DEP_1) | instskip(NEXT) | instid1(VALU_DEP_1)
	v_lshl_or_b32 v2, v5, 21, v2
                                        ; implicit-def: $vgpr5
	v_add_nc_u32_e32 v2, 0x38000000, v2
.LBB4_3239:                             ;   in Loop: Header=BB4_3183 Depth=3
	s_and_not1_saveexec_b32 s43, s43
; %bb.3240:                             ;   in Loop: Header=BB4_3183 Depth=3
	v_cmp_lt_i16_e32 vcc_lo, -1, v16
	v_cndmask_b32_e32 v2, 0xff800000, v112, vcc_lo
	v_cmp_eq_u32_e32 vcc_lo, 0, v5
	s_delay_alu instid0(VALU_DEP_2)
	v_cndmask_b32_e32 v2, 0x7f800001, v2, vcc_lo
; %bb.3241:                             ;   in Loop: Header=BB4_3183 Depth=3
	s_or_b32 exec_lo, exec_lo, s43
.LBB4_3242:                             ;   in Loop: Header=BB4_3183 Depth=3
	s_delay_alu instid0(SALU_CYCLE_1)
	s_or_b32 exec_lo, exec_lo, s42
.LBB4_3243:                             ;   in Loop: Header=BB4_3183 Depth=3
	s_delay_alu instid0(SALU_CYCLE_1) | instskip(NEXT) | instid1(VALU_DEP_1)
	s_or_b32 exec_lo, exec_lo, s13
	v_dual_mul_f32 v4, v24, v2 :: v_dual_mov_b32 v25, v3
                                        ; implicit-def: $vgpr29
	s_mov_b32 s13, exec_lo
	s_delay_alu instid0(VALU_DEP_1) | instskip(SKIP_2) | instid1(VALU_DEP_3)
	v_and_b32_e32 v24, 0x7f800000, v4
	v_and_b32_e32 v2, 0x7fffff, v4
	v_lshrrev_b32_e32 v5, 24, v4
	v_cmpx_ne_u64_e32 0x7f800000, v[24:25]
	s_xor_b32 s42, exec_lo, s13
	s_cbranch_execz .LBB4_3257
; %bb.3244:                             ;   in Loop: Header=BB4_3183 Depth=3
	v_and_b32_e32 v24, 0x7fffffff, v4
	v_mov_b32_e32 v25, v3
	v_and_b32_e32 v30, 0x80, v5
                                        ; implicit-def: $vgpr29
	s_mov_b32 s13, exec_lo
	s_delay_alu instid0(VALU_DEP_2)
	v_cmpx_gt_u64_e32 0x47600001, v[24:25]
	s_xor_b32 s43, exec_lo, s13
	s_cbranch_execz .LBB4_3254
; %bb.3245:                             ;   in Loop: Header=BB4_3183 Depth=3
	v_mov_b32_e32 v29, 0
	s_mov_b32 s72, exec_lo
	v_cmpx_ne_u32_e32 0, v4
	s_cbranch_execz .LBB4_3253
; %bb.3246:                             ;   in Loop: Header=BB4_3183 Depth=3
	v_bfe_u32 v29, v4, 23, 8
	v_or_b32_e32 v24, 0x800000, v2
	s_mov_b32 s73, exec_lo
	s_delay_alu instid0(VALU_DEP_2) | instskip(SKIP_1) | instid1(VALU_DEP_2)
	v_dual_mov_b32 v25, v3 :: v_dual_sub_nc_u32 v4, 0x71, v29
	v_cmp_gt_u32_e32 vcc_lo, 0x72, v29
	v_cndmask_b32_e32 v4, 0, v4, vcc_lo
	v_cmp_eq_u32_e32 vcc_lo, 0, v29
	s_delay_alu instid0(VALU_DEP_2) | instskip(NEXT) | instid1(VALU_DEP_1)
	v_cndmask_b32_e64 v31, v4, 0x70, vcc_lo
	v_dual_cndmask_b32 v24, v24, v2, vcc_lo :: v_dual_add_nc_u32 v4, 21, v31
	v_add_nc_u32_e32 v66, 20, v31
	s_delay_alu instid0(VALU_DEP_2) | instskip(NEXT) | instid1(VALU_DEP_2)
	v_lshlrev_b64_e64 v[4:5], v4, -1
	v_lshlrev_b64_e64 v[66:67], v66, 1
	s_delay_alu instid0(VALU_DEP_2) | instskip(NEXT) | instid1(VALU_DEP_3)
	v_bfi_b32 v85, v5, 0, 0
	v_bfi_b32 v84, v4, 0, v24
	v_lshrrev_b64 v[4:5], v31, v[24:25]
	s_delay_alu instid0(VALU_DEP_1) | instskip(NEXT) | instid1(VALU_DEP_3)
	v_mov_b64_e32 v[24:25], v[4:5]
	v_cmpx_eq_u64_e64 v[84:85], v[66:67]
; %bb.3247:                             ;   in Loop: Header=BB4_3183 Depth=3
	v_bfe_u32 v24, v4, 21, 1
	v_mov_b32_e32 v25, v3
	s_delay_alu instid0(VALU_DEP_1) | instskip(NEXT) | instid1(VALU_DEP_1)
	v_add_nc_u64_e32 v[24:25], v[4:5], v[24:25]
	v_add_nc_u64_e32 v[24:25], -1, v[24:25]
; %bb.3248:                             ;   in Loop: Header=BB4_3183 Depth=3
	s_or_b32 exec_lo, exec_lo, s73
	v_add_nc_u32_e32 v2, 0xffffff81, v29
	v_lshrrev_b32_e32 v5, 23, v4
	s_mov_b32 s13, exec_lo
	s_delay_alu instid0(VALU_DEP_2) | instskip(NEXT) | instid1(VALU_DEP_1)
	v_cndmask_b32_e64 v2, v2, 0xffffff82, vcc_lo
	v_add3_u32 v25, v31, v2, v5
	v_and_b32_e32 v2, 0x1fffff, v24
                                        ; implicit-def: $vgpr24
	s_delay_alu instid0(VALU_DEP_1) | instskip(NEXT) | instid1(VALU_DEP_1)
	v_dual_add_nc_u32 v29, 14, v25 :: v_dual_add_nc_u32 v2, v2, v4
                                        ; implicit-def: $vgpr4_vgpr5
	v_cmpx_ne_u32_e32 0, v29
	s_xor_b32 s13, exec_lo, s13
; %bb.3249:                             ;   in Loop: Header=BB4_3183 Depth=3
	s_delay_alu instid0(VALU_DEP_2) | instskip(SKIP_1) | instid1(VALU_DEP_1)
	v_cmp_lt_u64_e32 vcc_lo, 0xffffff, v[2:3]
	v_add_nc_u32_e32 v4, 15, v25
	v_cndmask_b32_e32 v24, v29, v4, vcc_lo
	v_cndmask_b32_e64 v4, 0, 1, vcc_lo
	s_delay_alu instid0(VALU_DEP_1)
	v_lshrrev_b64 v[4:5], v4, v[2:3]
; %bb.3250:                             ;   in Loop: Header=BB4_3183 Depth=3
	s_and_not1_saveexec_b32 s13, s13
; %bb.3251:                             ;   in Loop: Header=BB4_3183 Depth=3
	v_mov_b64_e32 v[4:5], v[2:3]
	v_bfe_u32 v24, v2, 23, 1
; %bb.3252:                             ;   in Loop: Header=BB4_3183 Depth=3
	s_or_b32 exec_lo, exec_lo, s13
	s_delay_alu instid0(VALU_DEP_2) | instskip(NEXT) | instid1(VALU_DEP_2)
	v_lshrrev_b64 v[4:5], 21, v[4:5]
	v_cmp_gt_i32_e32 vcc_lo, 32, v24
	v_min_i32_e32 v2, 31, v24
	v_cmp_eq_u32_e64 s13, 0, v24
	s_delay_alu instid0(VALU_DEP_2) | instskip(SKIP_1) | instid1(VALU_DEP_2)
	v_dual_cndmask_b32 v5, 0, v5 :: v_dual_lshlrev_b32 v2, 2, v2
	v_cndmask_b32_e32 v4, 3, v4, vcc_lo
	v_and_b32_e32 v2, 0xfc, v2
	s_delay_alu instid0(VALU_DEP_2) | instskip(NEXT) | instid1(VALU_DEP_2)
	v_cmp_eq_u64_e32 vcc_lo, 0, v[4:5]
	v_and_or_b32 v2, v4, 3, v2
	s_and_b32 s13, s13, vcc_lo
	s_delay_alu instid0(VALU_DEP_1) | instid1(SALU_CYCLE_1)
	v_cndmask_b32_e64 v2, v2, 0, s13
	s_delay_alu instid0(VALU_DEP_1)
	v_or_b32_e32 v29, v2, v30
.LBB4_3253:                             ;   in Loop: Header=BB4_3183 Depth=3
	s_or_b32 exec_lo, exec_lo, s72
                                        ; implicit-def: $vgpr30
.LBB4_3254:                             ;   in Loop: Header=BB4_3183 Depth=3
	s_and_not1_saveexec_b32 s13, s43
; %bb.3255:                             ;   in Loop: Header=BB4_3183 Depth=3
	v_or_b32_e32 v29, 0x7b, v30
; %bb.3256:                             ;   in Loop: Header=BB4_3183 Depth=3
	s_or_b32 exec_lo, exec_lo, s13
                                        ; implicit-def: $vgpr4
                                        ; implicit-def: $vgpr5
.LBB4_3257:                             ;   in Loop: Header=BB4_3183 Depth=3
	s_and_not1_saveexec_b32 s13, s42
	s_cbranch_execz .LBB4_3263
; %bb.3258:                             ;   in Loop: Header=BB4_3183 Depth=3
	s_mov_b32 s42, exec_lo
                                        ; implicit-def: $vgpr29
	v_cmpx_ne_u64_e32 0, v[2:3]
	s_xor_b32 s42, exec_lo, s42
; %bb.3259:                             ;   in Loop: Header=BB4_3183 Depth=3
	v_or_b32_e32 v29, 0x7f, v5
                                        ; implicit-def: $vgpr4
; %bb.3260:                             ;   in Loop: Header=BB4_3183 Depth=3
	s_and_not1_saveexec_b32 s42, s42
; %bb.3261:                             ;   in Loop: Header=BB4_3183 Depth=3
	v_cmp_lt_i32_e32 vcc_lo, -1, v4
	v_cndmask_b32_e32 v29, 0xfc, v113, vcc_lo
; %bb.3262:                             ;   in Loop: Header=BB4_3183 Depth=3
	s_or_b32 exec_lo, exec_lo, s42
.LBB4_3263:                             ;   in Loop: Header=BB4_3183 Depth=3
	s_delay_alu instid0(SALU_CYCLE_1) | instskip(SKIP_3) | instid1(VALU_DEP_2)
	s_or_b32 exec_lo, exec_lo, s13
	v_dual_lshrrev_b32 v2, 16, v20 :: v_dual_mov_b32 v4, 0
	v_mov_b32_e32 v5, 0
	s_mov_b32 s13, exec_lo
	v_and_b32_e32 v24, 0xff, v2
	s_delay_alu instid0(VALU_DEP_1)
	v_cmpx_ne_u16_e32 0, v24
	s_cbranch_execz .LBB4_3273
; %bb.3264:                             ;   in Loop: Header=BB4_3183 Depth=3
	v_bfrev_b32_e32 v5, 1
	s_mov_b32 s42, exec_lo
	v_cmpx_ne_u16_e32 0x80, v24
	s_cbranch_execz .LBB4_3272
; %bb.3265:                             ;   in Loop: Header=BB4_3183 Depth=3
	v_and_b32_e32 v5, 0x7c0000, v20
	v_bfe_u32 v24, v20, 16, 2
	s_delay_alu instid0(VALU_DEP_2) | instskip(SKIP_1) | instid1(SALU_CYCLE_1)
	v_cmp_ne_u32_e32 vcc_lo, 0x7c0000, v5
                                        ; implicit-def: $vgpr5
	s_and_saveexec_b32 s43, vcc_lo
	s_xor_b32 s43, exec_lo, s43
	s_cbranch_execz .LBB4_3269
; %bb.3266:                             ;   in Loop: Header=BB4_3183 Depth=3
	v_bfe_u32 v5, v20, 18, 5
	s_mov_b32 s72, exec_lo
	s_delay_alu instid0(VALU_DEP_1)
	v_cmpx_eq_u32_e32 0, v5
; %bb.3267:                             ;   in Loop: Header=BB4_3183 Depth=3
	v_clz_i32_u32_e32 v5, v24
	s_delay_alu instid0(VALU_DEP_1) | instskip(NEXT) | instid1(VALU_DEP_1)
	v_min_u32_e32 v5, 32, v5
	v_subrev_nc_u32_e32 v24, 29, v5
	s_delay_alu instid0(VALU_DEP_1) | instskip(NEXT) | instid1(VALU_DEP_1)
	v_lshlrev_b64_e32 v[24:25], v24, v[2:3]
	v_dual_sub_nc_u32 v5, 30, v5 :: v_dual_bitop2_b32 v24, 3, v24 bitop3:0x40
; %bb.3268:                             ;   in Loop: Header=BB4_3183 Depth=3
	s_or_b32 exec_lo, exec_lo, s72
	v_lshlrev_b32_e32 v2, 24, v2
	s_delay_alu instid0(VALU_DEP_1) | instskip(NEXT) | instid1(VALU_DEP_1)
	v_and_b32_e32 v2, 0x80000000, v2
	v_lshl_add_u32 v2, v5, 23, v2
	s_delay_alu instid0(VALU_DEP_1) | instskip(NEXT) | instid1(VALU_DEP_1)
	v_lshl_or_b32 v2, v24, 21, v2
                                        ; implicit-def: $vgpr24
	v_add_nc_u32_e32 v5, 0x38000000, v2
                                        ; implicit-def: $vgpr2
.LBB4_3269:                             ;   in Loop: Header=BB4_3183 Depth=3
	s_and_not1_saveexec_b32 s43, s43
; %bb.3270:                             ;   in Loop: Header=BB4_3183 Depth=3
	v_bfe_i32 v2, v2, 0, 8
	s_delay_alu instid0(VALU_DEP_1) | instskip(SKIP_2) | instid1(VALU_DEP_2)
	v_cmp_lt_i16_e32 vcc_lo, -1, v2
	v_cndmask_b32_e32 v2, 0xff800000, v112, vcc_lo
	v_cmp_eq_u32_e32 vcc_lo, 0, v24
	v_cndmask_b32_e32 v5, 0x7f800001, v2, vcc_lo
; %bb.3271:                             ;   in Loop: Header=BB4_3183 Depth=3
	s_or_b32 exec_lo, exec_lo, s43
.LBB4_3272:                             ;   in Loop: Header=BB4_3183 Depth=3
	s_delay_alu instid0(SALU_CYCLE_1)
	s_or_b32 exec_lo, exec_lo, s42
.LBB4_3273:                             ;   in Loop: Header=BB4_3183 Depth=3
	s_delay_alu instid0(SALU_CYCLE_1) | instskip(SKIP_2) | instid1(VALU_DEP_1)
	s_or_b32 exec_lo, exec_lo, s13
	v_lshrrev_b32_e32 v2, 16, v16
	s_mov_b32 s13, exec_lo
	v_and_b32_e32 v24, 0xff, v2
	s_delay_alu instid0(VALU_DEP_1)
	v_cmpx_ne_u16_e32 0, v24
	s_cbranch_execz .LBB4_3283
; %bb.3274:                             ;   in Loop: Header=BB4_3183 Depth=3
	v_bfrev_b32_e32 v4, 1
	s_mov_b32 s42, exec_lo
	v_cmpx_ne_u16_e32 0x80, v24
	s_cbranch_execz .LBB4_3282
; %bb.3275:                             ;   in Loop: Header=BB4_3183 Depth=3
	v_and_b32_e32 v4, 0x7c0000, v16
	v_bfe_u32 v24, v16, 16, 2
	s_delay_alu instid0(VALU_DEP_2) | instskip(SKIP_1) | instid1(SALU_CYCLE_1)
	v_cmp_ne_u32_e32 vcc_lo, 0x7c0000, v4
                                        ; implicit-def: $vgpr4
	s_and_saveexec_b32 s43, vcc_lo
	s_xor_b32 s43, exec_lo, s43
	s_cbranch_execz .LBB4_3279
; %bb.3276:                             ;   in Loop: Header=BB4_3183 Depth=3
	v_bfe_u32 v4, v16, 18, 5
	s_mov_b32 s72, exec_lo
	s_delay_alu instid0(VALU_DEP_1)
	v_cmpx_eq_u32_e32 0, v4
; %bb.3277:                             ;   in Loop: Header=BB4_3183 Depth=3
	v_clz_i32_u32_e32 v4, v24
	s_delay_alu instid0(VALU_DEP_1) | instskip(NEXT) | instid1(VALU_DEP_1)
	v_min_u32_e32 v4, 32, v4
	v_subrev_nc_u32_e32 v24, 29, v4
	v_sub_nc_u32_e32 v4, 30, v4
	s_delay_alu instid0(VALU_DEP_2) | instskip(NEXT) | instid1(VALU_DEP_1)
	v_lshlrev_b64_e32 v[24:25], v24, v[2:3]
	v_and_b32_e32 v24, 3, v24
; %bb.3278:                             ;   in Loop: Header=BB4_3183 Depth=3
	s_or_b32 exec_lo, exec_lo, s72
	v_lshlrev_b32_e32 v2, 24, v2
	s_delay_alu instid0(VALU_DEP_1) | instskip(NEXT) | instid1(VALU_DEP_1)
	v_and_b32_e32 v2, 0x80000000, v2
	v_lshl_add_u32 v2, v4, 23, v2
	s_delay_alu instid0(VALU_DEP_1) | instskip(NEXT) | instid1(VALU_DEP_1)
	v_lshl_or_b32 v2, v24, 21, v2
                                        ; implicit-def: $vgpr24
	v_add_nc_u32_e32 v4, 0x38000000, v2
                                        ; implicit-def: $vgpr2
.LBB4_3279:                             ;   in Loop: Header=BB4_3183 Depth=3
	s_and_not1_saveexec_b32 s43, s43
; %bb.3280:                             ;   in Loop: Header=BB4_3183 Depth=3
	v_bfe_i32 v2, v2, 0, 8
	s_delay_alu instid0(VALU_DEP_1) | instskip(SKIP_2) | instid1(VALU_DEP_2)
	v_cmp_lt_i16_e32 vcc_lo, -1, v2
	v_cndmask_b32_e32 v2, 0xff800000, v112, vcc_lo
	v_cmp_eq_u32_e32 vcc_lo, 0, v24
	v_cndmask_b32_e32 v4, 0x7f800001, v2, vcc_lo
; %bb.3281:                             ;   in Loop: Header=BB4_3183 Depth=3
	s_or_b32 exec_lo, exec_lo, s43
.LBB4_3282:                             ;   in Loop: Header=BB4_3183 Depth=3
	s_delay_alu instid0(SALU_CYCLE_1)
	s_or_b32 exec_lo, exec_lo, s42
.LBB4_3283:                             ;   in Loop: Header=BB4_3183 Depth=3
	s_delay_alu instid0(SALU_CYCLE_1) | instskip(NEXT) | instid1(VALU_DEP_1)
	s_or_b32 exec_lo, exec_lo, s13
	v_dual_mul_f32 v4, v5, v4 :: v_dual_mov_b32 v25, v3
                                        ; implicit-def: $vgpr30
	s_mov_b32 s13, exec_lo
	s_delay_alu instid0(VALU_DEP_1) | instskip(SKIP_2) | instid1(VALU_DEP_3)
	v_and_b32_e32 v24, 0x7f800000, v4
	v_and_b32_e32 v2, 0x7fffff, v4
	v_lshrrev_b32_e32 v5, 24, v4
	v_cmpx_ne_u64_e32 0x7f800000, v[24:25]
	s_xor_b32 s42, exec_lo, s13
	s_cbranch_execz .LBB4_3297
; %bb.3284:                             ;   in Loop: Header=BB4_3183 Depth=3
	v_and_b32_e32 v24, 0x7fffffff, v4
	v_mov_b32_e32 v25, v3
	v_and_b32_e32 v31, 0x80, v5
                                        ; implicit-def: $vgpr30
	s_mov_b32 s13, exec_lo
	s_delay_alu instid0(VALU_DEP_2)
	v_cmpx_gt_u64_e32 0x47600001, v[24:25]
	s_xor_b32 s43, exec_lo, s13
	s_cbranch_execz .LBB4_3294
; %bb.3285:                             ;   in Loop: Header=BB4_3183 Depth=3
	v_mov_b32_e32 v30, 0
	s_mov_b32 s72, exec_lo
	v_cmpx_ne_u32_e32 0, v4
	s_cbranch_execz .LBB4_3293
; %bb.3286:                             ;   in Loop: Header=BB4_3183 Depth=3
	v_bfe_u32 v30, v4, 23, 8
	v_or_b32_e32 v24, 0x800000, v2
	s_mov_b32 s73, exec_lo
	s_delay_alu instid0(VALU_DEP_2) | instskip(SKIP_1) | instid1(VALU_DEP_2)
	v_dual_mov_b32 v25, v3 :: v_dual_sub_nc_u32 v4, 0x71, v30
	v_cmp_gt_u32_e32 vcc_lo, 0x72, v30
	v_cndmask_b32_e32 v4, 0, v4, vcc_lo
	v_cmp_eq_u32_e32 vcc_lo, 0, v30
	s_delay_alu instid0(VALU_DEP_2) | instskip(SKIP_1) | instid1(VALU_DEP_2)
	v_cndmask_b32_e64 v66, v4, 0x70, vcc_lo
	v_cndmask_b32_e32 v24, v24, v2, vcc_lo
	v_dual_add_nc_u32 v4, 21, v66 :: v_dual_add_nc_u32 v67, 20, v66
	s_delay_alu instid0(VALU_DEP_1) | instskip(NEXT) | instid1(VALU_DEP_2)
	v_lshlrev_b64_e64 v[4:5], v4, -1
	v_lshlrev_b64_e64 v[84:85], v67, 1
	s_delay_alu instid0(VALU_DEP_2) | instskip(NEXT) | instid1(VALU_DEP_3)
	v_bfi_b32 v101, v5, 0, 0
	v_bfi_b32 v100, v4, 0, v24
	v_lshrrev_b64 v[4:5], v66, v[24:25]
	s_delay_alu instid0(VALU_DEP_1) | instskip(NEXT) | instid1(VALU_DEP_3)
	v_mov_b64_e32 v[24:25], v[4:5]
	v_cmpx_eq_u64_e64 v[100:101], v[84:85]
; %bb.3287:                             ;   in Loop: Header=BB4_3183 Depth=3
	v_bfe_u32 v24, v4, 21, 1
	v_mov_b32_e32 v25, v3
	s_delay_alu instid0(VALU_DEP_1) | instskip(NEXT) | instid1(VALU_DEP_1)
	v_add_nc_u64_e32 v[24:25], v[4:5], v[24:25]
	v_add_nc_u64_e32 v[24:25], -1, v[24:25]
; %bb.3288:                             ;   in Loop: Header=BB4_3183 Depth=3
	s_or_b32 exec_lo, exec_lo, s73
	v_add_nc_u32_e32 v2, 0xffffff81, v30
	v_lshrrev_b32_e32 v5, 23, v4
	s_mov_b32 s13, exec_lo
	s_delay_alu instid0(VALU_DEP_2) | instskip(NEXT) | instid1(VALU_DEP_1)
	v_cndmask_b32_e64 v2, v2, 0xffffff82, vcc_lo
	v_add3_u32 v25, v66, v2, v5
	v_and_b32_e32 v2, 0x1fffff, v24
                                        ; implicit-def: $vgpr24
	s_delay_alu instid0(VALU_DEP_1) | instskip(NEXT) | instid1(VALU_DEP_1)
	v_dual_add_nc_u32 v30, 14, v25 :: v_dual_add_nc_u32 v2, v2, v4
                                        ; implicit-def: $vgpr4_vgpr5
	v_cmpx_ne_u32_e32 0, v30
	s_xor_b32 s13, exec_lo, s13
; %bb.3289:                             ;   in Loop: Header=BB4_3183 Depth=3
	s_delay_alu instid0(VALU_DEP_2) | instskip(SKIP_1) | instid1(VALU_DEP_1)
	v_cmp_lt_u64_e32 vcc_lo, 0xffffff, v[2:3]
	v_add_nc_u32_e32 v4, 15, v25
	v_cndmask_b32_e32 v24, v30, v4, vcc_lo
	v_cndmask_b32_e64 v4, 0, 1, vcc_lo
	s_delay_alu instid0(VALU_DEP_1)
	v_lshrrev_b64 v[4:5], v4, v[2:3]
; %bb.3290:                             ;   in Loop: Header=BB4_3183 Depth=3
	s_and_not1_saveexec_b32 s13, s13
; %bb.3291:                             ;   in Loop: Header=BB4_3183 Depth=3
	v_mov_b64_e32 v[4:5], v[2:3]
	v_bfe_u32 v24, v2, 23, 1
; %bb.3292:                             ;   in Loop: Header=BB4_3183 Depth=3
	s_or_b32 exec_lo, exec_lo, s13
	s_delay_alu instid0(VALU_DEP_2) | instskip(NEXT) | instid1(VALU_DEP_2)
	v_lshrrev_b64 v[4:5], 21, v[4:5]
	v_cmp_gt_i32_e32 vcc_lo, 32, v24
	v_min_i32_e32 v2, 31, v24
	v_cmp_eq_u32_e64 s13, 0, v24
	s_delay_alu instid0(VALU_DEP_2) | instskip(SKIP_1) | instid1(VALU_DEP_2)
	v_dual_cndmask_b32 v5, 0, v5 :: v_dual_lshlrev_b32 v2, 2, v2
	v_cndmask_b32_e32 v4, 3, v4, vcc_lo
	v_and_b32_e32 v2, 0xfc, v2
	s_delay_alu instid0(VALU_DEP_2) | instskip(NEXT) | instid1(VALU_DEP_2)
	v_cmp_eq_u64_e32 vcc_lo, 0, v[4:5]
	v_and_or_b32 v2, v4, 3, v2
	s_and_b32 s13, s13, vcc_lo
	s_delay_alu instid0(VALU_DEP_1) | instid1(SALU_CYCLE_1)
	v_cndmask_b32_e64 v2, v2, 0, s13
	s_delay_alu instid0(VALU_DEP_1)
	v_or_b32_e32 v30, v2, v31
.LBB4_3293:                             ;   in Loop: Header=BB4_3183 Depth=3
	s_or_b32 exec_lo, exec_lo, s72
                                        ; implicit-def: $vgpr31
.LBB4_3294:                             ;   in Loop: Header=BB4_3183 Depth=3
	s_and_not1_saveexec_b32 s13, s43
; %bb.3295:                             ;   in Loop: Header=BB4_3183 Depth=3
	v_or_b32_e32 v30, 0x7b, v31
; %bb.3296:                             ;   in Loop: Header=BB4_3183 Depth=3
	s_or_b32 exec_lo, exec_lo, s13
                                        ; implicit-def: $vgpr4
                                        ; implicit-def: $vgpr5
.LBB4_3297:                             ;   in Loop: Header=BB4_3183 Depth=3
	s_and_not1_saveexec_b32 s13, s42
	s_cbranch_execz .LBB4_3303
; %bb.3298:                             ;   in Loop: Header=BB4_3183 Depth=3
	s_mov_b32 s42, exec_lo
                                        ; implicit-def: $vgpr30
	v_cmpx_ne_u64_e32 0, v[2:3]
	s_xor_b32 s42, exec_lo, s42
; %bb.3299:                             ;   in Loop: Header=BB4_3183 Depth=3
	v_or_b32_e32 v30, 0x7f, v5
                                        ; implicit-def: $vgpr4
; %bb.3300:                             ;   in Loop: Header=BB4_3183 Depth=3
	s_and_not1_saveexec_b32 s42, s42
; %bb.3301:                             ;   in Loop: Header=BB4_3183 Depth=3
	v_cmp_lt_i32_e32 vcc_lo, -1, v4
	v_cndmask_b32_e32 v30, 0xfc, v113, vcc_lo
; %bb.3302:                             ;   in Loop: Header=BB4_3183 Depth=3
	s_or_b32 exec_lo, exec_lo, s42
.LBB4_3303:                             ;   in Loop: Header=BB4_3183 Depth=3
	s_delay_alu instid0(SALU_CYCLE_1)
	s_or_b32 exec_lo, exec_lo, s13
	v_dual_mov_b32 v4, 0 :: v_dual_mov_b32 v5, 0
	s_mov_b32 s13, exec_lo
	v_cmpx_lt_u32_e32 0xffffff, v20
	s_cbranch_execz .LBB4_3313
; %bb.3304:                             ;   in Loop: Header=BB4_3183 Depth=3
	v_lshrrev_b32_e32 v2, 24, v20
	v_bfrev_b32_e32 v5, 1
	s_mov_b32 s42, exec_lo
	s_delay_alu instid0(VALU_DEP_2)
	v_cmpx_ne_u32_e32 0x80, v2
	s_cbranch_execz .LBB4_3312
; %bb.3305:                             ;   in Loop: Header=BB4_3183 Depth=3
	v_and_b32_e32 v5, 0x7c000000, v20
	v_bfe_u32 v24, v20, 24, 2
	s_delay_alu instid0(VALU_DEP_2) | instskip(SKIP_1) | instid1(SALU_CYCLE_1)
	v_cmp_ne_u32_e32 vcc_lo, 0x7c000000, v5
                                        ; implicit-def: $vgpr5
	s_and_saveexec_b32 s43, vcc_lo
	s_xor_b32 s43, exec_lo, s43
	s_cbranch_execz .LBB4_3309
; %bb.3306:                             ;   in Loop: Header=BB4_3183 Depth=3
	v_bfe_u32 v5, v20, 26, 5
	s_mov_b32 s72, exec_lo
	s_delay_alu instid0(VALU_DEP_1)
	v_cmpx_eq_u32_e32 0, v5
; %bb.3307:                             ;   in Loop: Header=BB4_3183 Depth=3
	v_clz_i32_u32_e32 v5, v24
	s_delay_alu instid0(VALU_DEP_1) | instskip(NEXT) | instid1(VALU_DEP_1)
	v_min_u32_e32 v5, 32, v5
	v_subrev_nc_u32_e32 v24, 29, v5
	s_delay_alu instid0(VALU_DEP_1) | instskip(NEXT) | instid1(VALU_DEP_1)
	v_lshlrev_b64_e32 v[24:25], v24, v[2:3]
	v_dual_sub_nc_u32 v5, 30, v5 :: v_dual_bitop2_b32 v24, 3, v24 bitop3:0x40
; %bb.3308:                             ;   in Loop: Header=BB4_3183 Depth=3
	s_or_b32 exec_lo, exec_lo, s72
	v_and_b32_e32 v2, 0x80000000, v20
	s_delay_alu instid0(VALU_DEP_1) | instskip(NEXT) | instid1(VALU_DEP_1)
	v_lshl_add_u32 v2, v5, 23, v2
	v_lshl_or_b32 v2, v24, 21, v2
                                        ; implicit-def: $vgpr24
	s_delay_alu instid0(VALU_DEP_1)
	v_add_nc_u32_e32 v5, 0x38000000, v2
.LBB4_3309:                             ;   in Loop: Header=BB4_3183 Depth=3
	s_and_not1_saveexec_b32 s43, s43
; %bb.3310:                             ;   in Loop: Header=BB4_3183 Depth=3
	v_cmp_lt_i32_e32 vcc_lo, -1, v20
	v_cndmask_b32_e32 v2, 0xff800000, v112, vcc_lo
	v_cmp_eq_u32_e32 vcc_lo, 0, v24
	s_delay_alu instid0(VALU_DEP_2)
	v_cndmask_b32_e32 v5, 0x7f800001, v2, vcc_lo
; %bb.3311:                             ;   in Loop: Header=BB4_3183 Depth=3
	s_or_b32 exec_lo, exec_lo, s43
.LBB4_3312:                             ;   in Loop: Header=BB4_3183 Depth=3
	s_delay_alu instid0(SALU_CYCLE_1)
	s_or_b32 exec_lo, exec_lo, s42
.LBB4_3313:                             ;   in Loop: Header=BB4_3183 Depth=3
	s_delay_alu instid0(SALU_CYCLE_1) | instskip(NEXT) | instid1(SALU_CYCLE_1)
	s_or_b32 exec_lo, exec_lo, s13
	s_mov_b32 s13, exec_lo
	v_cmpx_lt_u32_e32 0xffffff, v16
	s_cbranch_execz .LBB4_3323
; %bb.3314:                             ;   in Loop: Header=BB4_3183 Depth=3
	v_lshrrev_b32_e32 v2, 24, v16
	v_bfrev_b32_e32 v4, 1
	s_mov_b32 s42, exec_lo
	s_delay_alu instid0(VALU_DEP_2)
	v_cmpx_ne_u32_e32 0x80, v2
	s_cbranch_execz .LBB4_3322
; %bb.3315:                             ;   in Loop: Header=BB4_3183 Depth=3
	v_and_b32_e32 v4, 0x7c000000, v16
	v_bfe_u32 v24, v16, 24, 2
	s_delay_alu instid0(VALU_DEP_2) | instskip(SKIP_1) | instid1(SALU_CYCLE_1)
	v_cmp_ne_u32_e32 vcc_lo, 0x7c000000, v4
                                        ; implicit-def: $vgpr4
	s_and_saveexec_b32 s43, vcc_lo
	s_xor_b32 s43, exec_lo, s43
	s_cbranch_execz .LBB4_3319
; %bb.3316:                             ;   in Loop: Header=BB4_3183 Depth=3
	v_bfe_u32 v4, v16, 26, 5
	s_mov_b32 s72, exec_lo
	s_delay_alu instid0(VALU_DEP_1)
	v_cmpx_eq_u32_e32 0, v4
; %bb.3317:                             ;   in Loop: Header=BB4_3183 Depth=3
	v_clz_i32_u32_e32 v4, v24
	s_delay_alu instid0(VALU_DEP_1) | instskip(NEXT) | instid1(VALU_DEP_1)
	v_min_u32_e32 v4, 32, v4
	v_subrev_nc_u32_e32 v24, 29, v4
	v_sub_nc_u32_e32 v4, 30, v4
	s_delay_alu instid0(VALU_DEP_2) | instskip(NEXT) | instid1(VALU_DEP_1)
	v_lshlrev_b64_e32 v[24:25], v24, v[2:3]
	v_and_b32_e32 v24, 3, v24
; %bb.3318:                             ;   in Loop: Header=BB4_3183 Depth=3
	s_or_b32 exec_lo, exec_lo, s72
	v_and_b32_e32 v2, 0x80000000, v16
	s_delay_alu instid0(VALU_DEP_1) | instskip(NEXT) | instid1(VALU_DEP_1)
	v_lshl_add_u32 v2, v4, 23, v2
	v_lshl_or_b32 v2, v24, 21, v2
                                        ; implicit-def: $vgpr24
	s_delay_alu instid0(VALU_DEP_1)
	v_add_nc_u32_e32 v4, 0x38000000, v2
.LBB4_3319:                             ;   in Loop: Header=BB4_3183 Depth=3
	s_and_not1_saveexec_b32 s43, s43
; %bb.3320:                             ;   in Loop: Header=BB4_3183 Depth=3
	v_cmp_lt_i32_e32 vcc_lo, -1, v16
	v_cndmask_b32_e32 v2, 0xff800000, v112, vcc_lo
	v_cmp_eq_u32_e32 vcc_lo, 0, v24
	s_delay_alu instid0(VALU_DEP_2)
	v_cndmask_b32_e32 v4, 0x7f800001, v2, vcc_lo
; %bb.3321:                             ;   in Loop: Header=BB4_3183 Depth=3
	s_or_b32 exec_lo, exec_lo, s43
.LBB4_3322:                             ;   in Loop: Header=BB4_3183 Depth=3
	s_delay_alu instid0(SALU_CYCLE_1)
	s_or_b32 exec_lo, exec_lo, s42
.LBB4_3323:                             ;   in Loop: Header=BB4_3183 Depth=3
	s_delay_alu instid0(SALU_CYCLE_1) | instskip(NEXT) | instid1(VALU_DEP_1)
	s_or_b32 exec_lo, exec_lo, s13
	v_dual_mul_f32 v4, v5, v4 :: v_dual_mov_b32 v25, v3
                                        ; implicit-def: $vgpr31
	s_mov_b32 s13, exec_lo
	s_delay_alu instid0(VALU_DEP_1) | instskip(SKIP_2) | instid1(VALU_DEP_3)
	v_and_b32_e32 v24, 0x7f800000, v4
	v_and_b32_e32 v2, 0x7fffff, v4
	v_lshrrev_b32_e32 v5, 24, v4
	v_cmpx_ne_u64_e32 0x7f800000, v[24:25]
	s_xor_b32 s42, exec_lo, s13
	s_cbranch_execz .LBB4_3337
; %bb.3324:                             ;   in Loop: Header=BB4_3183 Depth=3
	v_and_b32_e32 v24, 0x7fffffff, v4
	v_mov_b32_e32 v25, v3
	v_and_b32_e32 v66, 0x80, v5
                                        ; implicit-def: $vgpr31
	s_mov_b32 s13, exec_lo
	s_delay_alu instid0(VALU_DEP_2)
	v_cmpx_gt_u64_e32 0x47600001, v[24:25]
	s_xor_b32 s43, exec_lo, s13
	s_cbranch_execz .LBB4_3334
; %bb.3325:                             ;   in Loop: Header=BB4_3183 Depth=3
	v_mov_b32_e32 v31, 0
	s_mov_b32 s72, exec_lo
	v_cmpx_ne_u32_e32 0, v4
	s_cbranch_execz .LBB4_3333
; %bb.3326:                             ;   in Loop: Header=BB4_3183 Depth=3
	v_bfe_u32 v31, v4, 23, 8
	v_or_b32_e32 v24, 0x800000, v2
	s_mov_b32 s73, exec_lo
	s_delay_alu instid0(VALU_DEP_2) | instskip(SKIP_1) | instid1(VALU_DEP_2)
	v_dual_mov_b32 v25, v3 :: v_dual_sub_nc_u32 v4, 0x71, v31
	v_cmp_gt_u32_e32 vcc_lo, 0x72, v31
	v_cndmask_b32_e32 v4, 0, v4, vcc_lo
	v_cmp_eq_u32_e32 vcc_lo, 0, v31
	s_delay_alu instid0(VALU_DEP_2) | instskip(NEXT) | instid1(VALU_DEP_1)
	v_cndmask_b32_e64 v67, v4, 0x70, vcc_lo
	v_dual_cndmask_b32 v24, v24, v2, vcc_lo :: v_dual_add_nc_u32 v4, 21, v67
	v_add_nc_u32_e32 v84, 20, v67
	s_delay_alu instid0(VALU_DEP_2) | instskip(NEXT) | instid1(VALU_DEP_2)
	v_lshlrev_b64_e64 v[4:5], v4, -1
	v_lshlrev_b64_e64 v[84:85], v84, 1
	s_delay_alu instid0(VALU_DEP_2) | instskip(NEXT) | instid1(VALU_DEP_3)
	v_bfi_b32 v101, v5, 0, 0
	v_bfi_b32 v100, v4, 0, v24
	v_lshrrev_b64 v[4:5], v67, v[24:25]
	s_delay_alu instid0(VALU_DEP_1) | instskip(NEXT) | instid1(VALU_DEP_3)
	v_mov_b64_e32 v[24:25], v[4:5]
	v_cmpx_eq_u64_e64 v[100:101], v[84:85]
; %bb.3327:                             ;   in Loop: Header=BB4_3183 Depth=3
	v_bfe_u32 v24, v4, 21, 1
	v_mov_b32_e32 v25, v3
	s_delay_alu instid0(VALU_DEP_1) | instskip(NEXT) | instid1(VALU_DEP_1)
	v_add_nc_u64_e32 v[24:25], v[4:5], v[24:25]
	v_add_nc_u64_e32 v[24:25], -1, v[24:25]
; %bb.3328:                             ;   in Loop: Header=BB4_3183 Depth=3
	s_or_b32 exec_lo, exec_lo, s73
	v_add_nc_u32_e32 v2, 0xffffff81, v31
	v_lshrrev_b32_e32 v5, 23, v4
	s_mov_b32 s13, exec_lo
	s_delay_alu instid0(VALU_DEP_2) | instskip(NEXT) | instid1(VALU_DEP_1)
	v_cndmask_b32_e64 v2, v2, 0xffffff82, vcc_lo
	v_add3_u32 v25, v67, v2, v5
	v_and_b32_e32 v2, 0x1fffff, v24
                                        ; implicit-def: $vgpr24
	s_delay_alu instid0(VALU_DEP_1) | instskip(NEXT) | instid1(VALU_DEP_1)
	v_dual_add_nc_u32 v31, 14, v25 :: v_dual_add_nc_u32 v2, v2, v4
                                        ; implicit-def: $vgpr4_vgpr5
	v_cmpx_ne_u32_e32 0, v31
	s_xor_b32 s13, exec_lo, s13
; %bb.3329:                             ;   in Loop: Header=BB4_3183 Depth=3
	s_delay_alu instid0(VALU_DEP_2) | instskip(SKIP_1) | instid1(VALU_DEP_1)
	v_cmp_lt_u64_e32 vcc_lo, 0xffffff, v[2:3]
	v_add_nc_u32_e32 v4, 15, v25
	v_cndmask_b32_e32 v24, v31, v4, vcc_lo
	v_cndmask_b32_e64 v4, 0, 1, vcc_lo
	s_delay_alu instid0(VALU_DEP_1)
	v_lshrrev_b64 v[4:5], v4, v[2:3]
; %bb.3330:                             ;   in Loop: Header=BB4_3183 Depth=3
	s_and_not1_saveexec_b32 s13, s13
; %bb.3331:                             ;   in Loop: Header=BB4_3183 Depth=3
	v_mov_b64_e32 v[4:5], v[2:3]
	v_bfe_u32 v24, v2, 23, 1
; %bb.3332:                             ;   in Loop: Header=BB4_3183 Depth=3
	s_or_b32 exec_lo, exec_lo, s13
	s_delay_alu instid0(VALU_DEP_2) | instskip(NEXT) | instid1(VALU_DEP_2)
	v_lshrrev_b64 v[4:5], 21, v[4:5]
	v_cmp_gt_i32_e32 vcc_lo, 32, v24
	v_min_i32_e32 v2, 31, v24
	v_cmp_eq_u32_e64 s13, 0, v24
	s_delay_alu instid0(VALU_DEP_2) | instskip(SKIP_1) | instid1(VALU_DEP_2)
	v_dual_cndmask_b32 v5, 0, v5 :: v_dual_lshlrev_b32 v2, 2, v2
	v_cndmask_b32_e32 v4, 3, v4, vcc_lo
	v_and_b32_e32 v2, 0xfc, v2
	s_delay_alu instid0(VALU_DEP_2) | instskip(NEXT) | instid1(VALU_DEP_2)
	v_cmp_eq_u64_e32 vcc_lo, 0, v[4:5]
	v_and_or_b32 v2, v4, 3, v2
	s_and_b32 s13, s13, vcc_lo
	s_delay_alu instid0(VALU_DEP_1) | instid1(SALU_CYCLE_1)
	v_cndmask_b32_e64 v2, v2, 0, s13
	s_delay_alu instid0(VALU_DEP_1)
	v_or_b32_e32 v31, v2, v66
.LBB4_3333:                             ;   in Loop: Header=BB4_3183 Depth=3
	s_or_b32 exec_lo, exec_lo, s72
                                        ; implicit-def: $vgpr66
.LBB4_3334:                             ;   in Loop: Header=BB4_3183 Depth=3
	s_and_not1_saveexec_b32 s13, s43
; %bb.3335:                             ;   in Loop: Header=BB4_3183 Depth=3
	v_or_b32_e32 v31, 0x7b, v66
; %bb.3336:                             ;   in Loop: Header=BB4_3183 Depth=3
	s_or_b32 exec_lo, exec_lo, s13
                                        ; implicit-def: $vgpr4
                                        ; implicit-def: $vgpr5
.LBB4_3337:                             ;   in Loop: Header=BB4_3183 Depth=3
	s_and_not1_saveexec_b32 s13, s42
	s_cbranch_execz .LBB4_3343
; %bb.3338:                             ;   in Loop: Header=BB4_3183 Depth=3
	s_mov_b32 s42, exec_lo
                                        ; implicit-def: $vgpr31
	v_cmpx_ne_u64_e32 0, v[2:3]
	s_xor_b32 s42, exec_lo, s42
; %bb.3339:                             ;   in Loop: Header=BB4_3183 Depth=3
	v_or_b32_e32 v31, 0x7f, v5
                                        ; implicit-def: $vgpr4
; %bb.3340:                             ;   in Loop: Header=BB4_3183 Depth=3
	s_and_not1_saveexec_b32 s42, s42
; %bb.3341:                             ;   in Loop: Header=BB4_3183 Depth=3
	v_cmp_lt_i32_e32 vcc_lo, -1, v4
	v_cndmask_b32_e32 v31, 0xfc, v113, vcc_lo
; %bb.3342:                             ;   in Loop: Header=BB4_3183 Depth=3
	s_or_b32 exec_lo, exec_lo, s42
.LBB4_3343:                             ;   in Loop: Header=BB4_3183 Depth=3
	s_delay_alu instid0(SALU_CYCLE_1) | instskip(SKIP_4) | instid1(VALU_DEP_3)
	s_or_b32 exec_lo, exec_lo, s13
	v_and_b32_e32 v24, 0xff, v21
	v_dual_mov_b32 v2, v21 :: v_dual_mov_b32 v5, 0
	v_mov_b32_e32 v4, 0
	s_mov_b32 s13, exec_lo
	v_cmpx_ne_u16_e32 0, v24
	s_cbranch_execz .LBB4_3353
; %bb.3344:                             ;   in Loop: Header=BB4_3183 Depth=3
	v_bfrev_b32_e32 v4, 1
	s_mov_b32 s42, exec_lo
	v_cmpx_ne_u16_e32 0x80, v24
	s_cbranch_execz .LBB4_3352
; %bb.3345:                             ;   in Loop: Header=BB4_3183 Depth=3
	v_and_b32_e32 v4, 0x7c, v21
	v_and_b32_e32 v24, 3, v21
	s_delay_alu instid0(VALU_DEP_2) | instskip(SKIP_1) | instid1(SALU_CYCLE_1)
	v_cmp_ne_u32_e32 vcc_lo, 0x7c, v4
                                        ; implicit-def: $vgpr4
	s_and_saveexec_b32 s43, vcc_lo
	s_xor_b32 s43, exec_lo, s43
	s_cbranch_execz .LBB4_3349
; %bb.3346:                             ;   in Loop: Header=BB4_3183 Depth=3
	v_bfe_u32 v4, v21, 2, 5
	s_mov_b32 s72, exec_lo
	s_delay_alu instid0(VALU_DEP_1)
	v_cmpx_eq_u32_e32 0, v4
; %bb.3347:                             ;   in Loop: Header=BB4_3183 Depth=3
	v_clz_i32_u32_e32 v4, v24
	s_delay_alu instid0(VALU_DEP_1) | instskip(NEXT) | instid1(VALU_DEP_1)
	v_min_u32_e32 v4, 32, v4
	v_subrev_nc_u32_e32 v24, 29, v4
	v_sub_nc_u32_e32 v4, 30, v4
	s_delay_alu instid0(VALU_DEP_2) | instskip(NEXT) | instid1(VALU_DEP_1)
	v_lshlrev_b64_e32 v[24:25], v24, v[2:3]
	v_and_b32_e32 v24, 3, v24
; %bb.3348:                             ;   in Loop: Header=BB4_3183 Depth=3
	s_or_b32 exec_lo, exec_lo, s72
	v_lshlrev_b32_e32 v25, 24, v21
	s_delay_alu instid0(VALU_DEP_1) | instskip(NEXT) | instid1(VALU_DEP_1)
	v_and_b32_e32 v25, 0x80000000, v25
	v_lshl_add_u32 v4, v4, 23, v25
	s_delay_alu instid0(VALU_DEP_1) | instskip(NEXT) | instid1(VALU_DEP_1)
	v_lshl_or_b32 v4, v24, 21, v4
                                        ; implicit-def: $vgpr24
	v_add_nc_u32_e32 v4, 0x38000000, v4
.LBB4_3349:                             ;   in Loop: Header=BB4_3183 Depth=3
	s_and_not1_saveexec_b32 s43, s43
; %bb.3350:                             ;   in Loop: Header=BB4_3183 Depth=3
	v_bfe_i32 v4, v21, 0, 8
	s_delay_alu instid0(VALU_DEP_1) | instskip(SKIP_2) | instid1(VALU_DEP_2)
	v_cmp_lt_i16_e32 vcc_lo, -1, v4
	v_cndmask_b32_e32 v4, 0xff800000, v112, vcc_lo
	v_cmp_eq_u32_e32 vcc_lo, 0, v24
	v_cndmask_b32_e32 v4, 0x7f800001, v4, vcc_lo
; %bb.3351:                             ;   in Loop: Header=BB4_3183 Depth=3
	s_or_b32 exec_lo, exec_lo, s43
.LBB4_3352:                             ;   in Loop: Header=BB4_3183 Depth=3
	s_delay_alu instid0(SALU_CYCLE_1)
	s_or_b32 exec_lo, exec_lo, s42
.LBB4_3353:                             ;   in Loop: Header=BB4_3183 Depth=3
	s_delay_alu instid0(SALU_CYCLE_1) | instskip(SKIP_2) | instid1(VALU_DEP_1)
	s_or_b32 exec_lo, exec_lo, s13
	v_and_b32_e32 v24, 0xff, v17
	s_mov_b32 s13, exec_lo
	v_cmpx_ne_u16_e32 0, v24
	s_cbranch_execz .LBB4_3363
; %bb.3354:                             ;   in Loop: Header=BB4_3183 Depth=3
	v_bfrev_b32_e32 v5, 1
	s_mov_b32 s42, exec_lo
	v_cmpx_ne_u16_e32 0x80, v24
	s_cbranch_execz .LBB4_3362
; %bb.3355:                             ;   in Loop: Header=BB4_3183 Depth=3
	v_and_b32_e32 v5, 0x7c, v17
	v_and_b32_e32 v24, 3, v17
	s_delay_alu instid0(VALU_DEP_2) | instskip(SKIP_1) | instid1(SALU_CYCLE_1)
	v_cmp_ne_u32_e32 vcc_lo, 0x7c, v5
                                        ; implicit-def: $vgpr5
	s_and_saveexec_b32 s43, vcc_lo
	s_xor_b32 s43, exec_lo, s43
	s_cbranch_execz .LBB4_3359
; %bb.3356:                             ;   in Loop: Header=BB4_3183 Depth=3
	v_bfe_u32 v5, v17, 2, 5
	s_mov_b32 s72, exec_lo
	s_delay_alu instid0(VALU_DEP_1)
	v_cmpx_eq_u32_e32 0, v5
; %bb.3357:                             ;   in Loop: Header=BB4_3183 Depth=3
	v_clz_i32_u32_e32 v5, v24
	v_dual_mov_b32 v24, v17 :: v_dual_mov_b32 v25, v3
	s_delay_alu instid0(VALU_DEP_2) | instskip(NEXT) | instid1(VALU_DEP_1)
	v_min_u32_e32 v5, 32, v5
	v_subrev_nc_u32_e32 v66, 29, v5
	s_delay_alu instid0(VALU_DEP_1) | instskip(NEXT) | instid1(VALU_DEP_1)
	v_lshlrev_b64_e32 v[24:25], v66, v[24:25]
	v_dual_sub_nc_u32 v5, 30, v5 :: v_dual_bitop2_b32 v24, 3, v24 bitop3:0x40
; %bb.3358:                             ;   in Loop: Header=BB4_3183 Depth=3
	s_or_b32 exec_lo, exec_lo, s72
	v_lshlrev_b32_e32 v25, 24, v17
	s_delay_alu instid0(VALU_DEP_1) | instskip(NEXT) | instid1(VALU_DEP_1)
	v_and_b32_e32 v25, 0x80000000, v25
	v_lshl_add_u32 v5, v5, 23, v25
	s_delay_alu instid0(VALU_DEP_1) | instskip(NEXT) | instid1(VALU_DEP_1)
	v_lshl_or_b32 v5, v24, 21, v5
                                        ; implicit-def: $vgpr24
	v_add_nc_u32_e32 v5, 0x38000000, v5
.LBB4_3359:                             ;   in Loop: Header=BB4_3183 Depth=3
	s_and_not1_saveexec_b32 s43, s43
; %bb.3360:                             ;   in Loop: Header=BB4_3183 Depth=3
	v_bfe_i32 v5, v17, 0, 8
	s_delay_alu instid0(VALU_DEP_1) | instskip(SKIP_2) | instid1(VALU_DEP_2)
	v_cmp_lt_i16_e32 vcc_lo, -1, v5
	v_cndmask_b32_e32 v5, 0xff800000, v112, vcc_lo
	v_cmp_eq_u32_e32 vcc_lo, 0, v24
	v_cndmask_b32_e32 v5, 0x7f800001, v5, vcc_lo
; %bb.3361:                             ;   in Loop: Header=BB4_3183 Depth=3
	s_or_b32 exec_lo, exec_lo, s43
.LBB4_3362:                             ;   in Loop: Header=BB4_3183 Depth=3
	s_delay_alu instid0(SALU_CYCLE_1)
	s_or_b32 exec_lo, exec_lo, s42
.LBB4_3363:                             ;   in Loop: Header=BB4_3183 Depth=3
	s_delay_alu instid0(SALU_CYCLE_1) | instskip(NEXT) | instid1(VALU_DEP_1)
	s_or_b32 exec_lo, exec_lo, s13
	v_dual_mul_f32 v24, v4, v5 :: v_dual_mov_b32 v67, v3
	s_delay_alu instid0(VALU_DEP_1) | instskip(SKIP_2) | instid1(VALU_DEP_2)
	v_dual_mov_b32 v5, v3 :: v_dual_lshrrev_b32 v25, 24, v24
	v_and_b32_e32 v66, 0x7f800000, v24
	v_and_b32_e32 v4, 0x7fffff, v24
	v_cmp_ne_u64_e32 vcc_lo, 0x7f800000, v[66:67]
                                        ; implicit-def: $vgpr66
	s_and_saveexec_b32 s13, vcc_lo
	s_delay_alu instid0(SALU_CYCLE_1)
	s_xor_b32 s42, exec_lo, s13
	s_cbranch_execz .LBB4_3377
; %bb.3364:                             ;   in Loop: Header=BB4_3183 Depth=3
	v_and_b32_e32 v66, 0x7fffffff, v24
	v_mov_b32_e32 v67, v3
	s_delay_alu instid0(VALU_DEP_1) | instskip(SKIP_2) | instid1(SALU_CYCLE_1)
	v_cmp_gt_u64_e32 vcc_lo, 0x47600001, v[66:67]
	v_and_b32_e32 v67, 0x80, v25
                                        ; implicit-def: $vgpr66
	s_and_saveexec_b32 s13, vcc_lo
	s_xor_b32 s43, exec_lo, s13
	s_cbranch_execz .LBB4_3374
; %bb.3365:                             ;   in Loop: Header=BB4_3183 Depth=3
	v_mov_b32_e32 v66, 0
	s_mov_b32 s72, exec_lo
	v_cmpx_ne_u32_e32 0, v24
	s_cbranch_execz .LBB4_3373
; %bb.3366:                             ;   in Loop: Header=BB4_3183 Depth=3
	v_bfe_u32 v66, v24, 23, 8
	v_or_b32_e32 v85, 0x800000, v4
	s_delay_alu instid0(VALU_DEP_2) | instskip(SKIP_1) | instid1(VALU_DEP_2)
	v_sub_nc_u32_e32 v24, 0x71, v66
	v_cmp_gt_u32_e32 vcc_lo, 0x72, v66
	v_cndmask_b32_e32 v24, 0, v24, vcc_lo
	v_cmp_eq_u32_e32 vcc_lo, 0, v66
	s_delay_alu instid0(VALU_DEP_2) | instskip(SKIP_1) | instid1(VALU_DEP_2)
	v_cndmask_b32_e64 v84, v24, 0x70, vcc_lo
	v_cndmask_b32_e32 v4, v85, v4, vcc_lo
	v_dual_add_nc_u32 v24, 21, v84 :: v_dual_add_nc_u32 v100, 20, v84
	s_delay_alu instid0(VALU_DEP_1) | instskip(NEXT) | instid1(VALU_DEP_2)
	v_lshlrev_b64_e64 v[24:25], v24, -1
	v_lshlrev_b64_e64 v[100:101], v100, 1
	s_delay_alu instid0(VALU_DEP_2) | instskip(SKIP_1) | instid1(VALU_DEP_4)
	v_bfi_b32 v24, v24, 0, v4
	v_lshrrev_b64 v[4:5], v84, v[4:5]
	v_bfi_b32 v25, v25, 0, 0
	s_delay_alu instid0(VALU_DEP_1) | instskip(NEXT) | instid1(VALU_DEP_3)
	v_cmp_eq_u64_e64 s13, v[24:25], v[100:101]
	v_mov_b64_e32 v[24:25], v[4:5]
	s_and_saveexec_b32 s73, s13
; %bb.3367:                             ;   in Loop: Header=BB4_3183 Depth=3
	v_bfe_u32 v24, v4, 21, 1
	v_mov_b32_e32 v25, v3
	s_delay_alu instid0(VALU_DEP_1) | instskip(NEXT) | instid1(VALU_DEP_1)
	v_add_nc_u64_e32 v[24:25], v[4:5], v[24:25]
	v_add_nc_u64_e32 v[24:25], -1, v[24:25]
; %bb.3368:                             ;   in Loop: Header=BB4_3183 Depth=3
	s_or_b32 exec_lo, exec_lo, s73
	v_add_nc_u32_e32 v5, 0xffffff81, v66
	v_lshrrev_b32_e32 v25, 23, v4
	s_mov_b32 s13, exec_lo
	s_delay_alu instid0(VALU_DEP_2) | instskip(NEXT) | instid1(VALU_DEP_1)
	v_cndmask_b32_e64 v5, v5, 0xffffff82, vcc_lo
	v_add3_u32 v25, v84, v5, v25
	v_and_b32_e32 v5, 0x1fffff, v24
                                        ; implicit-def: $vgpr24
	s_delay_alu instid0(VALU_DEP_1) | instskip(SKIP_1) | instid1(VALU_DEP_2)
	v_dual_add_nc_u32 v66, 14, v25 :: v_dual_add_nc_u32 v4, v5, v4
	v_mov_b32_e32 v5, v3
	v_cmpx_ne_u32_e32 0, v66
	s_xor_b32 s13, exec_lo, s13
; %bb.3369:                             ;   in Loop: Header=BB4_3183 Depth=3
	s_delay_alu instid0(VALU_DEP_2) | instskip(SKIP_2) | instid1(VALU_DEP_2)
	v_cmp_lt_u64_e32 vcc_lo, 0xffffff, v[4:5]
	v_add_nc_u32_e32 v24, 15, v25
	v_cndmask_b32_e64 v25, 0, 1, vcc_lo
	v_cndmask_b32_e32 v24, v66, v24, vcc_lo
	s_delay_alu instid0(VALU_DEP_2)
	v_lshrrev_b64 v[4:5], v25, v[4:5]
; %bb.3370:                             ;   in Loop: Header=BB4_3183 Depth=3
	s_and_not1_saveexec_b32 s13, s13
; %bb.3371:                             ;   in Loop: Header=BB4_3183 Depth=3
	s_delay_alu instid0(VALU_DEP_1)
	v_bfe_u32 v24, v4, 23, 1
; %bb.3372:                             ;   in Loop: Header=BB4_3183 Depth=3
	s_or_b32 exec_lo, exec_lo, s13
	s_delay_alu instid0(VALU_DEP_2) | instskip(NEXT) | instid1(VALU_DEP_2)
	v_lshrrev_b64 v[4:5], 21, v[4:5]
	v_cmp_gt_i32_e32 vcc_lo, 32, v24
	v_min_i32_e32 v25, 31, v24
	v_cmp_eq_u32_e64 s13, 0, v24
	s_delay_alu instid0(VALU_DEP_4) | instskip(NEXT) | instid1(VALU_DEP_3)
	v_cndmask_b32_e32 v5, 0, v5, vcc_lo
	v_dual_cndmask_b32 v4, 3, v4 :: v_dual_lshlrev_b32 v25, 2, v25
	s_delay_alu instid0(VALU_DEP_1) | instskip(NEXT) | instid1(VALU_DEP_2)
	v_and_b32_e32 v25, 0xfc, v25
	v_cmp_eq_u64_e32 vcc_lo, 0, v[4:5]
	s_delay_alu instid0(VALU_DEP_2)
	v_and_or_b32 v4, v4, 3, v25
	s_and_b32 s13, s13, vcc_lo
	s_delay_alu instid0(VALU_DEP_1) | instid1(SALU_CYCLE_1)
	v_cndmask_b32_e64 v4, v4, 0, s13
	s_delay_alu instid0(VALU_DEP_1)
	v_or_b32_e32 v66, v4, v67
.LBB4_3373:                             ;   in Loop: Header=BB4_3183 Depth=3
	s_or_b32 exec_lo, exec_lo, s72
                                        ; implicit-def: $vgpr67
.LBB4_3374:                             ;   in Loop: Header=BB4_3183 Depth=3
	s_and_not1_saveexec_b32 s13, s43
; %bb.3375:                             ;   in Loop: Header=BB4_3183 Depth=3
	v_or_b32_e32 v66, 0x7b, v67
; %bb.3376:                             ;   in Loop: Header=BB4_3183 Depth=3
	s_or_b32 exec_lo, exec_lo, s13
                                        ; implicit-def: $vgpr24
                                        ; implicit-def: $vgpr4_vgpr5
                                        ; implicit-def: $vgpr25
.LBB4_3377:                             ;   in Loop: Header=BB4_3183 Depth=3
	s_and_not1_saveexec_b32 s13, s42
	s_cbranch_execz .LBB4_3383
; %bb.3378:                             ;   in Loop: Header=BB4_3183 Depth=3
	s_mov_b32 s42, exec_lo
                                        ; implicit-def: $vgpr66
	v_cmpx_ne_u64_e32 0, v[4:5]
	s_xor_b32 s42, exec_lo, s42
; %bb.3379:                             ;   in Loop: Header=BB4_3183 Depth=3
	v_or_b32_e32 v66, 0x7f, v25
                                        ; implicit-def: $vgpr24
; %bb.3380:                             ;   in Loop: Header=BB4_3183 Depth=3
	s_and_not1_saveexec_b32 s42, s42
; %bb.3381:                             ;   in Loop: Header=BB4_3183 Depth=3
	v_cmp_lt_i32_e32 vcc_lo, -1, v24
	v_cndmask_b32_e32 v66, 0xfc, v113, vcc_lo
; %bb.3382:                             ;   in Loop: Header=BB4_3183 Depth=3
	s_or_b32 exec_lo, exec_lo, s42
.LBB4_3383:                             ;   in Loop: Header=BB4_3183 Depth=3
	s_delay_alu instid0(SALU_CYCLE_1) | instskip(SKIP_3) | instid1(VALU_DEP_2)
	s_or_b32 exec_lo, exec_lo, s13
	v_lshrrev_b16 v4, 8, v2
	v_dual_mov_b32 v24, 0 :: v_dual_mov_b32 v25, 0
	s_mov_b32 s13, exec_lo
	v_cmpx_ne_u16_e32 0, v4
	s_cbranch_execz .LBB4_3393
; %bb.3384:                             ;   in Loop: Header=BB4_3183 Depth=3
	v_bfrev_b32_e32 v25, 1
	s_mov_b32 s42, exec_lo
	v_cmpx_ne_u16_e32 0x80, v4
	s_cbranch_execz .LBB4_3392
; %bb.3385:                             ;   in Loop: Header=BB4_3183 Depth=3
	v_and_b32_e32 v67, 0xffff, v4
	s_delay_alu instid0(VALU_DEP_1) | instskip(SKIP_1) | instid1(VALU_DEP_2)
	v_and_b32_e32 v25, 0x7c, v67
	v_and_b32_e32 v5, 3, v67
	v_cmp_ne_u32_e32 vcc_lo, 0x7c, v25
                                        ; implicit-def: $vgpr25
	s_and_saveexec_b32 s43, vcc_lo
	s_delay_alu instid0(SALU_CYCLE_1)
	s_xor_b32 s43, exec_lo, s43
	s_cbranch_execz .LBB4_3389
; %bb.3386:                             ;   in Loop: Header=BB4_3183 Depth=3
	v_bfe_u32 v25, v67, 2, 5
	s_mov_b32 s72, exec_lo
	s_delay_alu instid0(VALU_DEP_1)
	v_cmpx_eq_u32_e32 0, v25
	s_cbranch_execz .LBB4_3388
; %bb.3387:                             ;   in Loop: Header=BB4_3183 Depth=3
	v_clz_i32_u32_e32 v5, v5
	s_delay_alu instid0(VALU_DEP_1) | instskip(SKIP_1) | instid1(VALU_DEP_2)
	v_min_u32_e32 v25, 32, v5
	v_mov_b32_e32 v5, v3
	v_subrev_nc_u32_e32 v67, 29, v25
	v_sub_nc_u32_e32 v25, 30, v25
	s_delay_alu instid0(VALU_DEP_2) | instskip(NEXT) | instid1(VALU_DEP_1)
	v_lshlrev_b64_e32 v[4:5], v67, v[4:5]
	v_and_b32_e32 v5, 3, v4
.LBB4_3388:                             ;   in Loop: Header=BB4_3183 Depth=3
	s_or_b32 exec_lo, exec_lo, s72
	v_lshlrev_b32_e32 v2, 16, v2
	s_delay_alu instid0(VALU_DEP_1) | instskip(NEXT) | instid1(VALU_DEP_1)
	v_and_b32_e32 v2, 0x80000000, v2
	v_lshl_add_u32 v2, v25, 23, v2
	s_delay_alu instid0(VALU_DEP_1) | instskip(NEXT) | instid1(VALU_DEP_1)
	v_lshl_or_b32 v2, v5, 21, v2
                                        ; implicit-def: $vgpr5
	v_add_nc_u32_e32 v25, 0x38000000, v2
.LBB4_3389:                             ;   in Loop: Header=BB4_3183 Depth=3
	s_and_not1_saveexec_b32 s43, s43
; %bb.3390:                             ;   in Loop: Header=BB4_3183 Depth=3
	v_cmp_lt_i16_e32 vcc_lo, -1, v2
	v_cndmask_b32_e32 v2, 0xff800000, v112, vcc_lo
	v_cmp_eq_u32_e32 vcc_lo, 0, v5
	s_delay_alu instid0(VALU_DEP_2)
	v_cndmask_b32_e32 v25, 0x7f800001, v2, vcc_lo
; %bb.3391:                             ;   in Loop: Header=BB4_3183 Depth=3
	s_or_b32 exec_lo, exec_lo, s43
.LBB4_3392:                             ;   in Loop: Header=BB4_3183 Depth=3
	s_delay_alu instid0(SALU_CYCLE_1)
	s_or_b32 exec_lo, exec_lo, s42
.LBB4_3393:                             ;   in Loop: Header=BB4_3183 Depth=3
	s_delay_alu instid0(SALU_CYCLE_1) | instskip(SKIP_2) | instid1(VALU_DEP_1)
	s_or_b32 exec_lo, exec_lo, s13
	v_lshrrev_b16 v4, 8, v17
	s_mov_b32 s13, exec_lo
	v_cmpx_ne_u16_e32 0, v4
	s_cbranch_execz .LBB4_3403
; %bb.3394:                             ;   in Loop: Header=BB4_3183 Depth=3
	v_bfrev_b32_e32 v24, 1
	s_mov_b32 s42, exec_lo
	v_cmpx_ne_u16_e32 0x80, v4
	s_cbranch_execz .LBB4_3402
; %bb.3395:                             ;   in Loop: Header=BB4_3183 Depth=3
	v_and_b32_e32 v5, 0xffff, v4
	s_delay_alu instid0(VALU_DEP_1) | instskip(SKIP_1) | instid1(VALU_DEP_2)
	v_and_b32_e32 v24, 0x7c, v5
	v_and_b32_e32 v2, 3, v5
	v_cmp_ne_u32_e32 vcc_lo, 0x7c, v24
                                        ; implicit-def: $vgpr24
	s_and_saveexec_b32 s43, vcc_lo
	s_delay_alu instid0(SALU_CYCLE_1)
	s_xor_b32 s43, exec_lo, s43
	s_cbranch_execz .LBB4_3399
; %bb.3396:                             ;   in Loop: Header=BB4_3183 Depth=3
	v_bfe_u32 v5, v5, 2, 5
	s_mov_b32 s72, exec_lo
	s_delay_alu instid0(VALU_DEP_1)
	v_cmpx_eq_u32_e32 0, v5
; %bb.3397:                             ;   in Loop: Header=BB4_3183 Depth=3
	v_clz_i32_u32_e32 v2, v2
	v_mov_b32_e32 v5, v3
	s_delay_alu instid0(VALU_DEP_2) | instskip(NEXT) | instid1(VALU_DEP_1)
	v_min_u32_e32 v2, 32, v2
	v_subrev_nc_u32_e32 v24, 29, v2
	s_delay_alu instid0(VALU_DEP_1) | instskip(NEXT) | instid1(VALU_DEP_1)
	v_lshlrev_b64_e32 v[4:5], v24, v[4:5]
	v_dual_sub_nc_u32 v5, 30, v2 :: v_dual_bitop2_b32 v2, 3, v4 bitop3:0x40
; %bb.3398:                             ;   in Loop: Header=BB4_3183 Depth=3
	s_or_b32 exec_lo, exec_lo, s72
	v_lshlrev_b32_e32 v4, 16, v17
	s_delay_alu instid0(VALU_DEP_1) | instskip(NEXT) | instid1(VALU_DEP_1)
	v_and_b32_e32 v4, 0x80000000, v4
	v_lshl_add_u32 v4, v5, 23, v4
	s_delay_alu instid0(VALU_DEP_1) | instskip(NEXT) | instid1(VALU_DEP_1)
	v_lshl_or_b32 v2, v2, 21, v4
	v_add_nc_u32_e32 v24, 0x38000000, v2
                                        ; implicit-def: $vgpr2
.LBB4_3399:                             ;   in Loop: Header=BB4_3183 Depth=3
	s_and_not1_saveexec_b32 s43, s43
; %bb.3400:                             ;   in Loop: Header=BB4_3183 Depth=3
	v_cmp_lt_i16_e32 vcc_lo, -1, v17
	v_cndmask_b32_e32 v4, 0xff800000, v112, vcc_lo
	v_cmp_eq_u32_e32 vcc_lo, 0, v2
	s_delay_alu instid0(VALU_DEP_2)
	v_cndmask_b32_e32 v24, 0x7f800001, v4, vcc_lo
; %bb.3401:                             ;   in Loop: Header=BB4_3183 Depth=3
	s_or_b32 exec_lo, exec_lo, s43
.LBB4_3402:                             ;   in Loop: Header=BB4_3183 Depth=3
	s_delay_alu instid0(SALU_CYCLE_1)
	s_or_b32 exec_lo, exec_lo, s42
.LBB4_3403:                             ;   in Loop: Header=BB4_3183 Depth=3
	s_delay_alu instid0(SALU_CYCLE_1) | instskip(NEXT) | instid1(VALU_DEP_1)
	s_or_b32 exec_lo, exec_lo, s13
	v_dual_mul_f32 v4, v25, v24 :: v_dual_mov_b32 v25, v3
                                        ; implicit-def: $vgpr67
	s_mov_b32 s13, exec_lo
	s_delay_alu instid0(VALU_DEP_1) | instskip(SKIP_2) | instid1(VALU_DEP_3)
	v_and_b32_e32 v24, 0x7f800000, v4
	v_and_b32_e32 v2, 0x7fffff, v4
	v_lshrrev_b32_e32 v5, 24, v4
	v_cmpx_ne_u64_e32 0x7f800000, v[24:25]
	s_xor_b32 s42, exec_lo, s13
	s_cbranch_execz .LBB4_3417
; %bb.3404:                             ;   in Loop: Header=BB4_3183 Depth=3
	v_and_b32_e32 v24, 0x7fffffff, v4
	v_mov_b32_e32 v25, v3
	v_and_b32_e32 v84, 0x80, v5
                                        ; implicit-def: $vgpr67
	s_mov_b32 s13, exec_lo
	s_delay_alu instid0(VALU_DEP_2)
	v_cmpx_gt_u64_e32 0x47600001, v[24:25]
	s_xor_b32 s43, exec_lo, s13
	s_cbranch_execz .LBB4_3414
; %bb.3405:                             ;   in Loop: Header=BB4_3183 Depth=3
	v_mov_b32_e32 v67, 0
	s_mov_b32 s72, exec_lo
	v_cmpx_ne_u32_e32 0, v4
	s_cbranch_execz .LBB4_3413
; %bb.3406:                             ;   in Loop: Header=BB4_3183 Depth=3
	v_bfe_u32 v67, v4, 23, 8
	v_or_b32_e32 v24, 0x800000, v2
	s_mov_b32 s73, exec_lo
	s_delay_alu instid0(VALU_DEP_2) | instskip(SKIP_1) | instid1(VALU_DEP_2)
	v_dual_mov_b32 v25, v3 :: v_dual_sub_nc_u32 v4, 0x71, v67
	v_cmp_gt_u32_e32 vcc_lo, 0x72, v67
	v_cndmask_b32_e32 v4, 0, v4, vcc_lo
	v_cmp_eq_u32_e32 vcc_lo, 0, v67
	s_delay_alu instid0(VALU_DEP_2) | instskip(NEXT) | instid1(VALU_DEP_1)
	v_cndmask_b32_e64 v85, v4, 0x70, vcc_lo
	v_dual_cndmask_b32 v24, v24, v2, vcc_lo :: v_dual_add_nc_u32 v4, 21, v85
	v_add_nc_u32_e32 v100, 20, v85
	s_delay_alu instid0(VALU_DEP_2) | instskip(NEXT) | instid1(VALU_DEP_2)
	v_lshlrev_b64_e64 v[4:5], v4, -1
	v_lshlrev_b64_e64 v[100:101], v100, 1
	s_delay_alu instid0(VALU_DEP_2) | instskip(NEXT) | instid1(VALU_DEP_3)
	v_bfi_b32 v103, v5, 0, 0
	v_bfi_b32 v102, v4, 0, v24
	v_lshrrev_b64 v[4:5], v85, v[24:25]
	s_delay_alu instid0(VALU_DEP_1) | instskip(NEXT) | instid1(VALU_DEP_3)
	v_mov_b64_e32 v[24:25], v[4:5]
	v_cmpx_eq_u64_e64 v[102:103], v[100:101]
; %bb.3407:                             ;   in Loop: Header=BB4_3183 Depth=3
	v_bfe_u32 v24, v4, 21, 1
	v_mov_b32_e32 v25, v3
	s_delay_alu instid0(VALU_DEP_1) | instskip(NEXT) | instid1(VALU_DEP_1)
	v_add_nc_u64_e32 v[24:25], v[4:5], v[24:25]
	v_add_nc_u64_e32 v[24:25], -1, v[24:25]
; %bb.3408:                             ;   in Loop: Header=BB4_3183 Depth=3
	s_or_b32 exec_lo, exec_lo, s73
	v_add_nc_u32_e32 v2, 0xffffff81, v67
	v_lshrrev_b32_e32 v5, 23, v4
	s_mov_b32 s13, exec_lo
	s_delay_alu instid0(VALU_DEP_2) | instskip(NEXT) | instid1(VALU_DEP_1)
	v_cndmask_b32_e64 v2, v2, 0xffffff82, vcc_lo
	v_add3_u32 v25, v85, v2, v5
	v_and_b32_e32 v2, 0x1fffff, v24
                                        ; implicit-def: $vgpr24
	s_delay_alu instid0(VALU_DEP_1) | instskip(NEXT) | instid1(VALU_DEP_1)
	v_dual_add_nc_u32 v67, 14, v25 :: v_dual_add_nc_u32 v2, v2, v4
                                        ; implicit-def: $vgpr4_vgpr5
	v_cmpx_ne_u32_e32 0, v67
	s_xor_b32 s13, exec_lo, s13
; %bb.3409:                             ;   in Loop: Header=BB4_3183 Depth=3
	s_delay_alu instid0(VALU_DEP_2) | instskip(SKIP_1) | instid1(VALU_DEP_1)
	v_cmp_lt_u64_e32 vcc_lo, 0xffffff, v[2:3]
	v_add_nc_u32_e32 v4, 15, v25
	v_cndmask_b32_e32 v24, v67, v4, vcc_lo
	v_cndmask_b32_e64 v4, 0, 1, vcc_lo
	s_delay_alu instid0(VALU_DEP_1)
	v_lshrrev_b64 v[4:5], v4, v[2:3]
; %bb.3410:                             ;   in Loop: Header=BB4_3183 Depth=3
	s_and_not1_saveexec_b32 s13, s13
; %bb.3411:                             ;   in Loop: Header=BB4_3183 Depth=3
	v_mov_b64_e32 v[4:5], v[2:3]
	v_bfe_u32 v24, v2, 23, 1
; %bb.3412:                             ;   in Loop: Header=BB4_3183 Depth=3
	s_or_b32 exec_lo, exec_lo, s13
	s_delay_alu instid0(VALU_DEP_2) | instskip(NEXT) | instid1(VALU_DEP_2)
	v_lshrrev_b64 v[4:5], 21, v[4:5]
	v_cmp_gt_i32_e32 vcc_lo, 32, v24
	v_min_i32_e32 v2, 31, v24
	v_cmp_eq_u32_e64 s13, 0, v24
	s_delay_alu instid0(VALU_DEP_2) | instskip(SKIP_1) | instid1(VALU_DEP_2)
	v_dual_cndmask_b32 v5, 0, v5 :: v_dual_lshlrev_b32 v2, 2, v2
	v_cndmask_b32_e32 v4, 3, v4, vcc_lo
	v_and_b32_e32 v2, 0xfc, v2
	s_delay_alu instid0(VALU_DEP_2) | instskip(NEXT) | instid1(VALU_DEP_2)
	v_cmp_eq_u64_e32 vcc_lo, 0, v[4:5]
	v_and_or_b32 v2, v4, 3, v2
	s_and_b32 s13, s13, vcc_lo
	s_delay_alu instid0(VALU_DEP_1) | instid1(SALU_CYCLE_1)
	v_cndmask_b32_e64 v2, v2, 0, s13
	s_delay_alu instid0(VALU_DEP_1)
	v_or_b32_e32 v67, v2, v84
.LBB4_3413:                             ;   in Loop: Header=BB4_3183 Depth=3
	s_or_b32 exec_lo, exec_lo, s72
                                        ; implicit-def: $vgpr84
.LBB4_3414:                             ;   in Loop: Header=BB4_3183 Depth=3
	s_and_not1_saveexec_b32 s13, s43
; %bb.3415:                             ;   in Loop: Header=BB4_3183 Depth=3
	v_or_b32_e32 v67, 0x7b, v84
; %bb.3416:                             ;   in Loop: Header=BB4_3183 Depth=3
	s_or_b32 exec_lo, exec_lo, s13
                                        ; implicit-def: $vgpr4
                                        ; implicit-def: $vgpr5
.LBB4_3417:                             ;   in Loop: Header=BB4_3183 Depth=3
	s_and_not1_saveexec_b32 s13, s42
	s_cbranch_execz .LBB4_3423
; %bb.3418:                             ;   in Loop: Header=BB4_3183 Depth=3
	s_mov_b32 s42, exec_lo
                                        ; implicit-def: $vgpr67
	v_cmpx_ne_u64_e32 0, v[2:3]
	s_xor_b32 s42, exec_lo, s42
; %bb.3419:                             ;   in Loop: Header=BB4_3183 Depth=3
	v_or_b32_e32 v67, 0x7f, v5
                                        ; implicit-def: $vgpr4
; %bb.3420:                             ;   in Loop: Header=BB4_3183 Depth=3
	s_and_not1_saveexec_b32 s42, s42
; %bb.3421:                             ;   in Loop: Header=BB4_3183 Depth=3
	v_cmp_lt_i32_e32 vcc_lo, -1, v4
	v_cndmask_b32_e32 v67, 0xfc, v113, vcc_lo
; %bb.3422:                             ;   in Loop: Header=BB4_3183 Depth=3
	s_or_b32 exec_lo, exec_lo, s42
.LBB4_3423:                             ;   in Loop: Header=BB4_3183 Depth=3
	s_delay_alu instid0(SALU_CYCLE_1) | instskip(SKIP_3) | instid1(VALU_DEP_2)
	s_or_b32 exec_lo, exec_lo, s13
	v_dual_lshrrev_b32 v2, 16, v21 :: v_dual_mov_b32 v4, 0
	v_mov_b32_e32 v5, 0
	s_mov_b32 s13, exec_lo
	v_and_b32_e32 v24, 0xff, v2
	s_delay_alu instid0(VALU_DEP_1)
	v_cmpx_ne_u16_e32 0, v24
	s_cbranch_execz .LBB4_3433
; %bb.3424:                             ;   in Loop: Header=BB4_3183 Depth=3
	v_bfrev_b32_e32 v5, 1
	s_mov_b32 s42, exec_lo
	v_cmpx_ne_u16_e32 0x80, v24
	s_cbranch_execz .LBB4_3432
; %bb.3425:                             ;   in Loop: Header=BB4_3183 Depth=3
	v_and_b32_e32 v5, 0x7c0000, v21
	v_bfe_u32 v24, v21, 16, 2
	s_delay_alu instid0(VALU_DEP_2) | instskip(SKIP_1) | instid1(SALU_CYCLE_1)
	v_cmp_ne_u32_e32 vcc_lo, 0x7c0000, v5
                                        ; implicit-def: $vgpr5
	s_and_saveexec_b32 s43, vcc_lo
	s_xor_b32 s43, exec_lo, s43
	s_cbranch_execz .LBB4_3429
; %bb.3426:                             ;   in Loop: Header=BB4_3183 Depth=3
	v_bfe_u32 v5, v21, 18, 5
	s_mov_b32 s72, exec_lo
	s_delay_alu instid0(VALU_DEP_1)
	v_cmpx_eq_u32_e32 0, v5
; %bb.3427:                             ;   in Loop: Header=BB4_3183 Depth=3
	v_clz_i32_u32_e32 v5, v24
	s_delay_alu instid0(VALU_DEP_1) | instskip(NEXT) | instid1(VALU_DEP_1)
	v_min_u32_e32 v5, 32, v5
	v_subrev_nc_u32_e32 v24, 29, v5
	s_delay_alu instid0(VALU_DEP_1) | instskip(NEXT) | instid1(VALU_DEP_1)
	v_lshlrev_b64_e32 v[24:25], v24, v[2:3]
	v_dual_sub_nc_u32 v5, 30, v5 :: v_dual_bitop2_b32 v24, 3, v24 bitop3:0x40
; %bb.3428:                             ;   in Loop: Header=BB4_3183 Depth=3
	s_or_b32 exec_lo, exec_lo, s72
	v_lshlrev_b32_e32 v2, 24, v2
	s_delay_alu instid0(VALU_DEP_1) | instskip(NEXT) | instid1(VALU_DEP_1)
	v_and_b32_e32 v2, 0x80000000, v2
	v_lshl_add_u32 v2, v5, 23, v2
	s_delay_alu instid0(VALU_DEP_1) | instskip(NEXT) | instid1(VALU_DEP_1)
	v_lshl_or_b32 v2, v24, 21, v2
                                        ; implicit-def: $vgpr24
	v_add_nc_u32_e32 v5, 0x38000000, v2
                                        ; implicit-def: $vgpr2
.LBB4_3429:                             ;   in Loop: Header=BB4_3183 Depth=3
	s_and_not1_saveexec_b32 s43, s43
; %bb.3430:                             ;   in Loop: Header=BB4_3183 Depth=3
	v_bfe_i32 v2, v2, 0, 8
	s_delay_alu instid0(VALU_DEP_1) | instskip(SKIP_2) | instid1(VALU_DEP_2)
	v_cmp_lt_i16_e32 vcc_lo, -1, v2
	v_cndmask_b32_e32 v2, 0xff800000, v112, vcc_lo
	v_cmp_eq_u32_e32 vcc_lo, 0, v24
	v_cndmask_b32_e32 v5, 0x7f800001, v2, vcc_lo
; %bb.3431:                             ;   in Loop: Header=BB4_3183 Depth=3
	s_or_b32 exec_lo, exec_lo, s43
.LBB4_3432:                             ;   in Loop: Header=BB4_3183 Depth=3
	s_delay_alu instid0(SALU_CYCLE_1)
	s_or_b32 exec_lo, exec_lo, s42
.LBB4_3433:                             ;   in Loop: Header=BB4_3183 Depth=3
	s_delay_alu instid0(SALU_CYCLE_1) | instskip(SKIP_2) | instid1(VALU_DEP_1)
	s_or_b32 exec_lo, exec_lo, s13
	v_lshrrev_b32_e32 v2, 16, v17
	s_mov_b32 s13, exec_lo
	v_and_b32_e32 v24, 0xff, v2
	s_delay_alu instid0(VALU_DEP_1)
	v_cmpx_ne_u16_e32 0, v24
	s_cbranch_execz .LBB4_3443
; %bb.3434:                             ;   in Loop: Header=BB4_3183 Depth=3
	v_bfrev_b32_e32 v4, 1
	s_mov_b32 s42, exec_lo
	v_cmpx_ne_u16_e32 0x80, v24
	s_cbranch_execz .LBB4_3442
; %bb.3435:                             ;   in Loop: Header=BB4_3183 Depth=3
	v_and_b32_e32 v4, 0x7c0000, v17
	v_bfe_u32 v24, v17, 16, 2
	s_delay_alu instid0(VALU_DEP_2) | instskip(SKIP_1) | instid1(SALU_CYCLE_1)
	v_cmp_ne_u32_e32 vcc_lo, 0x7c0000, v4
                                        ; implicit-def: $vgpr4
	s_and_saveexec_b32 s43, vcc_lo
	s_xor_b32 s43, exec_lo, s43
	s_cbranch_execz .LBB4_3439
; %bb.3436:                             ;   in Loop: Header=BB4_3183 Depth=3
	v_bfe_u32 v4, v17, 18, 5
	s_mov_b32 s72, exec_lo
	s_delay_alu instid0(VALU_DEP_1)
	v_cmpx_eq_u32_e32 0, v4
; %bb.3437:                             ;   in Loop: Header=BB4_3183 Depth=3
	v_clz_i32_u32_e32 v4, v24
	s_delay_alu instid0(VALU_DEP_1) | instskip(NEXT) | instid1(VALU_DEP_1)
	v_min_u32_e32 v4, 32, v4
	v_subrev_nc_u32_e32 v24, 29, v4
	v_sub_nc_u32_e32 v4, 30, v4
	s_delay_alu instid0(VALU_DEP_2) | instskip(NEXT) | instid1(VALU_DEP_1)
	v_lshlrev_b64_e32 v[24:25], v24, v[2:3]
	v_and_b32_e32 v24, 3, v24
; %bb.3438:                             ;   in Loop: Header=BB4_3183 Depth=3
	s_or_b32 exec_lo, exec_lo, s72
	v_lshlrev_b32_e32 v2, 24, v2
	s_delay_alu instid0(VALU_DEP_1) | instskip(NEXT) | instid1(VALU_DEP_1)
	v_and_b32_e32 v2, 0x80000000, v2
	v_lshl_add_u32 v2, v4, 23, v2
	s_delay_alu instid0(VALU_DEP_1) | instskip(NEXT) | instid1(VALU_DEP_1)
	v_lshl_or_b32 v2, v24, 21, v2
                                        ; implicit-def: $vgpr24
	v_add_nc_u32_e32 v4, 0x38000000, v2
                                        ; implicit-def: $vgpr2
.LBB4_3439:                             ;   in Loop: Header=BB4_3183 Depth=3
	s_and_not1_saveexec_b32 s43, s43
; %bb.3440:                             ;   in Loop: Header=BB4_3183 Depth=3
	v_bfe_i32 v2, v2, 0, 8
	s_delay_alu instid0(VALU_DEP_1) | instskip(SKIP_2) | instid1(VALU_DEP_2)
	v_cmp_lt_i16_e32 vcc_lo, -1, v2
	v_cndmask_b32_e32 v2, 0xff800000, v112, vcc_lo
	v_cmp_eq_u32_e32 vcc_lo, 0, v24
	v_cndmask_b32_e32 v4, 0x7f800001, v2, vcc_lo
; %bb.3441:                             ;   in Loop: Header=BB4_3183 Depth=3
	s_or_b32 exec_lo, exec_lo, s43
.LBB4_3442:                             ;   in Loop: Header=BB4_3183 Depth=3
	s_delay_alu instid0(SALU_CYCLE_1)
	s_or_b32 exec_lo, exec_lo, s42
.LBB4_3443:                             ;   in Loop: Header=BB4_3183 Depth=3
	s_delay_alu instid0(SALU_CYCLE_1) | instskip(NEXT) | instid1(VALU_DEP_1)
	s_or_b32 exec_lo, exec_lo, s13
	v_dual_mul_f32 v4, v5, v4 :: v_dual_mov_b32 v25, v3
	s_delay_alu instid0(VALU_DEP_1) | instskip(SKIP_2) | instid1(VALU_DEP_3)
	v_and_b32_e32 v24, 0x7f800000, v4
	v_and_b32_e32 v2, 0x7fffff, v4
	v_lshrrev_b32_e32 v5, 24, v4
	v_cmp_ne_u64_e32 vcc_lo, 0x7f800000, v[24:25]
                                        ; implicit-def: $vgpr24
	s_and_saveexec_b32 s13, vcc_lo
	s_delay_alu instid0(SALU_CYCLE_1)
	s_xor_b32 s42, exec_lo, s13
	s_cbranch_execz .LBB4_3457
; %bb.3444:                             ;   in Loop: Header=BB4_3183 Depth=3
	v_and_b32_e32 v24, 0x7fffffff, v4
	v_mov_b32_e32 v25, v3
	v_and_b32_e32 v84, 0x80, v5
	s_delay_alu instid0(VALU_DEP_2) | instskip(SKIP_1) | instid1(SALU_CYCLE_1)
	v_cmp_gt_u64_e32 vcc_lo, 0x47600001, v[24:25]
                                        ; implicit-def: $vgpr24
	s_and_saveexec_b32 s13, vcc_lo
	s_xor_b32 s43, exec_lo, s13
	s_cbranch_execz .LBB4_3454
; %bb.3445:                             ;   in Loop: Header=BB4_3183 Depth=3
	v_mov_b32_e32 v24, 0
	s_mov_b32 s72, exec_lo
	v_cmpx_ne_u32_e32 0, v4
	s_cbranch_execz .LBB4_3453
; %bb.3446:                             ;   in Loop: Header=BB4_3183 Depth=3
	v_bfe_u32 v85, v4, 23, 8
	v_or_b32_e32 v24, 0x800000, v2
	s_mov_b32 s73, exec_lo
	s_delay_alu instid0(VALU_DEP_2) | instskip(SKIP_1) | instid1(VALU_DEP_2)
	v_dual_mov_b32 v25, v3 :: v_dual_sub_nc_u32 v4, 0x71, v85
	v_cmp_gt_u32_e32 vcc_lo, 0x72, v85
	v_cndmask_b32_e32 v4, 0, v4, vcc_lo
	v_cmp_eq_u32_e32 vcc_lo, 0, v85
	v_cndmask_b32_e32 v24, v24, v2, vcc_lo
	s_delay_alu instid0(VALU_DEP_3) | instskip(NEXT) | instid1(VALU_DEP_1)
	v_cndmask_b32_e64 v100, v4, 0x70, vcc_lo
	v_dual_add_nc_u32 v4, 21, v100 :: v_dual_add_nc_u32 v101, 20, v100
	s_delay_alu instid0(VALU_DEP_1) | instskip(NEXT) | instid1(VALU_DEP_2)
	v_lshlrev_b64_e64 v[4:5], v4, -1
	v_lshlrev_b64_e64 v[102:103], v101, 1
	s_delay_alu instid0(VALU_DEP_2) | instskip(NEXT) | instid1(VALU_DEP_3)
	v_bfi_b32 v117, v5, 0, 0
	v_bfi_b32 v116, v4, 0, v24
	v_lshrrev_b64 v[4:5], v100, v[24:25]
	s_delay_alu instid0(VALU_DEP_1) | instskip(NEXT) | instid1(VALU_DEP_3)
	v_mov_b64_e32 v[24:25], v[4:5]
	v_cmpx_eq_u64_e64 v[116:117], v[102:103]
; %bb.3447:                             ;   in Loop: Header=BB4_3183 Depth=3
	v_bfe_u32 v24, v4, 21, 1
	v_mov_b32_e32 v25, v3
	s_delay_alu instid0(VALU_DEP_1) | instskip(NEXT) | instid1(VALU_DEP_1)
	v_add_nc_u64_e32 v[24:25], v[4:5], v[24:25]
	v_add_nc_u64_e32 v[24:25], -1, v[24:25]
; %bb.3448:                             ;   in Loop: Header=BB4_3183 Depth=3
	s_or_b32 exec_lo, exec_lo, s73
	v_add_nc_u32_e32 v2, 0xffffff81, v85
	v_lshrrev_b32_e32 v5, 23, v4
	s_mov_b32 s13, exec_lo
	s_delay_alu instid0(VALU_DEP_2) | instskip(NEXT) | instid1(VALU_DEP_1)
	v_cndmask_b32_e64 v2, v2, 0xffffff82, vcc_lo
	v_add3_u32 v25, v100, v2, v5
	v_and_b32_e32 v2, 0x1fffff, v24
                                        ; implicit-def: $vgpr24
	s_delay_alu instid0(VALU_DEP_1) | instskip(NEXT) | instid1(VALU_DEP_1)
	v_dual_add_nc_u32 v85, 14, v25 :: v_dual_add_nc_u32 v2, v2, v4
                                        ; implicit-def: $vgpr4_vgpr5
	v_cmpx_ne_u32_e32 0, v85
	s_xor_b32 s13, exec_lo, s13
; %bb.3449:                             ;   in Loop: Header=BB4_3183 Depth=3
	s_delay_alu instid0(VALU_DEP_2) | instskip(SKIP_1) | instid1(VALU_DEP_1)
	v_cmp_lt_u64_e32 vcc_lo, 0xffffff, v[2:3]
	v_add_nc_u32_e32 v4, 15, v25
	v_cndmask_b32_e32 v24, v85, v4, vcc_lo
	v_cndmask_b32_e64 v4, 0, 1, vcc_lo
	s_delay_alu instid0(VALU_DEP_1)
	v_lshrrev_b64 v[4:5], v4, v[2:3]
; %bb.3450:                             ;   in Loop: Header=BB4_3183 Depth=3
	s_and_not1_saveexec_b32 s13, s13
; %bb.3451:                             ;   in Loop: Header=BB4_3183 Depth=3
	v_mov_b64_e32 v[4:5], v[2:3]
	v_bfe_u32 v24, v2, 23, 1
; %bb.3452:                             ;   in Loop: Header=BB4_3183 Depth=3
	s_or_b32 exec_lo, exec_lo, s13
	s_delay_alu instid0(VALU_DEP_2) | instskip(NEXT) | instid1(VALU_DEP_2)
	v_lshrrev_b64 v[4:5], 21, v[4:5]
	v_cmp_gt_i32_e32 vcc_lo, 32, v24
	v_min_i32_e32 v2, 31, v24
	v_cmp_eq_u32_e64 s13, 0, v24
	s_delay_alu instid0(VALU_DEP_2) | instskip(SKIP_1) | instid1(VALU_DEP_2)
	v_dual_cndmask_b32 v5, 0, v5 :: v_dual_lshlrev_b32 v2, 2, v2
	v_cndmask_b32_e32 v4, 3, v4, vcc_lo
	v_and_b32_e32 v2, 0xfc, v2
	s_delay_alu instid0(VALU_DEP_2) | instskip(NEXT) | instid1(VALU_DEP_2)
	v_cmp_eq_u64_e32 vcc_lo, 0, v[4:5]
	v_and_or_b32 v2, v4, 3, v2
	s_and_b32 s13, s13, vcc_lo
	s_delay_alu instid0(VALU_DEP_1) | instid1(SALU_CYCLE_1)
	v_cndmask_b32_e64 v2, v2, 0, s13
	s_delay_alu instid0(VALU_DEP_1)
	v_or_b32_e32 v24, v2, v84
.LBB4_3453:                             ;   in Loop: Header=BB4_3183 Depth=3
	s_or_b32 exec_lo, exec_lo, s72
                                        ; implicit-def: $vgpr84
.LBB4_3454:                             ;   in Loop: Header=BB4_3183 Depth=3
	s_and_not1_saveexec_b32 s13, s43
; %bb.3455:                             ;   in Loop: Header=BB4_3183 Depth=3
	v_or_b32_e32 v24, 0x7b, v84
; %bb.3456:                             ;   in Loop: Header=BB4_3183 Depth=3
	s_or_b32 exec_lo, exec_lo, s13
                                        ; implicit-def: $vgpr4
                                        ; implicit-def: $vgpr5
.LBB4_3457:                             ;   in Loop: Header=BB4_3183 Depth=3
	s_and_not1_saveexec_b32 s13, s42
	s_cbranch_execz .LBB4_3463
; %bb.3458:                             ;   in Loop: Header=BB4_3183 Depth=3
	s_mov_b32 s42, exec_lo
                                        ; implicit-def: $vgpr24
	v_cmpx_ne_u64_e32 0, v[2:3]
	s_xor_b32 s42, exec_lo, s42
; %bb.3459:                             ;   in Loop: Header=BB4_3183 Depth=3
	v_or_b32_e32 v24, 0x7f, v5
                                        ; implicit-def: $vgpr4
; %bb.3460:                             ;   in Loop: Header=BB4_3183 Depth=3
	s_and_not1_saveexec_b32 s42, s42
; %bb.3461:                             ;   in Loop: Header=BB4_3183 Depth=3
	v_cmp_lt_i32_e32 vcc_lo, -1, v4
	v_cndmask_b32_e32 v24, 0xfc, v113, vcc_lo
; %bb.3462:                             ;   in Loop: Header=BB4_3183 Depth=3
	s_or_b32 exec_lo, exec_lo, s42
.LBB4_3463:                             ;   in Loop: Header=BB4_3183 Depth=3
	s_delay_alu instid0(SALU_CYCLE_1)
	s_or_b32 exec_lo, exec_lo, s13
	v_dual_mov_b32 v4, 0 :: v_dual_mov_b32 v5, 0
	s_mov_b32 s13, exec_lo
	v_cmpx_lt_u64_e64 s[22:23], v[20:21]
	s_cbranch_execz .LBB4_3473
; %bb.3464:                             ;   in Loop: Header=BB4_3183 Depth=3
	v_lshrrev_b32_e32 v2, 24, v21
	v_bfrev_b32_e32 v5, 1
	s_mov_b32 s42, exec_lo
	s_delay_alu instid0(VALU_DEP_2)
	v_cmpx_ne_u32_e32 0x80, v2
	s_cbranch_execz .LBB4_3472
; %bb.3465:                             ;   in Loop: Header=BB4_3183 Depth=3
	v_and_b32_e32 v5, 0x7c000000, v21
	v_bfe_u32 v25, v21, 24, 2
	s_delay_alu instid0(VALU_DEP_2) | instskip(SKIP_1) | instid1(SALU_CYCLE_1)
	v_cmp_ne_u32_e32 vcc_lo, 0x7c000000, v5
                                        ; implicit-def: $vgpr5
	s_and_saveexec_b32 s43, vcc_lo
	s_xor_b32 s43, exec_lo, s43
	s_cbranch_execz .LBB4_3469
; %bb.3466:                             ;   in Loop: Header=BB4_3183 Depth=3
	v_bfe_u32 v5, v21, 26, 5
	s_mov_b32 s72, exec_lo
	s_delay_alu instid0(VALU_DEP_1)
	v_cmpx_eq_u32_e32 0, v5
; %bb.3467:                             ;   in Loop: Header=BB4_3183 Depth=3
	v_clz_i32_u32_e32 v5, v25
	s_delay_alu instid0(VALU_DEP_1) | instskip(NEXT) | instid1(VALU_DEP_1)
	v_min_u32_e32 v5, 32, v5
	v_subrev_nc_u32_e32 v25, 29, v5
	s_delay_alu instid0(VALU_DEP_1) | instskip(NEXT) | instid1(VALU_DEP_1)
	v_lshlrev_b64_e32 v[84:85], v25, v[2:3]
	v_dual_sub_nc_u32 v5, 30, v5 :: v_dual_bitop2_b32 v25, 3, v84 bitop3:0x40
; %bb.3468:                             ;   in Loop: Header=BB4_3183 Depth=3
	s_or_b32 exec_lo, exec_lo, s72
	v_and_b32_e32 v2, 0x80000000, v21
	s_delay_alu instid0(VALU_DEP_1) | instskip(NEXT) | instid1(VALU_DEP_1)
	v_lshl_add_u32 v2, v5, 23, v2
	v_lshl_or_b32 v2, v25, 21, v2
                                        ; implicit-def: $vgpr25
	s_delay_alu instid0(VALU_DEP_1)
	v_add_nc_u32_e32 v5, 0x38000000, v2
.LBB4_3469:                             ;   in Loop: Header=BB4_3183 Depth=3
	s_and_not1_saveexec_b32 s43, s43
; %bb.3470:                             ;   in Loop: Header=BB4_3183 Depth=3
	v_cmp_lt_i64_e32 vcc_lo, -1, v[20:21]
	v_cndmask_b32_e32 v2, 0xff800000, v112, vcc_lo
	v_cmp_eq_u32_e32 vcc_lo, 0, v25
	s_delay_alu instid0(VALU_DEP_2)
	v_cndmask_b32_e32 v5, 0x7f800001, v2, vcc_lo
; %bb.3471:                             ;   in Loop: Header=BB4_3183 Depth=3
	s_or_b32 exec_lo, exec_lo, s43
.LBB4_3472:                             ;   in Loop: Header=BB4_3183 Depth=3
	s_delay_alu instid0(SALU_CYCLE_1)
	s_or_b32 exec_lo, exec_lo, s42
.LBB4_3473:                             ;   in Loop: Header=BB4_3183 Depth=3
	s_delay_alu instid0(SALU_CYCLE_1) | instskip(NEXT) | instid1(SALU_CYCLE_1)
	s_or_b32 exec_lo, exec_lo, s13
	s_mov_b32 s13, exec_lo
	v_cmpx_lt_u64_e64 s[22:23], v[16:17]
	s_cbranch_execz .LBB4_3483
; %bb.3474:                             ;   in Loop: Header=BB4_3183 Depth=3
	v_lshrrev_b32_e32 v2, 24, v17
	v_bfrev_b32_e32 v4, 1
	s_mov_b32 s42, exec_lo
	s_delay_alu instid0(VALU_DEP_2)
	v_cmpx_ne_u32_e32 0x80, v2
	s_cbranch_execz .LBB4_3482
; %bb.3475:                             ;   in Loop: Header=BB4_3183 Depth=3
	v_and_b32_e32 v4, 0x7c000000, v17
	v_bfe_u32 v20, v17, 24, 2
	s_delay_alu instid0(VALU_DEP_2) | instskip(SKIP_1) | instid1(SALU_CYCLE_1)
	v_cmp_ne_u32_e32 vcc_lo, 0x7c000000, v4
                                        ; implicit-def: $vgpr4
	s_and_saveexec_b32 s43, vcc_lo
	s_xor_b32 s43, exec_lo, s43
	s_cbranch_execz .LBB4_3479
; %bb.3476:                             ;   in Loop: Header=BB4_3183 Depth=3
	v_bfe_u32 v4, v17, 26, 5
	s_mov_b32 s72, exec_lo
	s_delay_alu instid0(VALU_DEP_1)
	v_cmpx_eq_u32_e32 0, v4
; %bb.3477:                             ;   in Loop: Header=BB4_3183 Depth=3
	v_clz_i32_u32_e32 v4, v20
	s_delay_alu instid0(VALU_DEP_1) | instskip(NEXT) | instid1(VALU_DEP_1)
	v_min_u32_e32 v4, 32, v4
	v_subrev_nc_u32_e32 v20, 29, v4
	v_sub_nc_u32_e32 v4, 30, v4
	s_delay_alu instid0(VALU_DEP_2) | instskip(NEXT) | instid1(VALU_DEP_1)
	v_lshlrev_b64_e32 v[20:21], v20, v[2:3]
	v_and_b32_e32 v20, 3, v20
; %bb.3478:                             ;   in Loop: Header=BB4_3183 Depth=3
	s_or_b32 exec_lo, exec_lo, s72
	v_and_b32_e32 v2, 0x80000000, v17
	s_delay_alu instid0(VALU_DEP_1) | instskip(NEXT) | instid1(VALU_DEP_1)
	v_lshl_add_u32 v2, v4, 23, v2
	v_lshl_or_b32 v2, v20, 21, v2
                                        ; implicit-def: $vgpr20
	s_delay_alu instid0(VALU_DEP_1)
	v_add_nc_u32_e32 v4, 0x38000000, v2
.LBB4_3479:                             ;   in Loop: Header=BB4_3183 Depth=3
	s_and_not1_saveexec_b32 s43, s43
; %bb.3480:                             ;   in Loop: Header=BB4_3183 Depth=3
	v_cmp_lt_i64_e32 vcc_lo, -1, v[16:17]
	v_cndmask_b32_e32 v2, 0xff800000, v112, vcc_lo
	v_cmp_eq_u32_e32 vcc_lo, 0, v20
	s_delay_alu instid0(VALU_DEP_2)
	v_cndmask_b32_e32 v4, 0x7f800001, v2, vcc_lo
; %bb.3481:                             ;   in Loop: Header=BB4_3183 Depth=3
	s_or_b32 exec_lo, exec_lo, s43
.LBB4_3482:                             ;   in Loop: Header=BB4_3183 Depth=3
	s_delay_alu instid0(SALU_CYCLE_1)
	s_or_b32 exec_lo, exec_lo, s42
.LBB4_3483:                             ;   in Loop: Header=BB4_3183 Depth=3
	s_delay_alu instid0(SALU_CYCLE_1) | instskip(NEXT) | instid1(VALU_DEP_1)
	s_or_b32 exec_lo, exec_lo, s13
	v_dual_mul_f32 v4, v5, v4 :: v_dual_mov_b32 v17, v3
                                        ; implicit-def: $vgpr20
	s_mov_b32 s13, exec_lo
	s_delay_alu instid0(VALU_DEP_1) | instskip(SKIP_2) | instid1(VALU_DEP_3)
	v_and_b32_e32 v16, 0x7f800000, v4
	v_and_b32_e32 v2, 0x7fffff, v4
	v_lshrrev_b32_e32 v5, 24, v4
	v_cmpx_ne_u64_e32 0x7f800000, v[16:17]
	s_xor_b32 s42, exec_lo, s13
	s_cbranch_execz .LBB4_3497
; %bb.3484:                             ;   in Loop: Header=BB4_3183 Depth=3
	v_and_b32_e32 v16, 0x7fffffff, v4
	v_mov_b32_e32 v17, v3
	v_and_b32_e32 v21, 0x80, v5
                                        ; implicit-def: $vgpr20
	s_mov_b32 s13, exec_lo
	s_delay_alu instid0(VALU_DEP_2)
	v_cmpx_gt_u64_e32 0x47600001, v[16:17]
	s_xor_b32 s43, exec_lo, s13
	s_cbranch_execz .LBB4_3494
; %bb.3485:                             ;   in Loop: Header=BB4_3183 Depth=3
	v_mov_b32_e32 v20, 0
	s_mov_b32 s72, exec_lo
	v_cmpx_ne_u32_e32 0, v4
	s_cbranch_execz .LBB4_3493
; %bb.3486:                             ;   in Loop: Header=BB4_3183 Depth=3
	v_bfe_u32 v20, v4, 23, 8
	v_or_b32_e32 v16, 0x800000, v2
	s_mov_b32 s73, exec_lo
	s_delay_alu instid0(VALU_DEP_2) | instskip(SKIP_1) | instid1(VALU_DEP_2)
	v_dual_mov_b32 v17, v3 :: v_dual_sub_nc_u32 v4, 0x71, v20
	v_cmp_gt_u32_e32 vcc_lo, 0x72, v20
	v_cndmask_b32_e32 v4, 0, v4, vcc_lo
	v_cmp_eq_u32_e32 vcc_lo, 0, v20
	s_delay_alu instid0(VALU_DEP_2) | instskip(NEXT) | instid1(VALU_DEP_1)
	v_cndmask_b32_e64 v25, v4, 0x70, vcc_lo
	v_dual_cndmask_b32 v16, v16, v2, vcc_lo :: v_dual_add_nc_u32 v4, 21, v25
	v_add_nc_u32_e32 v84, 20, v25
	s_delay_alu instid0(VALU_DEP_2) | instskip(NEXT) | instid1(VALU_DEP_2)
	v_lshlrev_b64_e64 v[4:5], v4, -1
	v_lshlrev_b64_e64 v[84:85], v84, 1
	s_delay_alu instid0(VALU_DEP_2) | instskip(NEXT) | instid1(VALU_DEP_3)
	v_bfi_b32 v101, v5, 0, 0
	v_bfi_b32 v100, v4, 0, v16
	v_lshrrev_b64 v[4:5], v25, v[16:17]
	s_delay_alu instid0(VALU_DEP_1) | instskip(NEXT) | instid1(VALU_DEP_3)
	v_mov_b64_e32 v[16:17], v[4:5]
	v_cmpx_eq_u64_e64 v[100:101], v[84:85]
; %bb.3487:                             ;   in Loop: Header=BB4_3183 Depth=3
	v_bfe_u32 v16, v4, 21, 1
	v_mov_b32_e32 v17, v3
	s_delay_alu instid0(VALU_DEP_1) | instskip(NEXT) | instid1(VALU_DEP_1)
	v_add_nc_u64_e32 v[16:17], v[4:5], v[16:17]
	v_add_nc_u64_e32 v[16:17], -1, v[16:17]
; %bb.3488:                             ;   in Loop: Header=BB4_3183 Depth=3
	s_or_b32 exec_lo, exec_lo, s73
	v_add_nc_u32_e32 v2, 0xffffff81, v20
	v_lshrrev_b32_e32 v5, 23, v4
	s_mov_b32 s13, exec_lo
	s_delay_alu instid0(VALU_DEP_2) | instskip(NEXT) | instid1(VALU_DEP_1)
	v_cndmask_b32_e64 v2, v2, 0xffffff82, vcc_lo
	v_add3_u32 v17, v25, v2, v5
	v_and_b32_e32 v2, 0x1fffff, v16
                                        ; implicit-def: $vgpr16
	s_delay_alu instid0(VALU_DEP_1) | instskip(NEXT) | instid1(VALU_DEP_1)
	v_dual_add_nc_u32 v20, 14, v17 :: v_dual_add_nc_u32 v2, v2, v4
                                        ; implicit-def: $vgpr4_vgpr5
	v_cmpx_ne_u32_e32 0, v20
	s_xor_b32 s13, exec_lo, s13
; %bb.3489:                             ;   in Loop: Header=BB4_3183 Depth=3
	s_delay_alu instid0(VALU_DEP_2) | instskip(SKIP_1) | instid1(VALU_DEP_1)
	v_cmp_lt_u64_e32 vcc_lo, 0xffffff, v[2:3]
	v_add_nc_u32_e32 v4, 15, v17
	v_cndmask_b32_e32 v16, v20, v4, vcc_lo
	v_cndmask_b32_e64 v4, 0, 1, vcc_lo
	s_delay_alu instid0(VALU_DEP_1)
	v_lshrrev_b64 v[4:5], v4, v[2:3]
; %bb.3490:                             ;   in Loop: Header=BB4_3183 Depth=3
	s_and_not1_saveexec_b32 s13, s13
; %bb.3491:                             ;   in Loop: Header=BB4_3183 Depth=3
	v_mov_b64_e32 v[4:5], v[2:3]
	v_bfe_u32 v16, v2, 23, 1
; %bb.3492:                             ;   in Loop: Header=BB4_3183 Depth=3
	s_or_b32 exec_lo, exec_lo, s13
	s_delay_alu instid0(VALU_DEP_2) | instskip(NEXT) | instid1(VALU_DEP_2)
	v_lshrrev_b64 v[4:5], 21, v[4:5]
	v_cmp_gt_i32_e32 vcc_lo, 32, v16
	v_min_i32_e32 v2, 31, v16
	v_cmp_eq_u32_e64 s13, 0, v16
	s_delay_alu instid0(VALU_DEP_2) | instskip(SKIP_1) | instid1(VALU_DEP_2)
	v_dual_cndmask_b32 v5, 0, v5 :: v_dual_lshlrev_b32 v2, 2, v2
	v_cndmask_b32_e32 v4, 3, v4, vcc_lo
	v_and_b32_e32 v2, 0xfc, v2
	s_delay_alu instid0(VALU_DEP_2) | instskip(NEXT) | instid1(VALU_DEP_2)
	v_cmp_eq_u64_e32 vcc_lo, 0, v[4:5]
	v_and_or_b32 v2, v4, 3, v2
	s_and_b32 s13, s13, vcc_lo
	s_delay_alu instid0(VALU_DEP_1) | instid1(SALU_CYCLE_1)
	v_cndmask_b32_e64 v2, v2, 0, s13
	s_delay_alu instid0(VALU_DEP_1)
	v_or_b32_e32 v20, v2, v21
.LBB4_3493:                             ;   in Loop: Header=BB4_3183 Depth=3
	s_or_b32 exec_lo, exec_lo, s72
                                        ; implicit-def: $vgpr21
.LBB4_3494:                             ;   in Loop: Header=BB4_3183 Depth=3
	s_and_not1_saveexec_b32 s13, s43
; %bb.3495:                             ;   in Loop: Header=BB4_3183 Depth=3
	v_or_b32_e32 v20, 0x7b, v21
; %bb.3496:                             ;   in Loop: Header=BB4_3183 Depth=3
	s_or_b32 exec_lo, exec_lo, s13
                                        ; implicit-def: $vgpr4
                                        ; implicit-def: $vgpr5
.LBB4_3497:                             ;   in Loop: Header=BB4_3183 Depth=3
	s_and_not1_saveexec_b32 s13, s42
	s_cbranch_execz .LBB4_3503
; %bb.3498:                             ;   in Loop: Header=BB4_3183 Depth=3
	s_mov_b32 s42, exec_lo
                                        ; implicit-def: $vgpr20
	v_cmpx_ne_u64_e32 0, v[2:3]
	s_xor_b32 s42, exec_lo, s42
; %bb.3499:                             ;   in Loop: Header=BB4_3183 Depth=3
	v_or_b32_e32 v20, 0x7f, v5
                                        ; implicit-def: $vgpr4
; %bb.3500:                             ;   in Loop: Header=BB4_3183 Depth=3
	s_and_not1_saveexec_b32 s42, s42
; %bb.3501:                             ;   in Loop: Header=BB4_3183 Depth=3
	v_cmp_lt_i32_e32 vcc_lo, -1, v4
	v_cndmask_b32_e32 v20, 0xfc, v113, vcc_lo
; %bb.3502:                             ;   in Loop: Header=BB4_3183 Depth=3
	s_or_b32 exec_lo, exec_lo, s42
.LBB4_3503:                             ;   in Loop: Header=BB4_3183 Depth=3
	s_delay_alu instid0(SALU_CYCLE_1) | instskip(SKIP_2) | instid1(VALU_DEP_2)
	s_or_b32 exec_lo, exec_lo, s13
	v_and_b32_e32 v4, 0xff, v22
	v_mov_b32_e32 v2, 0
	v_cmp_ne_u16_e32 vcc_lo, 0, v4
	v_mov_b32_e32 v4, 0
	s_and_saveexec_b32 s13, vcc_lo
	s_cbranch_execz .LBB4_3513
; %bb.3504:                             ;   in Loop: Header=BB4_3183 Depth=3
	v_bfe_i32 v16, v22, 0, 8
	v_bfrev_b32_e32 v4, 1
	s_mov_b32 s42, exec_lo
	s_delay_alu instid0(VALU_DEP_2)
	v_cmpx_ne_u16_e32 0xff80, v16
	s_cbranch_execz .LBB4_3512
; %bb.3505:                             ;   in Loop: Header=BB4_3183 Depth=3
	v_and_b32_e32 v4, 0x7c, v22
	v_and_b32_e32 v5, 3, v22
	s_delay_alu instid0(VALU_DEP_2) | instskip(SKIP_1) | instid1(SALU_CYCLE_1)
	v_cmp_ne_u32_e32 vcc_lo, 0x7c, v4
                                        ; implicit-def: $vgpr4
	s_and_saveexec_b32 s43, vcc_lo
	s_xor_b32 s43, exec_lo, s43
	s_cbranch_execz .LBB4_3509
; %bb.3506:                             ;   in Loop: Header=BB4_3183 Depth=3
	v_bfe_u32 v4, v22, 2, 5
	s_mov_b32 s72, exec_lo
	s_delay_alu instid0(VALU_DEP_1)
	v_cmpx_eq_u32_e32 0, v4
; %bb.3507:                             ;   in Loop: Header=BB4_3183 Depth=3
	v_clz_i32_u32_e32 v4, v5
	s_delay_alu instid0(VALU_DEP_1) | instskip(NEXT) | instid1(VALU_DEP_1)
	v_min_u32_e32 v4, 32, v4
	v_subrev_nc_u32_e32 v5, 29, v4
	v_sub_nc_u32_e32 v4, 30, v4
	s_delay_alu instid0(VALU_DEP_2) | instskip(NEXT) | instid1(VALU_DEP_1)
	v_lshlrev_b64_e32 v[16:17], v5, v[22:23]
	v_and_b32_e32 v5, 3, v16
; %bb.3508:                             ;   in Loop: Header=BB4_3183 Depth=3
	s_or_b32 exec_lo, exec_lo, s72
	v_lshlrev_b32_e32 v16, 24, v22
	s_delay_alu instid0(VALU_DEP_1) | instskip(NEXT) | instid1(VALU_DEP_1)
	v_and_b32_e32 v16, 0x80000000, v16
	v_lshl_add_u32 v4, v4, 23, v16
                                        ; implicit-def: $vgpr16
	s_delay_alu instid0(VALU_DEP_1) | instskip(NEXT) | instid1(VALU_DEP_1)
	v_lshl_or_b32 v4, v5, 21, v4
                                        ; implicit-def: $vgpr5
	v_add_nc_u32_e32 v4, 0x38000000, v4
.LBB4_3509:                             ;   in Loop: Header=BB4_3183 Depth=3
	s_and_not1_saveexec_b32 s43, s43
; %bb.3510:                             ;   in Loop: Header=BB4_3183 Depth=3
	v_cmp_lt_i16_e32 vcc_lo, -1, v16
	v_cndmask_b32_e32 v4, 0xff800000, v112, vcc_lo
	v_cmp_eq_u32_e32 vcc_lo, 0, v5
	s_delay_alu instid0(VALU_DEP_2)
	v_cndmask_b32_e32 v4, 0x7f800001, v4, vcc_lo
; %bb.3511:                             ;   in Loop: Header=BB4_3183 Depth=3
	s_or_b32 exec_lo, exec_lo, s43
.LBB4_3512:                             ;   in Loop: Header=BB4_3183 Depth=3
	s_delay_alu instid0(SALU_CYCLE_1)
	s_or_b32 exec_lo, exec_lo, s42
.LBB4_3513:                             ;   in Loop: Header=BB4_3183 Depth=3
	s_delay_alu instid0(SALU_CYCLE_1) | instskip(SKIP_2) | instid1(VALU_DEP_1)
	s_or_b32 exec_lo, exec_lo, s13
	v_and_b32_e32 v5, 0xff, v18
	s_mov_b32 s13, exec_lo
	v_cmpx_ne_u16_e32 0, v5
	s_cbranch_execz .LBB4_3523
; %bb.3514:                             ;   in Loop: Header=BB4_3183 Depth=3
	v_bfe_i32 v16, v18, 0, 8
	v_bfrev_b32_e32 v2, 1
	s_mov_b32 s42, exec_lo
	s_delay_alu instid0(VALU_DEP_2)
	v_cmpx_ne_u16_e32 0xff80, v16
	s_cbranch_execz .LBB4_3522
; %bb.3515:                             ;   in Loop: Header=BB4_3183 Depth=3
	v_and_b32_e32 v2, 0x7c, v18
	v_and_b32_e32 v5, 3, v18
	s_delay_alu instid0(VALU_DEP_2) | instskip(SKIP_1) | instid1(SALU_CYCLE_1)
	v_cmp_ne_u32_e32 vcc_lo, 0x7c, v2
                                        ; implicit-def: $vgpr2
	s_and_saveexec_b32 s43, vcc_lo
	s_xor_b32 s43, exec_lo, s43
	s_cbranch_execz .LBB4_3519
; %bb.3516:                             ;   in Loop: Header=BB4_3183 Depth=3
	v_bfe_u32 v2, v18, 2, 5
	s_mov_b32 s72, exec_lo
	s_delay_alu instid0(VALU_DEP_1)
	v_cmpx_eq_u32_e32 0, v2
; %bb.3517:                             ;   in Loop: Header=BB4_3183 Depth=3
	v_clz_i32_u32_e32 v2, v5
	s_delay_alu instid0(VALU_DEP_1) | instskip(NEXT) | instid1(VALU_DEP_1)
	v_min_u32_e32 v2, 32, v2
	v_subrev_nc_u32_e32 v5, 29, v2
	s_delay_alu instid0(VALU_DEP_1) | instskip(NEXT) | instid1(VALU_DEP_1)
	v_lshlrev_b64_e32 v[16:17], v5, v[18:19]
	v_dual_sub_nc_u32 v2, 30, v2 :: v_dual_bitop2_b32 v5, 3, v16 bitop3:0x40
; %bb.3518:                             ;   in Loop: Header=BB4_3183 Depth=3
	s_or_b32 exec_lo, exec_lo, s72
	v_lshlrev_b32_e32 v16, 24, v18
	s_delay_alu instid0(VALU_DEP_1) | instskip(NEXT) | instid1(VALU_DEP_1)
	v_and_b32_e32 v16, 0x80000000, v16
	v_lshl_add_u32 v2, v2, 23, v16
                                        ; implicit-def: $vgpr16
	s_delay_alu instid0(VALU_DEP_1) | instskip(NEXT) | instid1(VALU_DEP_1)
	v_lshl_or_b32 v2, v5, 21, v2
                                        ; implicit-def: $vgpr5
	v_add_nc_u32_e32 v2, 0x38000000, v2
.LBB4_3519:                             ;   in Loop: Header=BB4_3183 Depth=3
	s_and_not1_saveexec_b32 s43, s43
; %bb.3520:                             ;   in Loop: Header=BB4_3183 Depth=3
	v_cmp_lt_i16_e32 vcc_lo, -1, v16
	v_cndmask_b32_e32 v2, 0xff800000, v112, vcc_lo
	v_cmp_eq_u32_e32 vcc_lo, 0, v5
	s_delay_alu instid0(VALU_DEP_2)
	v_cndmask_b32_e32 v2, 0x7f800001, v2, vcc_lo
; %bb.3521:                             ;   in Loop: Header=BB4_3183 Depth=3
	s_or_b32 exec_lo, exec_lo, s43
.LBB4_3522:                             ;   in Loop: Header=BB4_3183 Depth=3
	s_delay_alu instid0(SALU_CYCLE_1)
	s_or_b32 exec_lo, exec_lo, s42
.LBB4_3523:                             ;   in Loop: Header=BB4_3183 Depth=3
	s_delay_alu instid0(SALU_CYCLE_1) | instskip(NEXT) | instid1(VALU_DEP_1)
	s_or_b32 exec_lo, exec_lo, s13
	v_dual_mul_f32 v4, v4, v2 :: v_dual_mov_b32 v17, v3
                                        ; implicit-def: $vgpr21
	s_mov_b32 s13, exec_lo
	s_delay_alu instid0(VALU_DEP_1) | instskip(SKIP_2) | instid1(VALU_DEP_3)
	v_and_b32_e32 v16, 0x7f800000, v4
	v_and_b32_e32 v2, 0x7fffff, v4
	v_lshrrev_b32_e32 v5, 24, v4
	v_cmpx_ne_u64_e32 0x7f800000, v[16:17]
	s_xor_b32 s42, exec_lo, s13
	s_cbranch_execz .LBB4_3537
; %bb.3524:                             ;   in Loop: Header=BB4_3183 Depth=3
	v_and_b32_e32 v16, 0x7fffffff, v4
	v_mov_b32_e32 v17, v3
	v_and_b32_e32 v25, 0x80, v5
                                        ; implicit-def: $vgpr21
	s_mov_b32 s13, exec_lo
	s_delay_alu instid0(VALU_DEP_2)
	v_cmpx_gt_u64_e32 0x47600001, v[16:17]
	s_xor_b32 s43, exec_lo, s13
	s_cbranch_execz .LBB4_3534
; %bb.3525:                             ;   in Loop: Header=BB4_3183 Depth=3
	v_mov_b32_e32 v21, 0
	s_mov_b32 s72, exec_lo
	v_cmpx_ne_u32_e32 0, v4
	s_cbranch_execz .LBB4_3533
; %bb.3526:                             ;   in Loop: Header=BB4_3183 Depth=3
	v_bfe_u32 v21, v4, 23, 8
	v_or_b32_e32 v16, 0x800000, v2
	s_mov_b32 s73, exec_lo
	s_delay_alu instid0(VALU_DEP_2) | instskip(SKIP_1) | instid1(VALU_DEP_2)
	v_dual_mov_b32 v17, v3 :: v_dual_sub_nc_u32 v4, 0x71, v21
	v_cmp_gt_u32_e32 vcc_lo, 0x72, v21
	v_cndmask_b32_e32 v4, 0, v4, vcc_lo
	v_cmp_eq_u32_e32 vcc_lo, 0, v21
	v_cndmask_b32_e32 v16, v16, v2, vcc_lo
	s_delay_alu instid0(VALU_DEP_3) | instskip(NEXT) | instid1(VALU_DEP_1)
	v_cndmask_b32_e64 v84, v4, 0x70, vcc_lo
	v_dual_add_nc_u32 v4, 21, v84 :: v_dual_add_nc_u32 v85, 20, v84
	s_delay_alu instid0(VALU_DEP_1) | instskip(NEXT) | instid1(VALU_DEP_2)
	v_lshlrev_b64_e64 v[4:5], v4, -1
	v_lshlrev_b64_e64 v[100:101], v85, 1
	s_delay_alu instid0(VALU_DEP_2) | instskip(NEXT) | instid1(VALU_DEP_3)
	v_bfi_b32 v103, v5, 0, 0
	v_bfi_b32 v102, v4, 0, v16
	v_lshrrev_b64 v[4:5], v84, v[16:17]
	s_delay_alu instid0(VALU_DEP_1) | instskip(NEXT) | instid1(VALU_DEP_3)
	v_mov_b64_e32 v[16:17], v[4:5]
	v_cmpx_eq_u64_e64 v[102:103], v[100:101]
; %bb.3527:                             ;   in Loop: Header=BB4_3183 Depth=3
	v_bfe_u32 v16, v4, 21, 1
	v_mov_b32_e32 v17, v3
	s_delay_alu instid0(VALU_DEP_1) | instskip(NEXT) | instid1(VALU_DEP_1)
	v_add_nc_u64_e32 v[16:17], v[4:5], v[16:17]
	v_add_nc_u64_e32 v[16:17], -1, v[16:17]
; %bb.3528:                             ;   in Loop: Header=BB4_3183 Depth=3
	s_or_b32 exec_lo, exec_lo, s73
	v_add_nc_u32_e32 v2, 0xffffff81, v21
	v_lshrrev_b32_e32 v5, 23, v4
	s_mov_b32 s13, exec_lo
	s_delay_alu instid0(VALU_DEP_2) | instskip(NEXT) | instid1(VALU_DEP_1)
	v_cndmask_b32_e64 v2, v2, 0xffffff82, vcc_lo
	v_add3_u32 v17, v84, v2, v5
	v_and_b32_e32 v2, 0x1fffff, v16
                                        ; implicit-def: $vgpr16
	s_delay_alu instid0(VALU_DEP_1) | instskip(NEXT) | instid1(VALU_DEP_1)
	v_dual_add_nc_u32 v21, 14, v17 :: v_dual_add_nc_u32 v2, v2, v4
                                        ; implicit-def: $vgpr4_vgpr5
	v_cmpx_ne_u32_e32 0, v21
	s_xor_b32 s13, exec_lo, s13
; %bb.3529:                             ;   in Loop: Header=BB4_3183 Depth=3
	s_delay_alu instid0(VALU_DEP_2) | instskip(SKIP_1) | instid1(VALU_DEP_1)
	v_cmp_lt_u64_e32 vcc_lo, 0xffffff, v[2:3]
	v_add_nc_u32_e32 v4, 15, v17
	v_cndmask_b32_e32 v16, v21, v4, vcc_lo
	v_cndmask_b32_e64 v4, 0, 1, vcc_lo
	s_delay_alu instid0(VALU_DEP_1)
	v_lshrrev_b64 v[4:5], v4, v[2:3]
; %bb.3530:                             ;   in Loop: Header=BB4_3183 Depth=3
	s_and_not1_saveexec_b32 s13, s13
; %bb.3531:                             ;   in Loop: Header=BB4_3183 Depth=3
	v_mov_b64_e32 v[4:5], v[2:3]
	v_bfe_u32 v16, v2, 23, 1
; %bb.3532:                             ;   in Loop: Header=BB4_3183 Depth=3
	s_or_b32 exec_lo, exec_lo, s13
	s_delay_alu instid0(VALU_DEP_2) | instskip(NEXT) | instid1(VALU_DEP_2)
	v_lshrrev_b64 v[4:5], 21, v[4:5]
	v_cmp_gt_i32_e32 vcc_lo, 32, v16
	v_min_i32_e32 v2, 31, v16
	v_cmp_eq_u32_e64 s13, 0, v16
	s_delay_alu instid0(VALU_DEP_2) | instskip(SKIP_1) | instid1(VALU_DEP_2)
	v_dual_cndmask_b32 v5, 0, v5 :: v_dual_lshlrev_b32 v2, 2, v2
	v_cndmask_b32_e32 v4, 3, v4, vcc_lo
	v_and_b32_e32 v2, 0xfc, v2
	s_delay_alu instid0(VALU_DEP_2) | instskip(NEXT) | instid1(VALU_DEP_2)
	v_cmp_eq_u64_e32 vcc_lo, 0, v[4:5]
	v_and_or_b32 v2, v4, 3, v2
	s_and_b32 s13, s13, vcc_lo
	s_delay_alu instid0(VALU_DEP_1) | instid1(SALU_CYCLE_1)
	v_cndmask_b32_e64 v2, v2, 0, s13
	s_delay_alu instid0(VALU_DEP_1)
	v_or_b32_e32 v21, v2, v25
.LBB4_3533:                             ;   in Loop: Header=BB4_3183 Depth=3
	s_or_b32 exec_lo, exec_lo, s72
                                        ; implicit-def: $vgpr25
.LBB4_3534:                             ;   in Loop: Header=BB4_3183 Depth=3
	s_and_not1_saveexec_b32 s13, s43
; %bb.3535:                             ;   in Loop: Header=BB4_3183 Depth=3
	v_or_b32_e32 v21, 0x7b, v25
; %bb.3536:                             ;   in Loop: Header=BB4_3183 Depth=3
	s_or_b32 exec_lo, exec_lo, s13
                                        ; implicit-def: $vgpr4
                                        ; implicit-def: $vgpr5
.LBB4_3537:                             ;   in Loop: Header=BB4_3183 Depth=3
	s_and_not1_saveexec_b32 s13, s42
	s_cbranch_execz .LBB4_3543
; %bb.3538:                             ;   in Loop: Header=BB4_3183 Depth=3
	s_mov_b32 s42, exec_lo
                                        ; implicit-def: $vgpr21
	v_cmpx_ne_u64_e32 0, v[2:3]
	s_xor_b32 s42, exec_lo, s42
; %bb.3539:                             ;   in Loop: Header=BB4_3183 Depth=3
	v_or_b32_e32 v21, 0x7f, v5
                                        ; implicit-def: $vgpr4
; %bb.3540:                             ;   in Loop: Header=BB4_3183 Depth=3
	s_and_not1_saveexec_b32 s42, s42
; %bb.3541:                             ;   in Loop: Header=BB4_3183 Depth=3
	v_cmp_lt_i32_e32 vcc_lo, -1, v4
	v_cndmask_b32_e32 v21, 0xfc, v113, vcc_lo
; %bb.3542:                             ;   in Loop: Header=BB4_3183 Depth=3
	s_or_b32 exec_lo, exec_lo, s42
.LBB4_3543:                             ;   in Loop: Header=BB4_3183 Depth=3
	s_delay_alu instid0(SALU_CYCLE_1) | instskip(SKIP_3) | instid1(VALU_DEP_2)
	s_or_b32 exec_lo, exec_lo, s13
	v_lshrrev_b16 v4, 8, v22
	v_dual_mov_b32 v2, 0 :: v_dual_mov_b32 v16, 0
	s_mov_b32 s13, exec_lo
	v_cmpx_ne_u16_e32 0, v4
	s_cbranch_execz .LBB4_3553
; %bb.3544:                             ;   in Loop: Header=BB4_3183 Depth=3
	v_bfrev_b32_e32 v16, 1
	s_mov_b32 s42, exec_lo
	v_cmpx_ne_u16_e32 0x80, v4
	s_cbranch_execz .LBB4_3552
; %bb.3545:                             ;   in Loop: Header=BB4_3183 Depth=3
	v_and_b32_e32 v17, 0xffff, v4
	s_delay_alu instid0(VALU_DEP_1) | instskip(SKIP_1) | instid1(VALU_DEP_2)
	v_and_b32_e32 v16, 0x7c, v17
	v_and_b32_e32 v5, 3, v17
	v_cmp_ne_u32_e32 vcc_lo, 0x7c, v16
                                        ; implicit-def: $vgpr16
	s_and_saveexec_b32 s43, vcc_lo
	s_delay_alu instid0(SALU_CYCLE_1)
	s_xor_b32 s43, exec_lo, s43
	s_cbranch_execz .LBB4_3549
; %bb.3546:                             ;   in Loop: Header=BB4_3183 Depth=3
	v_bfe_u32 v16, v17, 2, 5
	s_mov_b32 s72, exec_lo
	s_delay_alu instid0(VALU_DEP_1)
	v_cmpx_eq_u32_e32 0, v16
	s_cbranch_execz .LBB4_3548
; %bb.3547:                             ;   in Loop: Header=BB4_3183 Depth=3
	v_clz_i32_u32_e32 v5, v5
	s_delay_alu instid0(VALU_DEP_1) | instskip(SKIP_1) | instid1(VALU_DEP_2)
	v_min_u32_e32 v16, 32, v5
	v_mov_b32_e32 v5, v3
	v_subrev_nc_u32_e32 v17, 29, v16
	v_sub_nc_u32_e32 v16, 30, v16
	s_delay_alu instid0(VALU_DEP_2) | instskip(NEXT) | instid1(VALU_DEP_1)
	v_lshlrev_b64_e32 v[4:5], v17, v[4:5]
	v_and_b32_e32 v5, 3, v4
.LBB4_3548:                             ;   in Loop: Header=BB4_3183 Depth=3
	s_or_b32 exec_lo, exec_lo, s72
	v_lshlrev_b32_e32 v4, 16, v22
	s_delay_alu instid0(VALU_DEP_1) | instskip(NEXT) | instid1(VALU_DEP_1)
	v_and_b32_e32 v4, 0x80000000, v4
	v_lshl_add_u32 v4, v16, 23, v4
	s_delay_alu instid0(VALU_DEP_1) | instskip(NEXT) | instid1(VALU_DEP_1)
	v_lshl_or_b32 v4, v5, 21, v4
                                        ; implicit-def: $vgpr5
	v_add_nc_u32_e32 v16, 0x38000000, v4
.LBB4_3549:                             ;   in Loop: Header=BB4_3183 Depth=3
	s_and_not1_saveexec_b32 s43, s43
; %bb.3550:                             ;   in Loop: Header=BB4_3183 Depth=3
	v_cmp_lt_i16_e32 vcc_lo, -1, v22
	v_cndmask_b32_e32 v4, 0xff800000, v112, vcc_lo
	v_cmp_eq_u32_e32 vcc_lo, 0, v5
	s_delay_alu instid0(VALU_DEP_2)
	v_cndmask_b32_e32 v16, 0x7f800001, v4, vcc_lo
; %bb.3551:                             ;   in Loop: Header=BB4_3183 Depth=3
	s_or_b32 exec_lo, exec_lo, s43
.LBB4_3552:                             ;   in Loop: Header=BB4_3183 Depth=3
	s_delay_alu instid0(SALU_CYCLE_1)
	s_or_b32 exec_lo, exec_lo, s42
.LBB4_3553:                             ;   in Loop: Header=BB4_3183 Depth=3
	s_delay_alu instid0(SALU_CYCLE_1) | instskip(SKIP_2) | instid1(VALU_DEP_1)
	s_or_b32 exec_lo, exec_lo, s13
	v_lshrrev_b16 v4, 8, v18
	s_mov_b32 s13, exec_lo
	v_cmpx_ne_u16_e32 0, v4
	s_cbranch_execz .LBB4_3563
; %bb.3554:                             ;   in Loop: Header=BB4_3183 Depth=3
	v_bfrev_b32_e32 v2, 1
	s_mov_b32 s42, exec_lo
	v_cmpx_ne_u16_e32 0x80, v4
	s_cbranch_execz .LBB4_3562
; %bb.3555:                             ;   in Loop: Header=BB4_3183 Depth=3
	v_and_b32_e32 v17, 0xffff, v4
	s_delay_alu instid0(VALU_DEP_1) | instskip(SKIP_1) | instid1(VALU_DEP_2)
	v_and_b32_e32 v2, 0x7c, v17
	v_and_b32_e32 v5, 3, v17
	v_cmp_ne_u32_e32 vcc_lo, 0x7c, v2
                                        ; implicit-def: $vgpr2
	s_and_saveexec_b32 s43, vcc_lo
	s_delay_alu instid0(SALU_CYCLE_1)
	s_xor_b32 s43, exec_lo, s43
	s_cbranch_execz .LBB4_3559
; %bb.3556:                             ;   in Loop: Header=BB4_3183 Depth=3
	v_bfe_u32 v2, v17, 2, 5
	s_mov_b32 s72, exec_lo
	s_delay_alu instid0(VALU_DEP_1)
	v_cmpx_eq_u32_e32 0, v2
	s_cbranch_execz .LBB4_3558
; %bb.3557:                             ;   in Loop: Header=BB4_3183 Depth=3
	v_clz_i32_u32_e32 v2, v5
	s_delay_alu instid0(VALU_DEP_1) | instskip(SKIP_1) | instid1(VALU_DEP_2)
	v_min_u32_e32 v2, 32, v2
	v_mov_b32_e32 v5, v3
	v_subrev_nc_u32_e32 v17, 29, v2
	v_sub_nc_u32_e32 v2, 30, v2
	s_delay_alu instid0(VALU_DEP_2) | instskip(NEXT) | instid1(VALU_DEP_1)
	v_lshlrev_b64_e32 v[4:5], v17, v[4:5]
	v_and_b32_e32 v5, 3, v4
.LBB4_3558:                             ;   in Loop: Header=BB4_3183 Depth=3
	s_or_b32 exec_lo, exec_lo, s72
	v_lshlrev_b32_e32 v4, 16, v18
	s_delay_alu instid0(VALU_DEP_1) | instskip(NEXT) | instid1(VALU_DEP_1)
	v_and_b32_e32 v4, 0x80000000, v4
	v_lshl_add_u32 v2, v2, 23, v4
	s_delay_alu instid0(VALU_DEP_1) | instskip(NEXT) | instid1(VALU_DEP_1)
	v_lshl_or_b32 v2, v5, 21, v2
                                        ; implicit-def: $vgpr5
	v_add_nc_u32_e32 v2, 0x38000000, v2
.LBB4_3559:                             ;   in Loop: Header=BB4_3183 Depth=3
	s_and_not1_saveexec_b32 s43, s43
; %bb.3560:                             ;   in Loop: Header=BB4_3183 Depth=3
	v_cmp_lt_i16_e32 vcc_lo, -1, v18
	v_cndmask_b32_e32 v2, 0xff800000, v112, vcc_lo
	v_cmp_eq_u32_e32 vcc_lo, 0, v5
	s_delay_alu instid0(VALU_DEP_2)
	v_cndmask_b32_e32 v2, 0x7f800001, v2, vcc_lo
; %bb.3561:                             ;   in Loop: Header=BB4_3183 Depth=3
	s_or_b32 exec_lo, exec_lo, s43
.LBB4_3562:                             ;   in Loop: Header=BB4_3183 Depth=3
	s_delay_alu instid0(SALU_CYCLE_1)
	s_or_b32 exec_lo, exec_lo, s42
.LBB4_3563:                             ;   in Loop: Header=BB4_3183 Depth=3
	s_delay_alu instid0(SALU_CYCLE_1) | instskip(NEXT) | instid1(VALU_DEP_1)
	s_or_b32 exec_lo, exec_lo, s13
	v_dual_mul_f32 v4, v16, v2 :: v_dual_mov_b32 v17, v3
                                        ; implicit-def: $vgpr25
	s_mov_b32 s13, exec_lo
	s_delay_alu instid0(VALU_DEP_1) | instskip(SKIP_2) | instid1(VALU_DEP_3)
	v_and_b32_e32 v16, 0x7f800000, v4
	v_and_b32_e32 v2, 0x7fffff, v4
	v_lshrrev_b32_e32 v5, 24, v4
	v_cmpx_ne_u64_e32 0x7f800000, v[16:17]
	s_xor_b32 s42, exec_lo, s13
	s_cbranch_execz .LBB4_3577
; %bb.3564:                             ;   in Loop: Header=BB4_3183 Depth=3
	v_and_b32_e32 v16, 0x7fffffff, v4
	v_mov_b32_e32 v17, v3
	v_and_b32_e32 v84, 0x80, v5
                                        ; implicit-def: $vgpr25
	s_mov_b32 s13, exec_lo
	s_delay_alu instid0(VALU_DEP_2)
	v_cmpx_gt_u64_e32 0x47600001, v[16:17]
	s_xor_b32 s43, exec_lo, s13
	s_cbranch_execz .LBB4_3574
; %bb.3565:                             ;   in Loop: Header=BB4_3183 Depth=3
	v_mov_b32_e32 v25, 0
	s_mov_b32 s72, exec_lo
	v_cmpx_ne_u32_e32 0, v4
	s_cbranch_execz .LBB4_3573
; %bb.3566:                             ;   in Loop: Header=BB4_3183 Depth=3
	v_bfe_u32 v25, v4, 23, 8
	v_or_b32_e32 v16, 0x800000, v2
	s_mov_b32 s73, exec_lo
	s_delay_alu instid0(VALU_DEP_2) | instskip(SKIP_1) | instid1(VALU_DEP_2)
	v_dual_mov_b32 v17, v3 :: v_dual_sub_nc_u32 v4, 0x71, v25
	v_cmp_gt_u32_e32 vcc_lo, 0x72, v25
	v_cndmask_b32_e32 v4, 0, v4, vcc_lo
	v_cmp_eq_u32_e32 vcc_lo, 0, v25
	s_delay_alu instid0(VALU_DEP_2) | instskip(NEXT) | instid1(VALU_DEP_1)
	v_cndmask_b32_e64 v85, v4, 0x70, vcc_lo
	v_dual_cndmask_b32 v16, v16, v2, vcc_lo :: v_dual_add_nc_u32 v4, 21, v85
	v_add_nc_u32_e32 v100, 20, v85
	s_delay_alu instid0(VALU_DEP_2) | instskip(NEXT) | instid1(VALU_DEP_2)
	v_lshlrev_b64_e64 v[4:5], v4, -1
	v_lshlrev_b64_e64 v[100:101], v100, 1
	s_delay_alu instid0(VALU_DEP_2) | instskip(NEXT) | instid1(VALU_DEP_3)
	v_bfi_b32 v103, v5, 0, 0
	v_bfi_b32 v102, v4, 0, v16
	v_lshrrev_b64 v[4:5], v85, v[16:17]
	s_delay_alu instid0(VALU_DEP_1) | instskip(NEXT) | instid1(VALU_DEP_3)
	v_mov_b64_e32 v[16:17], v[4:5]
	v_cmpx_eq_u64_e64 v[102:103], v[100:101]
; %bb.3567:                             ;   in Loop: Header=BB4_3183 Depth=3
	v_bfe_u32 v16, v4, 21, 1
	v_mov_b32_e32 v17, v3
	s_delay_alu instid0(VALU_DEP_1) | instskip(NEXT) | instid1(VALU_DEP_1)
	v_add_nc_u64_e32 v[16:17], v[4:5], v[16:17]
	v_add_nc_u64_e32 v[16:17], -1, v[16:17]
; %bb.3568:                             ;   in Loop: Header=BB4_3183 Depth=3
	s_or_b32 exec_lo, exec_lo, s73
	v_add_nc_u32_e32 v2, 0xffffff81, v25
	v_lshrrev_b32_e32 v5, 23, v4
	s_mov_b32 s13, exec_lo
	s_delay_alu instid0(VALU_DEP_2) | instskip(NEXT) | instid1(VALU_DEP_1)
	v_cndmask_b32_e64 v2, v2, 0xffffff82, vcc_lo
	v_add3_u32 v17, v85, v2, v5
	v_and_b32_e32 v2, 0x1fffff, v16
                                        ; implicit-def: $vgpr16
	s_delay_alu instid0(VALU_DEP_1) | instskip(NEXT) | instid1(VALU_DEP_1)
	v_dual_add_nc_u32 v25, 14, v17 :: v_dual_add_nc_u32 v2, v2, v4
                                        ; implicit-def: $vgpr4_vgpr5
	v_cmpx_ne_u32_e32 0, v25
	s_xor_b32 s13, exec_lo, s13
; %bb.3569:                             ;   in Loop: Header=BB4_3183 Depth=3
	s_delay_alu instid0(VALU_DEP_2) | instskip(SKIP_1) | instid1(VALU_DEP_1)
	v_cmp_lt_u64_e32 vcc_lo, 0xffffff, v[2:3]
	v_add_nc_u32_e32 v4, 15, v17
	v_cndmask_b32_e32 v16, v25, v4, vcc_lo
	v_cndmask_b32_e64 v4, 0, 1, vcc_lo
	s_delay_alu instid0(VALU_DEP_1)
	v_lshrrev_b64 v[4:5], v4, v[2:3]
; %bb.3570:                             ;   in Loop: Header=BB4_3183 Depth=3
	s_and_not1_saveexec_b32 s13, s13
; %bb.3571:                             ;   in Loop: Header=BB4_3183 Depth=3
	v_mov_b64_e32 v[4:5], v[2:3]
	v_bfe_u32 v16, v2, 23, 1
; %bb.3572:                             ;   in Loop: Header=BB4_3183 Depth=3
	s_or_b32 exec_lo, exec_lo, s13
	s_delay_alu instid0(VALU_DEP_2) | instskip(NEXT) | instid1(VALU_DEP_2)
	v_lshrrev_b64 v[4:5], 21, v[4:5]
	v_cmp_gt_i32_e32 vcc_lo, 32, v16
	v_min_i32_e32 v2, 31, v16
	v_cmp_eq_u32_e64 s13, 0, v16
	s_delay_alu instid0(VALU_DEP_2) | instskip(SKIP_1) | instid1(VALU_DEP_2)
	v_dual_cndmask_b32 v5, 0, v5 :: v_dual_lshlrev_b32 v2, 2, v2
	v_cndmask_b32_e32 v4, 3, v4, vcc_lo
	v_and_b32_e32 v2, 0xfc, v2
	s_delay_alu instid0(VALU_DEP_2) | instskip(NEXT) | instid1(VALU_DEP_2)
	v_cmp_eq_u64_e32 vcc_lo, 0, v[4:5]
	v_and_or_b32 v2, v4, 3, v2
	s_and_b32 s13, s13, vcc_lo
	s_delay_alu instid0(VALU_DEP_1) | instid1(SALU_CYCLE_1)
	v_cndmask_b32_e64 v2, v2, 0, s13
	s_delay_alu instid0(VALU_DEP_1)
	v_or_b32_e32 v25, v2, v84
.LBB4_3573:                             ;   in Loop: Header=BB4_3183 Depth=3
	s_or_b32 exec_lo, exec_lo, s72
                                        ; implicit-def: $vgpr84
.LBB4_3574:                             ;   in Loop: Header=BB4_3183 Depth=3
	s_and_not1_saveexec_b32 s13, s43
; %bb.3575:                             ;   in Loop: Header=BB4_3183 Depth=3
	v_or_b32_e32 v25, 0x7b, v84
; %bb.3576:                             ;   in Loop: Header=BB4_3183 Depth=3
	s_or_b32 exec_lo, exec_lo, s13
                                        ; implicit-def: $vgpr4
                                        ; implicit-def: $vgpr5
.LBB4_3577:                             ;   in Loop: Header=BB4_3183 Depth=3
	s_and_not1_saveexec_b32 s13, s42
	s_cbranch_execz .LBB4_3583
; %bb.3578:                             ;   in Loop: Header=BB4_3183 Depth=3
	s_mov_b32 s42, exec_lo
                                        ; implicit-def: $vgpr25
	v_cmpx_ne_u64_e32 0, v[2:3]
	s_xor_b32 s42, exec_lo, s42
; %bb.3579:                             ;   in Loop: Header=BB4_3183 Depth=3
	v_or_b32_e32 v25, 0x7f, v5
                                        ; implicit-def: $vgpr4
; %bb.3580:                             ;   in Loop: Header=BB4_3183 Depth=3
	s_and_not1_saveexec_b32 s42, s42
; %bb.3581:                             ;   in Loop: Header=BB4_3183 Depth=3
	v_cmp_lt_i32_e32 vcc_lo, -1, v4
	v_cndmask_b32_e32 v25, 0xfc, v113, vcc_lo
; %bb.3582:                             ;   in Loop: Header=BB4_3183 Depth=3
	s_or_b32 exec_lo, exec_lo, s42
.LBB4_3583:                             ;   in Loop: Header=BB4_3183 Depth=3
	s_delay_alu instid0(SALU_CYCLE_1) | instskip(SKIP_3) | instid1(VALU_DEP_2)
	s_or_b32 exec_lo, exec_lo, s13
	v_dual_lshrrev_b32 v2, 16, v22 :: v_dual_mov_b32 v4, 0
	v_mov_b32_e32 v5, 0
	s_mov_b32 s13, exec_lo
	v_and_b32_e32 v16, 0xff, v2
	s_delay_alu instid0(VALU_DEP_1)
	v_cmpx_ne_u16_e32 0, v16
	s_cbranch_execz .LBB4_3593
; %bb.3584:                             ;   in Loop: Header=BB4_3183 Depth=3
	v_bfrev_b32_e32 v5, 1
	s_mov_b32 s42, exec_lo
	v_cmpx_ne_u16_e32 0x80, v16
	s_cbranch_execz .LBB4_3592
; %bb.3585:                             ;   in Loop: Header=BB4_3183 Depth=3
	v_and_b32_e32 v5, 0x7c0000, v22
	v_bfe_u32 v16, v22, 16, 2
	s_delay_alu instid0(VALU_DEP_2) | instskip(SKIP_1) | instid1(SALU_CYCLE_1)
	v_cmp_ne_u32_e32 vcc_lo, 0x7c0000, v5
                                        ; implicit-def: $vgpr5
	s_and_saveexec_b32 s43, vcc_lo
	s_xor_b32 s43, exec_lo, s43
	s_cbranch_execz .LBB4_3589
; %bb.3586:                             ;   in Loop: Header=BB4_3183 Depth=3
	v_bfe_u32 v5, v22, 18, 5
	s_mov_b32 s72, exec_lo
	s_delay_alu instid0(VALU_DEP_1)
	v_cmpx_eq_u32_e32 0, v5
; %bb.3587:                             ;   in Loop: Header=BB4_3183 Depth=3
	v_clz_i32_u32_e32 v5, v16
	s_delay_alu instid0(VALU_DEP_1) | instskip(NEXT) | instid1(VALU_DEP_1)
	v_min_u32_e32 v5, 32, v5
	v_subrev_nc_u32_e32 v16, 29, v5
	s_delay_alu instid0(VALU_DEP_1) | instskip(NEXT) | instid1(VALU_DEP_1)
	v_lshlrev_b64_e32 v[16:17], v16, v[2:3]
	v_dual_sub_nc_u32 v5, 30, v5 :: v_dual_bitop2_b32 v16, 3, v16 bitop3:0x40
; %bb.3588:                             ;   in Loop: Header=BB4_3183 Depth=3
	s_or_b32 exec_lo, exec_lo, s72
	v_lshlrev_b32_e32 v2, 24, v2
	s_delay_alu instid0(VALU_DEP_1) | instskip(NEXT) | instid1(VALU_DEP_1)
	v_and_b32_e32 v2, 0x80000000, v2
	v_lshl_add_u32 v2, v5, 23, v2
	s_delay_alu instid0(VALU_DEP_1) | instskip(NEXT) | instid1(VALU_DEP_1)
	v_lshl_or_b32 v2, v16, 21, v2
                                        ; implicit-def: $vgpr16
	v_add_nc_u32_e32 v5, 0x38000000, v2
                                        ; implicit-def: $vgpr2
.LBB4_3589:                             ;   in Loop: Header=BB4_3183 Depth=3
	s_and_not1_saveexec_b32 s43, s43
; %bb.3590:                             ;   in Loop: Header=BB4_3183 Depth=3
	v_bfe_i32 v2, v2, 0, 8
	s_delay_alu instid0(VALU_DEP_1) | instskip(SKIP_2) | instid1(VALU_DEP_2)
	v_cmp_lt_i16_e32 vcc_lo, -1, v2
	v_cndmask_b32_e32 v2, 0xff800000, v112, vcc_lo
	v_cmp_eq_u32_e32 vcc_lo, 0, v16
	v_cndmask_b32_e32 v5, 0x7f800001, v2, vcc_lo
; %bb.3591:                             ;   in Loop: Header=BB4_3183 Depth=3
	s_or_b32 exec_lo, exec_lo, s43
.LBB4_3592:                             ;   in Loop: Header=BB4_3183 Depth=3
	s_delay_alu instid0(SALU_CYCLE_1)
	s_or_b32 exec_lo, exec_lo, s42
.LBB4_3593:                             ;   in Loop: Header=BB4_3183 Depth=3
	s_delay_alu instid0(SALU_CYCLE_1) | instskip(SKIP_2) | instid1(VALU_DEP_1)
	s_or_b32 exec_lo, exec_lo, s13
	v_lshrrev_b32_e32 v2, 16, v18
	s_mov_b32 s13, exec_lo
	v_and_b32_e32 v16, 0xff, v2
	s_delay_alu instid0(VALU_DEP_1)
	v_cmpx_ne_u16_e32 0, v16
	s_cbranch_execz .LBB4_3603
; %bb.3594:                             ;   in Loop: Header=BB4_3183 Depth=3
	v_bfrev_b32_e32 v4, 1
	s_mov_b32 s42, exec_lo
	v_cmpx_ne_u16_e32 0x80, v16
	s_cbranch_execz .LBB4_3602
; %bb.3595:                             ;   in Loop: Header=BB4_3183 Depth=3
	v_and_b32_e32 v4, 0x7c0000, v18
	v_bfe_u32 v16, v18, 16, 2
	s_delay_alu instid0(VALU_DEP_2) | instskip(SKIP_1) | instid1(SALU_CYCLE_1)
	v_cmp_ne_u32_e32 vcc_lo, 0x7c0000, v4
                                        ; implicit-def: $vgpr4
	s_and_saveexec_b32 s43, vcc_lo
	s_xor_b32 s43, exec_lo, s43
	s_cbranch_execz .LBB4_3599
; %bb.3596:                             ;   in Loop: Header=BB4_3183 Depth=3
	v_bfe_u32 v4, v18, 18, 5
	s_mov_b32 s72, exec_lo
	s_delay_alu instid0(VALU_DEP_1)
	v_cmpx_eq_u32_e32 0, v4
; %bb.3597:                             ;   in Loop: Header=BB4_3183 Depth=3
	v_clz_i32_u32_e32 v4, v16
	s_delay_alu instid0(VALU_DEP_1) | instskip(NEXT) | instid1(VALU_DEP_1)
	v_min_u32_e32 v4, 32, v4
	v_subrev_nc_u32_e32 v16, 29, v4
	v_sub_nc_u32_e32 v4, 30, v4
	s_delay_alu instid0(VALU_DEP_2) | instskip(NEXT) | instid1(VALU_DEP_1)
	v_lshlrev_b64_e32 v[16:17], v16, v[2:3]
	v_and_b32_e32 v16, 3, v16
; %bb.3598:                             ;   in Loop: Header=BB4_3183 Depth=3
	s_or_b32 exec_lo, exec_lo, s72
	v_lshlrev_b32_e32 v2, 24, v2
	s_delay_alu instid0(VALU_DEP_1) | instskip(NEXT) | instid1(VALU_DEP_1)
	v_and_b32_e32 v2, 0x80000000, v2
	v_lshl_add_u32 v2, v4, 23, v2
	s_delay_alu instid0(VALU_DEP_1) | instskip(NEXT) | instid1(VALU_DEP_1)
	v_lshl_or_b32 v2, v16, 21, v2
                                        ; implicit-def: $vgpr16
	v_add_nc_u32_e32 v4, 0x38000000, v2
                                        ; implicit-def: $vgpr2
.LBB4_3599:                             ;   in Loop: Header=BB4_3183 Depth=3
	s_and_not1_saveexec_b32 s43, s43
; %bb.3600:                             ;   in Loop: Header=BB4_3183 Depth=3
	v_bfe_i32 v2, v2, 0, 8
	s_delay_alu instid0(VALU_DEP_1) | instskip(SKIP_2) | instid1(VALU_DEP_2)
	v_cmp_lt_i16_e32 vcc_lo, -1, v2
	v_cndmask_b32_e32 v2, 0xff800000, v112, vcc_lo
	v_cmp_eq_u32_e32 vcc_lo, 0, v16
	v_cndmask_b32_e32 v4, 0x7f800001, v2, vcc_lo
; %bb.3601:                             ;   in Loop: Header=BB4_3183 Depth=3
	s_or_b32 exec_lo, exec_lo, s43
.LBB4_3602:                             ;   in Loop: Header=BB4_3183 Depth=3
	s_delay_alu instid0(SALU_CYCLE_1)
	s_or_b32 exec_lo, exec_lo, s42
.LBB4_3603:                             ;   in Loop: Header=BB4_3183 Depth=3
	s_delay_alu instid0(SALU_CYCLE_1) | instskip(NEXT) | instid1(VALU_DEP_1)
	s_or_b32 exec_lo, exec_lo, s13
	v_dual_mul_f32 v4, v5, v4 :: v_dual_mov_b32 v17, v3
                                        ; implicit-def: $vgpr84
	s_mov_b32 s13, exec_lo
	s_delay_alu instid0(VALU_DEP_1) | instskip(SKIP_2) | instid1(VALU_DEP_3)
	v_and_b32_e32 v16, 0x7f800000, v4
	v_and_b32_e32 v2, 0x7fffff, v4
	v_lshrrev_b32_e32 v5, 24, v4
	v_cmpx_ne_u64_e32 0x7f800000, v[16:17]
	s_xor_b32 s42, exec_lo, s13
	s_cbranch_execz .LBB4_3617
; %bb.3604:                             ;   in Loop: Header=BB4_3183 Depth=3
	v_and_b32_e32 v16, 0x7fffffff, v4
	v_mov_b32_e32 v17, v3
	v_and_b32_e32 v85, 0x80, v5
                                        ; implicit-def: $vgpr84
	s_mov_b32 s13, exec_lo
	s_delay_alu instid0(VALU_DEP_2)
	v_cmpx_gt_u64_e32 0x47600001, v[16:17]
	s_xor_b32 s43, exec_lo, s13
	s_cbranch_execz .LBB4_3614
; %bb.3605:                             ;   in Loop: Header=BB4_3183 Depth=3
	v_mov_b32_e32 v84, 0
	s_mov_b32 s72, exec_lo
	v_cmpx_ne_u32_e32 0, v4
	s_cbranch_execz .LBB4_3613
; %bb.3606:                             ;   in Loop: Header=BB4_3183 Depth=3
	v_bfe_u32 v84, v4, 23, 8
	v_or_b32_e32 v16, 0x800000, v2
	s_mov_b32 s73, exec_lo
	s_delay_alu instid0(VALU_DEP_2) | instskip(SKIP_1) | instid1(VALU_DEP_2)
	v_dual_mov_b32 v17, v3 :: v_dual_sub_nc_u32 v4, 0x71, v84
	v_cmp_gt_u32_e32 vcc_lo, 0x72, v84
	v_cndmask_b32_e32 v4, 0, v4, vcc_lo
	v_cmp_eq_u32_e32 vcc_lo, 0, v84
	v_cndmask_b32_e32 v16, v16, v2, vcc_lo
	s_delay_alu instid0(VALU_DEP_3) | instskip(NEXT) | instid1(VALU_DEP_1)
	v_cndmask_b32_e64 v100, v4, 0x70, vcc_lo
	v_dual_add_nc_u32 v4, 21, v100 :: v_dual_add_nc_u32 v101, 20, v100
	s_delay_alu instid0(VALU_DEP_1) | instskip(NEXT) | instid1(VALU_DEP_2)
	v_lshlrev_b64_e64 v[4:5], v4, -1
	v_lshlrev_b64_e64 v[102:103], v101, 1
	s_delay_alu instid0(VALU_DEP_2) | instskip(NEXT) | instid1(VALU_DEP_3)
	v_bfi_b32 v117, v5, 0, 0
	v_bfi_b32 v116, v4, 0, v16
	v_lshrrev_b64 v[4:5], v100, v[16:17]
	s_delay_alu instid0(VALU_DEP_1) | instskip(NEXT) | instid1(VALU_DEP_3)
	v_mov_b64_e32 v[16:17], v[4:5]
	v_cmpx_eq_u64_e64 v[116:117], v[102:103]
; %bb.3607:                             ;   in Loop: Header=BB4_3183 Depth=3
	v_bfe_u32 v16, v4, 21, 1
	v_mov_b32_e32 v17, v3
	s_delay_alu instid0(VALU_DEP_1) | instskip(NEXT) | instid1(VALU_DEP_1)
	v_add_nc_u64_e32 v[16:17], v[4:5], v[16:17]
	v_add_nc_u64_e32 v[16:17], -1, v[16:17]
; %bb.3608:                             ;   in Loop: Header=BB4_3183 Depth=3
	s_or_b32 exec_lo, exec_lo, s73
	v_add_nc_u32_e32 v2, 0xffffff81, v84
	v_lshrrev_b32_e32 v5, 23, v4
	s_mov_b32 s13, exec_lo
	s_delay_alu instid0(VALU_DEP_2) | instskip(NEXT) | instid1(VALU_DEP_1)
	v_cndmask_b32_e64 v2, v2, 0xffffff82, vcc_lo
	v_add3_u32 v17, v100, v2, v5
	v_and_b32_e32 v2, 0x1fffff, v16
                                        ; implicit-def: $vgpr16
	s_delay_alu instid0(VALU_DEP_1) | instskip(NEXT) | instid1(VALU_DEP_1)
	v_dual_add_nc_u32 v84, 14, v17 :: v_dual_add_nc_u32 v2, v2, v4
                                        ; implicit-def: $vgpr4_vgpr5
	v_cmpx_ne_u32_e32 0, v84
	s_xor_b32 s13, exec_lo, s13
; %bb.3609:                             ;   in Loop: Header=BB4_3183 Depth=3
	s_delay_alu instid0(VALU_DEP_2) | instskip(SKIP_1) | instid1(VALU_DEP_1)
	v_cmp_lt_u64_e32 vcc_lo, 0xffffff, v[2:3]
	v_add_nc_u32_e32 v4, 15, v17
	v_cndmask_b32_e32 v16, v84, v4, vcc_lo
	v_cndmask_b32_e64 v4, 0, 1, vcc_lo
	s_delay_alu instid0(VALU_DEP_1)
	v_lshrrev_b64 v[4:5], v4, v[2:3]
; %bb.3610:                             ;   in Loop: Header=BB4_3183 Depth=3
	s_and_not1_saveexec_b32 s13, s13
; %bb.3611:                             ;   in Loop: Header=BB4_3183 Depth=3
	v_mov_b64_e32 v[4:5], v[2:3]
	v_bfe_u32 v16, v2, 23, 1
; %bb.3612:                             ;   in Loop: Header=BB4_3183 Depth=3
	s_or_b32 exec_lo, exec_lo, s13
	s_delay_alu instid0(VALU_DEP_2) | instskip(NEXT) | instid1(VALU_DEP_2)
	v_lshrrev_b64 v[4:5], 21, v[4:5]
	v_cmp_gt_i32_e32 vcc_lo, 32, v16
	v_min_i32_e32 v2, 31, v16
	v_cmp_eq_u32_e64 s13, 0, v16
	s_delay_alu instid0(VALU_DEP_2) | instskip(SKIP_1) | instid1(VALU_DEP_2)
	v_dual_cndmask_b32 v5, 0, v5 :: v_dual_lshlrev_b32 v2, 2, v2
	v_cndmask_b32_e32 v4, 3, v4, vcc_lo
	v_and_b32_e32 v2, 0xfc, v2
	s_delay_alu instid0(VALU_DEP_2) | instskip(NEXT) | instid1(VALU_DEP_2)
	v_cmp_eq_u64_e32 vcc_lo, 0, v[4:5]
	v_and_or_b32 v2, v4, 3, v2
	s_and_b32 s13, s13, vcc_lo
	s_delay_alu instid0(VALU_DEP_1) | instid1(SALU_CYCLE_1)
	v_cndmask_b32_e64 v2, v2, 0, s13
	s_delay_alu instid0(VALU_DEP_1)
	v_or_b32_e32 v84, v2, v85
.LBB4_3613:                             ;   in Loop: Header=BB4_3183 Depth=3
	s_or_b32 exec_lo, exec_lo, s72
                                        ; implicit-def: $vgpr85
.LBB4_3614:                             ;   in Loop: Header=BB4_3183 Depth=3
	s_and_not1_saveexec_b32 s13, s43
; %bb.3615:                             ;   in Loop: Header=BB4_3183 Depth=3
	v_or_b32_e32 v84, 0x7b, v85
; %bb.3616:                             ;   in Loop: Header=BB4_3183 Depth=3
	s_or_b32 exec_lo, exec_lo, s13
                                        ; implicit-def: $vgpr4
                                        ; implicit-def: $vgpr5
.LBB4_3617:                             ;   in Loop: Header=BB4_3183 Depth=3
	s_and_not1_saveexec_b32 s13, s42
	s_cbranch_execz .LBB4_3623
; %bb.3618:                             ;   in Loop: Header=BB4_3183 Depth=3
	s_mov_b32 s42, exec_lo
                                        ; implicit-def: $vgpr84
	v_cmpx_ne_u64_e32 0, v[2:3]
	s_xor_b32 s42, exec_lo, s42
; %bb.3619:                             ;   in Loop: Header=BB4_3183 Depth=3
	v_or_b32_e32 v84, 0x7f, v5
                                        ; implicit-def: $vgpr4
; %bb.3620:                             ;   in Loop: Header=BB4_3183 Depth=3
	s_and_not1_saveexec_b32 s42, s42
; %bb.3621:                             ;   in Loop: Header=BB4_3183 Depth=3
	v_cmp_lt_i32_e32 vcc_lo, -1, v4
	v_cndmask_b32_e32 v84, 0xfc, v113, vcc_lo
; %bb.3622:                             ;   in Loop: Header=BB4_3183 Depth=3
	s_or_b32 exec_lo, exec_lo, s42
.LBB4_3623:                             ;   in Loop: Header=BB4_3183 Depth=3
	s_delay_alu instid0(SALU_CYCLE_1)
	s_or_b32 exec_lo, exec_lo, s13
	v_dual_mov_b32 v4, 0 :: v_dual_mov_b32 v5, 0
	s_mov_b32 s13, exec_lo
	v_cmpx_lt_u32_e32 0xffffff, v22
	s_cbranch_execz .LBB4_3633
; %bb.3624:                             ;   in Loop: Header=BB4_3183 Depth=3
	v_lshrrev_b32_e32 v2, 24, v22
	v_bfrev_b32_e32 v5, 1
	s_mov_b32 s42, exec_lo
	s_delay_alu instid0(VALU_DEP_2)
	v_cmpx_ne_u32_e32 0x80, v2
	s_cbranch_execz .LBB4_3632
; %bb.3625:                             ;   in Loop: Header=BB4_3183 Depth=3
	v_and_b32_e32 v5, 0x7c000000, v22
	v_bfe_u32 v16, v22, 24, 2
	s_delay_alu instid0(VALU_DEP_2) | instskip(SKIP_1) | instid1(SALU_CYCLE_1)
	v_cmp_ne_u32_e32 vcc_lo, 0x7c000000, v5
                                        ; implicit-def: $vgpr5
	s_and_saveexec_b32 s43, vcc_lo
	s_xor_b32 s43, exec_lo, s43
	s_cbranch_execz .LBB4_3629
; %bb.3626:                             ;   in Loop: Header=BB4_3183 Depth=3
	v_bfe_u32 v5, v22, 26, 5
	s_mov_b32 s72, exec_lo
	s_delay_alu instid0(VALU_DEP_1)
	v_cmpx_eq_u32_e32 0, v5
; %bb.3627:                             ;   in Loop: Header=BB4_3183 Depth=3
	v_clz_i32_u32_e32 v5, v16
	s_delay_alu instid0(VALU_DEP_1) | instskip(NEXT) | instid1(VALU_DEP_1)
	v_min_u32_e32 v5, 32, v5
	v_subrev_nc_u32_e32 v16, 29, v5
	s_delay_alu instid0(VALU_DEP_1) | instskip(NEXT) | instid1(VALU_DEP_1)
	v_lshlrev_b64_e32 v[16:17], v16, v[2:3]
	v_dual_sub_nc_u32 v5, 30, v5 :: v_dual_bitop2_b32 v16, 3, v16 bitop3:0x40
; %bb.3628:                             ;   in Loop: Header=BB4_3183 Depth=3
	s_or_b32 exec_lo, exec_lo, s72
	v_and_b32_e32 v2, 0x80000000, v22
	s_delay_alu instid0(VALU_DEP_1) | instskip(NEXT) | instid1(VALU_DEP_1)
	v_lshl_add_u32 v2, v5, 23, v2
	v_lshl_or_b32 v2, v16, 21, v2
                                        ; implicit-def: $vgpr16
	s_delay_alu instid0(VALU_DEP_1)
	v_add_nc_u32_e32 v5, 0x38000000, v2
.LBB4_3629:                             ;   in Loop: Header=BB4_3183 Depth=3
	s_and_not1_saveexec_b32 s43, s43
; %bb.3630:                             ;   in Loop: Header=BB4_3183 Depth=3
	v_cmp_lt_i32_e32 vcc_lo, -1, v22
	v_cndmask_b32_e32 v2, 0xff800000, v112, vcc_lo
	v_cmp_eq_u32_e32 vcc_lo, 0, v16
	s_delay_alu instid0(VALU_DEP_2)
	v_cndmask_b32_e32 v5, 0x7f800001, v2, vcc_lo
; %bb.3631:                             ;   in Loop: Header=BB4_3183 Depth=3
	s_or_b32 exec_lo, exec_lo, s43
.LBB4_3632:                             ;   in Loop: Header=BB4_3183 Depth=3
	s_delay_alu instid0(SALU_CYCLE_1)
	s_or_b32 exec_lo, exec_lo, s42
.LBB4_3633:                             ;   in Loop: Header=BB4_3183 Depth=3
	s_delay_alu instid0(SALU_CYCLE_1) | instskip(NEXT) | instid1(SALU_CYCLE_1)
	s_or_b32 exec_lo, exec_lo, s13
	s_mov_b32 s13, exec_lo
	v_cmpx_lt_u32_e32 0xffffff, v18
	s_cbranch_execz .LBB4_3643
; %bb.3634:                             ;   in Loop: Header=BB4_3183 Depth=3
	v_lshrrev_b32_e32 v2, 24, v18
	v_bfrev_b32_e32 v4, 1
	s_mov_b32 s42, exec_lo
	s_delay_alu instid0(VALU_DEP_2)
	v_cmpx_ne_u32_e32 0x80, v2
	s_cbranch_execz .LBB4_3642
; %bb.3635:                             ;   in Loop: Header=BB4_3183 Depth=3
	v_and_b32_e32 v4, 0x7c000000, v18
	v_bfe_u32 v16, v18, 24, 2
	s_delay_alu instid0(VALU_DEP_2) | instskip(SKIP_1) | instid1(SALU_CYCLE_1)
	v_cmp_ne_u32_e32 vcc_lo, 0x7c000000, v4
                                        ; implicit-def: $vgpr4
	s_and_saveexec_b32 s43, vcc_lo
	s_xor_b32 s43, exec_lo, s43
	s_cbranch_execz .LBB4_3639
; %bb.3636:                             ;   in Loop: Header=BB4_3183 Depth=3
	v_bfe_u32 v4, v18, 26, 5
	s_mov_b32 s72, exec_lo
	s_delay_alu instid0(VALU_DEP_1)
	v_cmpx_eq_u32_e32 0, v4
; %bb.3637:                             ;   in Loop: Header=BB4_3183 Depth=3
	v_clz_i32_u32_e32 v4, v16
	s_delay_alu instid0(VALU_DEP_1) | instskip(NEXT) | instid1(VALU_DEP_1)
	v_min_u32_e32 v4, 32, v4
	v_subrev_nc_u32_e32 v16, 29, v4
	v_sub_nc_u32_e32 v4, 30, v4
	s_delay_alu instid0(VALU_DEP_2) | instskip(NEXT) | instid1(VALU_DEP_1)
	v_lshlrev_b64_e32 v[16:17], v16, v[2:3]
	v_and_b32_e32 v16, 3, v16
; %bb.3638:                             ;   in Loop: Header=BB4_3183 Depth=3
	s_or_b32 exec_lo, exec_lo, s72
	v_and_b32_e32 v2, 0x80000000, v18
	s_delay_alu instid0(VALU_DEP_1) | instskip(NEXT) | instid1(VALU_DEP_1)
	v_lshl_add_u32 v2, v4, 23, v2
	v_lshl_or_b32 v2, v16, 21, v2
                                        ; implicit-def: $vgpr16
	s_delay_alu instid0(VALU_DEP_1)
	v_add_nc_u32_e32 v4, 0x38000000, v2
.LBB4_3639:                             ;   in Loop: Header=BB4_3183 Depth=3
	s_and_not1_saveexec_b32 s43, s43
; %bb.3640:                             ;   in Loop: Header=BB4_3183 Depth=3
	v_cmp_lt_i32_e32 vcc_lo, -1, v18
	v_cndmask_b32_e32 v2, 0xff800000, v112, vcc_lo
	v_cmp_eq_u32_e32 vcc_lo, 0, v16
	s_delay_alu instid0(VALU_DEP_2)
	v_cndmask_b32_e32 v4, 0x7f800001, v2, vcc_lo
; %bb.3641:                             ;   in Loop: Header=BB4_3183 Depth=3
	s_or_b32 exec_lo, exec_lo, s43
.LBB4_3642:                             ;   in Loop: Header=BB4_3183 Depth=3
	s_delay_alu instid0(SALU_CYCLE_1)
	s_or_b32 exec_lo, exec_lo, s42
.LBB4_3643:                             ;   in Loop: Header=BB4_3183 Depth=3
	s_delay_alu instid0(SALU_CYCLE_1) | instskip(NEXT) | instid1(VALU_DEP_1)
	s_or_b32 exec_lo, exec_lo, s13
	v_dual_mul_f32 v4, v5, v4 :: v_dual_mov_b32 v17, v3
                                        ; implicit-def: $vgpr85
	s_mov_b32 s13, exec_lo
	s_delay_alu instid0(VALU_DEP_1) | instskip(SKIP_2) | instid1(VALU_DEP_3)
	v_and_b32_e32 v16, 0x7f800000, v4
	v_and_b32_e32 v2, 0x7fffff, v4
	v_lshrrev_b32_e32 v5, 24, v4
	v_cmpx_ne_u64_e32 0x7f800000, v[16:17]
	s_xor_b32 s42, exec_lo, s13
	s_cbranch_execz .LBB4_3657
; %bb.3644:                             ;   in Loop: Header=BB4_3183 Depth=3
	v_and_b32_e32 v16, 0x7fffffff, v4
	v_mov_b32_e32 v17, v3
	v_and_b32_e32 v100, 0x80, v5
                                        ; implicit-def: $vgpr85
	s_mov_b32 s13, exec_lo
	s_delay_alu instid0(VALU_DEP_2)
	v_cmpx_gt_u64_e32 0x47600001, v[16:17]
	s_xor_b32 s43, exec_lo, s13
	s_cbranch_execz .LBB4_3654
; %bb.3645:                             ;   in Loop: Header=BB4_3183 Depth=3
	v_mov_b32_e32 v85, 0
	s_mov_b32 s72, exec_lo
	v_cmpx_ne_u32_e32 0, v4
	s_cbranch_execz .LBB4_3653
; %bb.3646:                             ;   in Loop: Header=BB4_3183 Depth=3
	v_bfe_u32 v85, v4, 23, 8
	v_or_b32_e32 v16, 0x800000, v2
	s_mov_b32 s73, exec_lo
	s_delay_alu instid0(VALU_DEP_2) | instskip(SKIP_1) | instid1(VALU_DEP_2)
	v_dual_mov_b32 v17, v3 :: v_dual_sub_nc_u32 v4, 0x71, v85
	v_cmp_gt_u32_e32 vcc_lo, 0x72, v85
	v_cndmask_b32_e32 v4, 0, v4, vcc_lo
	v_cmp_eq_u32_e32 vcc_lo, 0, v85
	s_delay_alu instid0(VALU_DEP_2) | instskip(NEXT) | instid1(VALU_DEP_1)
	v_cndmask_b32_e64 v101, v4, 0x70, vcc_lo
	v_dual_cndmask_b32 v16, v16, v2, vcc_lo :: v_dual_add_nc_u32 v4, 21, v101
	v_add_nc_u32_e32 v102, 20, v101
	s_delay_alu instid0(VALU_DEP_2) | instskip(NEXT) | instid1(VALU_DEP_2)
	v_lshlrev_b64_e64 v[4:5], v4, -1
	v_lshlrev_b64_e64 v[102:103], v102, 1
	s_delay_alu instid0(VALU_DEP_2) | instskip(NEXT) | instid1(VALU_DEP_3)
	v_bfi_b32 v117, v5, 0, 0
	v_bfi_b32 v116, v4, 0, v16
	v_lshrrev_b64 v[4:5], v101, v[16:17]
	s_delay_alu instid0(VALU_DEP_1) | instskip(NEXT) | instid1(VALU_DEP_3)
	v_mov_b64_e32 v[16:17], v[4:5]
	v_cmpx_eq_u64_e64 v[116:117], v[102:103]
; %bb.3647:                             ;   in Loop: Header=BB4_3183 Depth=3
	v_bfe_u32 v16, v4, 21, 1
	v_mov_b32_e32 v17, v3
	s_delay_alu instid0(VALU_DEP_1) | instskip(NEXT) | instid1(VALU_DEP_1)
	v_add_nc_u64_e32 v[16:17], v[4:5], v[16:17]
	v_add_nc_u64_e32 v[16:17], -1, v[16:17]
; %bb.3648:                             ;   in Loop: Header=BB4_3183 Depth=3
	s_or_b32 exec_lo, exec_lo, s73
	v_add_nc_u32_e32 v2, 0xffffff81, v85
	v_lshrrev_b32_e32 v5, 23, v4
	s_mov_b32 s13, exec_lo
	s_delay_alu instid0(VALU_DEP_2) | instskip(NEXT) | instid1(VALU_DEP_1)
	v_cndmask_b32_e64 v2, v2, 0xffffff82, vcc_lo
	v_add3_u32 v17, v101, v2, v5
	v_and_b32_e32 v2, 0x1fffff, v16
                                        ; implicit-def: $vgpr16
	s_delay_alu instid0(VALU_DEP_1) | instskip(NEXT) | instid1(VALU_DEP_1)
	v_dual_add_nc_u32 v85, 14, v17 :: v_dual_add_nc_u32 v2, v2, v4
                                        ; implicit-def: $vgpr4_vgpr5
	v_cmpx_ne_u32_e32 0, v85
	s_xor_b32 s13, exec_lo, s13
; %bb.3649:                             ;   in Loop: Header=BB4_3183 Depth=3
	s_delay_alu instid0(VALU_DEP_2) | instskip(SKIP_1) | instid1(VALU_DEP_1)
	v_cmp_lt_u64_e32 vcc_lo, 0xffffff, v[2:3]
	v_add_nc_u32_e32 v4, 15, v17
	v_cndmask_b32_e32 v16, v85, v4, vcc_lo
	v_cndmask_b32_e64 v4, 0, 1, vcc_lo
	s_delay_alu instid0(VALU_DEP_1)
	v_lshrrev_b64 v[4:5], v4, v[2:3]
; %bb.3650:                             ;   in Loop: Header=BB4_3183 Depth=3
	s_and_not1_saveexec_b32 s13, s13
; %bb.3651:                             ;   in Loop: Header=BB4_3183 Depth=3
	v_mov_b64_e32 v[4:5], v[2:3]
	v_bfe_u32 v16, v2, 23, 1
; %bb.3652:                             ;   in Loop: Header=BB4_3183 Depth=3
	s_or_b32 exec_lo, exec_lo, s13
	s_delay_alu instid0(VALU_DEP_2) | instskip(NEXT) | instid1(VALU_DEP_2)
	v_lshrrev_b64 v[4:5], 21, v[4:5]
	v_cmp_gt_i32_e32 vcc_lo, 32, v16
	v_min_i32_e32 v2, 31, v16
	v_cmp_eq_u32_e64 s13, 0, v16
	s_delay_alu instid0(VALU_DEP_2) | instskip(SKIP_1) | instid1(VALU_DEP_2)
	v_dual_cndmask_b32 v5, 0, v5 :: v_dual_lshlrev_b32 v2, 2, v2
	v_cndmask_b32_e32 v4, 3, v4, vcc_lo
	v_and_b32_e32 v2, 0xfc, v2
	s_delay_alu instid0(VALU_DEP_2) | instskip(NEXT) | instid1(VALU_DEP_2)
	v_cmp_eq_u64_e32 vcc_lo, 0, v[4:5]
	v_and_or_b32 v2, v4, 3, v2
	s_and_b32 s13, s13, vcc_lo
	s_delay_alu instid0(VALU_DEP_1) | instid1(SALU_CYCLE_1)
	v_cndmask_b32_e64 v2, v2, 0, s13
	s_delay_alu instid0(VALU_DEP_1)
	v_or_b32_e32 v85, v2, v100
.LBB4_3653:                             ;   in Loop: Header=BB4_3183 Depth=3
	s_or_b32 exec_lo, exec_lo, s72
                                        ; implicit-def: $vgpr100
.LBB4_3654:                             ;   in Loop: Header=BB4_3183 Depth=3
	s_and_not1_saveexec_b32 s13, s43
; %bb.3655:                             ;   in Loop: Header=BB4_3183 Depth=3
	v_or_b32_e32 v85, 0x7b, v100
; %bb.3656:                             ;   in Loop: Header=BB4_3183 Depth=3
	s_or_b32 exec_lo, exec_lo, s13
                                        ; implicit-def: $vgpr4
                                        ; implicit-def: $vgpr5
.LBB4_3657:                             ;   in Loop: Header=BB4_3183 Depth=3
	s_and_not1_saveexec_b32 s13, s42
	s_cbranch_execz .LBB4_3663
; %bb.3658:                             ;   in Loop: Header=BB4_3183 Depth=3
	s_mov_b32 s42, exec_lo
                                        ; implicit-def: $vgpr85
	v_cmpx_ne_u64_e32 0, v[2:3]
	s_xor_b32 s42, exec_lo, s42
; %bb.3659:                             ;   in Loop: Header=BB4_3183 Depth=3
	v_or_b32_e32 v85, 0x7f, v5
                                        ; implicit-def: $vgpr4
; %bb.3660:                             ;   in Loop: Header=BB4_3183 Depth=3
	s_and_not1_saveexec_b32 s42, s42
; %bb.3661:                             ;   in Loop: Header=BB4_3183 Depth=3
	v_cmp_lt_i32_e32 vcc_lo, -1, v4
	v_cndmask_b32_e32 v85, 0xfc, v113, vcc_lo
; %bb.3662:                             ;   in Loop: Header=BB4_3183 Depth=3
	s_or_b32 exec_lo, exec_lo, s42
.LBB4_3663:                             ;   in Loop: Header=BB4_3183 Depth=3
	s_delay_alu instid0(SALU_CYCLE_1) | instskip(SKIP_4) | instid1(VALU_DEP_3)
	s_or_b32 exec_lo, exec_lo, s13
	v_and_b32_e32 v16, 0xff, v23
	v_dual_mov_b32 v2, v23 :: v_dual_mov_b32 v5, 0
	v_mov_b32_e32 v4, 0
	s_mov_b32 s13, exec_lo
	v_cmpx_ne_u16_e32 0, v16
	s_cbranch_execz .LBB4_3673
; %bb.3664:                             ;   in Loop: Header=BB4_3183 Depth=3
	v_bfrev_b32_e32 v4, 1
	s_mov_b32 s42, exec_lo
	v_cmpx_ne_u16_e32 0x80, v16
	s_cbranch_execz .LBB4_3672
; %bb.3665:                             ;   in Loop: Header=BB4_3183 Depth=3
	v_and_b32_e32 v4, 0x7c, v23
	v_and_b32_e32 v16, 3, v23
	s_delay_alu instid0(VALU_DEP_2) | instskip(SKIP_1) | instid1(SALU_CYCLE_1)
	v_cmp_ne_u32_e32 vcc_lo, 0x7c, v4
                                        ; implicit-def: $vgpr4
	s_and_saveexec_b32 s43, vcc_lo
	s_xor_b32 s43, exec_lo, s43
	s_cbranch_execz .LBB4_3669
; %bb.3666:                             ;   in Loop: Header=BB4_3183 Depth=3
	v_bfe_u32 v4, v23, 2, 5
	s_mov_b32 s72, exec_lo
	s_delay_alu instid0(VALU_DEP_1)
	v_cmpx_eq_u32_e32 0, v4
; %bb.3667:                             ;   in Loop: Header=BB4_3183 Depth=3
	v_clz_i32_u32_e32 v4, v16
	s_delay_alu instid0(VALU_DEP_1) | instskip(NEXT) | instid1(VALU_DEP_1)
	v_min_u32_e32 v4, 32, v4
	v_subrev_nc_u32_e32 v16, 29, v4
	v_sub_nc_u32_e32 v4, 30, v4
	s_delay_alu instid0(VALU_DEP_2) | instskip(NEXT) | instid1(VALU_DEP_1)
	v_lshlrev_b64_e32 v[16:17], v16, v[2:3]
	v_and_b32_e32 v16, 3, v16
; %bb.3668:                             ;   in Loop: Header=BB4_3183 Depth=3
	s_or_b32 exec_lo, exec_lo, s72
	v_lshlrev_b32_e32 v17, 24, v23
	s_delay_alu instid0(VALU_DEP_1) | instskip(NEXT) | instid1(VALU_DEP_1)
	v_and_b32_e32 v17, 0x80000000, v17
	v_lshl_add_u32 v4, v4, 23, v17
	s_delay_alu instid0(VALU_DEP_1) | instskip(NEXT) | instid1(VALU_DEP_1)
	v_lshl_or_b32 v4, v16, 21, v4
                                        ; implicit-def: $vgpr16
	v_add_nc_u32_e32 v4, 0x38000000, v4
.LBB4_3669:                             ;   in Loop: Header=BB4_3183 Depth=3
	s_and_not1_saveexec_b32 s43, s43
; %bb.3670:                             ;   in Loop: Header=BB4_3183 Depth=3
	v_bfe_i32 v4, v23, 0, 8
	s_delay_alu instid0(VALU_DEP_1) | instskip(SKIP_2) | instid1(VALU_DEP_2)
	v_cmp_lt_i16_e32 vcc_lo, -1, v4
	v_cndmask_b32_e32 v4, 0xff800000, v112, vcc_lo
	v_cmp_eq_u32_e32 vcc_lo, 0, v16
	v_cndmask_b32_e32 v4, 0x7f800001, v4, vcc_lo
; %bb.3671:                             ;   in Loop: Header=BB4_3183 Depth=3
	s_or_b32 exec_lo, exec_lo, s43
.LBB4_3672:                             ;   in Loop: Header=BB4_3183 Depth=3
	s_delay_alu instid0(SALU_CYCLE_1)
	s_or_b32 exec_lo, exec_lo, s42
.LBB4_3673:                             ;   in Loop: Header=BB4_3183 Depth=3
	s_delay_alu instid0(SALU_CYCLE_1) | instskip(SKIP_2) | instid1(VALU_DEP_1)
	s_or_b32 exec_lo, exec_lo, s13
	v_and_b32_e32 v16, 0xff, v19
	s_mov_b32 s13, exec_lo
	v_cmpx_ne_u16_e32 0, v16
	s_cbranch_execz .LBB4_3683
; %bb.3674:                             ;   in Loop: Header=BB4_3183 Depth=3
	v_bfrev_b32_e32 v5, 1
	s_mov_b32 s42, exec_lo
	v_cmpx_ne_u16_e32 0x80, v16
	s_cbranch_execz .LBB4_3682
; %bb.3675:                             ;   in Loop: Header=BB4_3183 Depth=3
	v_and_b32_e32 v5, 0x7c, v19
	v_and_b32_e32 v16, 3, v19
	s_delay_alu instid0(VALU_DEP_2) | instskip(SKIP_1) | instid1(SALU_CYCLE_1)
	v_cmp_ne_u32_e32 vcc_lo, 0x7c, v5
                                        ; implicit-def: $vgpr5
	s_and_saveexec_b32 s43, vcc_lo
	s_xor_b32 s43, exec_lo, s43
	s_cbranch_execz .LBB4_3679
; %bb.3676:                             ;   in Loop: Header=BB4_3183 Depth=3
	v_bfe_u32 v5, v19, 2, 5
	s_mov_b32 s72, exec_lo
	s_delay_alu instid0(VALU_DEP_1)
	v_cmpx_eq_u32_e32 0, v5
; %bb.3677:                             ;   in Loop: Header=BB4_3183 Depth=3
	v_clz_i32_u32_e32 v5, v16
	v_dual_mov_b32 v16, v19 :: v_dual_mov_b32 v17, v3
	s_delay_alu instid0(VALU_DEP_2) | instskip(NEXT) | instid1(VALU_DEP_1)
	v_min_u32_e32 v5, 32, v5
	v_subrev_nc_u32_e32 v100, 29, v5
	s_delay_alu instid0(VALU_DEP_1) | instskip(NEXT) | instid1(VALU_DEP_1)
	v_lshlrev_b64_e32 v[16:17], v100, v[16:17]
	v_dual_sub_nc_u32 v5, 30, v5 :: v_dual_bitop2_b32 v16, 3, v16 bitop3:0x40
; %bb.3678:                             ;   in Loop: Header=BB4_3183 Depth=3
	s_or_b32 exec_lo, exec_lo, s72
	v_lshlrev_b32_e32 v17, 24, v19
	s_delay_alu instid0(VALU_DEP_1) | instskip(NEXT) | instid1(VALU_DEP_1)
	v_and_b32_e32 v17, 0x80000000, v17
	v_lshl_add_u32 v5, v5, 23, v17
	s_delay_alu instid0(VALU_DEP_1) | instskip(NEXT) | instid1(VALU_DEP_1)
	v_lshl_or_b32 v5, v16, 21, v5
                                        ; implicit-def: $vgpr16
	v_add_nc_u32_e32 v5, 0x38000000, v5
.LBB4_3679:                             ;   in Loop: Header=BB4_3183 Depth=3
	s_and_not1_saveexec_b32 s43, s43
; %bb.3680:                             ;   in Loop: Header=BB4_3183 Depth=3
	v_bfe_i32 v5, v19, 0, 8
	s_delay_alu instid0(VALU_DEP_1) | instskip(SKIP_2) | instid1(VALU_DEP_2)
	v_cmp_lt_i16_e32 vcc_lo, -1, v5
	v_cndmask_b32_e32 v5, 0xff800000, v112, vcc_lo
	v_cmp_eq_u32_e32 vcc_lo, 0, v16
	v_cndmask_b32_e32 v5, 0x7f800001, v5, vcc_lo
; %bb.3681:                             ;   in Loop: Header=BB4_3183 Depth=3
	s_or_b32 exec_lo, exec_lo, s43
.LBB4_3682:                             ;   in Loop: Header=BB4_3183 Depth=3
	s_delay_alu instid0(SALU_CYCLE_1)
	s_or_b32 exec_lo, exec_lo, s42
.LBB4_3683:                             ;   in Loop: Header=BB4_3183 Depth=3
	s_delay_alu instid0(SALU_CYCLE_1) | instskip(NEXT) | instid1(VALU_DEP_1)
	s_or_b32 exec_lo, exec_lo, s13
	v_dual_mul_f32 v16, v4, v5 :: v_dual_mov_b32 v101, v3
	v_mov_b32_e32 v5, v3
                                        ; implicit-def: $vgpr116
	s_mov_b32 s13, exec_lo
	s_delay_alu instid0(VALU_DEP_2) | instskip(SKIP_2) | instid1(VALU_DEP_3)
	v_and_b32_e32 v100, 0x7f800000, v16
	v_and_b32_e32 v4, 0x7fffff, v16
	v_lshrrev_b32_e32 v17, 24, v16
	v_cmpx_ne_u64_e32 0x7f800000, v[100:101]
	s_xor_b32 s42, exec_lo, s13
	s_cbranch_execz .LBB4_3697
; %bb.3684:                             ;   in Loop: Header=BB4_3183 Depth=3
	v_and_b32_e32 v100, 0x7fffffff, v16
	v_mov_b32_e32 v101, v3
                                        ; implicit-def: $vgpr116
	s_delay_alu instid0(VALU_DEP_1) | instskip(SKIP_2) | instid1(SALU_CYCLE_1)
	v_cmp_gt_u64_e32 vcc_lo, 0x47600001, v[100:101]
	v_and_b32_e32 v100, 0x80, v17
	s_and_saveexec_b32 s13, vcc_lo
	s_xor_b32 s43, exec_lo, s13
	s_cbranch_execz .LBB4_3694
; %bb.3685:                             ;   in Loop: Header=BB4_3183 Depth=3
	v_mov_b32_e32 v116, 0
	s_mov_b32 s72, exec_lo
	v_cmpx_ne_u32_e32 0, v16
	s_cbranch_execz .LBB4_3693
; %bb.3686:                             ;   in Loop: Header=BB4_3183 Depth=3
	v_bfe_u32 v101, v16, 23, 8
	v_or_b32_e32 v17, 0x800000, v4
	s_delay_alu instid0(VALU_DEP_2) | instskip(SKIP_2) | instid1(VALU_DEP_2)
	v_cmp_gt_u32_e64 s13, 0x72, v101
	v_sub_nc_u32_e32 v16, 0x71, v101
	v_cmp_eq_u32_e32 vcc_lo, 0, v101
	v_cndmask_b32_e64 v16, 0, v16, s13
	s_delay_alu instid0(VALU_DEP_1) | instskip(NEXT) | instid1(VALU_DEP_1)
	v_cndmask_b32_e64 v102, v16, 0x70, vcc_lo
	v_dual_cndmask_b32 v4, v17, v4, vcc_lo :: v_dual_add_nc_u32 v16, 21, v102
	v_add_nc_u32_e32 v103, 20, v102
	s_delay_alu instid0(VALU_DEP_2) | instskip(NEXT) | instid1(VALU_DEP_2)
	v_lshlrev_b64_e64 v[16:17], v16, -1
	v_lshlrev_b64_e64 v[116:117], v103, 1
	s_delay_alu instid0(VALU_DEP_2) | instskip(SKIP_1) | instid1(VALU_DEP_4)
	v_bfi_b32 v16, v16, 0, v4
	v_lshrrev_b64 v[4:5], v102, v[4:5]
	v_bfi_b32 v17, v17, 0, 0
	s_delay_alu instid0(VALU_DEP_1) | instskip(NEXT) | instid1(VALU_DEP_3)
	v_cmp_eq_u64_e64 s13, v[16:17], v[116:117]
	v_mov_b64_e32 v[16:17], v[4:5]
	s_and_saveexec_b32 s73, s13
; %bb.3687:                             ;   in Loop: Header=BB4_3183 Depth=3
	v_bfe_u32 v16, v4, 21, 1
	v_mov_b32_e32 v17, v3
	s_delay_alu instid0(VALU_DEP_1) | instskip(NEXT) | instid1(VALU_DEP_1)
	v_add_nc_u64_e32 v[16:17], v[4:5], v[16:17]
	v_add_nc_u64_e32 v[16:17], -1, v[16:17]
; %bb.3688:                             ;   in Loop: Header=BB4_3183 Depth=3
	s_or_b32 exec_lo, exec_lo, s73
	v_add_nc_u32_e32 v5, 0xffffff81, v101
	v_lshrrev_b32_e32 v17, 23, v4
	s_mov_b32 s13, exec_lo
	s_delay_alu instid0(VALU_DEP_2) | instskip(NEXT) | instid1(VALU_DEP_1)
	v_cndmask_b32_e64 v5, v5, 0xffffff82, vcc_lo
	v_add3_u32 v17, v102, v5, v17
	v_and_b32_e32 v5, 0x1fffff, v16
                                        ; implicit-def: $vgpr16
	s_delay_alu instid0(VALU_DEP_1) | instskip(SKIP_1) | instid1(VALU_DEP_2)
	v_dual_add_nc_u32 v101, 14, v17 :: v_dual_add_nc_u32 v4, v5, v4
	v_mov_b32_e32 v5, v3
	v_cmpx_ne_u32_e32 0, v101
	s_xor_b32 s13, exec_lo, s13
; %bb.3689:                             ;   in Loop: Header=BB4_3183 Depth=3
	s_delay_alu instid0(VALU_DEP_2) | instskip(SKIP_2) | instid1(VALU_DEP_2)
	v_cmp_lt_u64_e32 vcc_lo, 0xffffff, v[4:5]
	v_add_nc_u32_e32 v16, 15, v17
	v_cndmask_b32_e64 v17, 0, 1, vcc_lo
	v_cndmask_b32_e32 v16, v101, v16, vcc_lo
	s_delay_alu instid0(VALU_DEP_2)
	v_lshrrev_b64 v[4:5], v17, v[4:5]
; %bb.3690:                             ;   in Loop: Header=BB4_3183 Depth=3
	s_and_not1_saveexec_b32 s13, s13
; %bb.3691:                             ;   in Loop: Header=BB4_3183 Depth=3
	s_delay_alu instid0(VALU_DEP_1)
	v_bfe_u32 v16, v4, 23, 1
; %bb.3692:                             ;   in Loop: Header=BB4_3183 Depth=3
	s_or_b32 exec_lo, exec_lo, s13
	s_delay_alu instid0(VALU_DEP_2) | instskip(NEXT) | instid1(VALU_DEP_2)
	v_lshrrev_b64 v[4:5], 21, v[4:5]
	v_cmp_gt_i32_e32 vcc_lo, 32, v16
	v_min_i32_e32 v17, 31, v16
	v_cmp_eq_u32_e64 s13, 0, v16
	s_delay_alu instid0(VALU_DEP_4) | instskip(NEXT) | instid1(VALU_DEP_3)
	v_cndmask_b32_e32 v5, 0, v5, vcc_lo
	v_dual_cndmask_b32 v4, 3, v4 :: v_dual_lshlrev_b32 v17, 2, v17
	s_delay_alu instid0(VALU_DEP_1) | instskip(NEXT) | instid1(VALU_DEP_2)
	v_and_b32_e32 v17, 0xfc, v17
	v_cmp_eq_u64_e32 vcc_lo, 0, v[4:5]
	s_delay_alu instid0(VALU_DEP_2)
	v_and_or_b32 v4, v4, 3, v17
	s_and_b32 s13, s13, vcc_lo
	s_delay_alu instid0(VALU_DEP_1) | instid1(SALU_CYCLE_1)
	v_cndmask_b32_e64 v4, v4, 0, s13
	s_delay_alu instid0(VALU_DEP_1)
	v_or_b32_e32 v116, v4, v100
.LBB4_3693:                             ;   in Loop: Header=BB4_3183 Depth=3
	s_or_b32 exec_lo, exec_lo, s72
                                        ; implicit-def: $vgpr100
.LBB4_3694:                             ;   in Loop: Header=BB4_3183 Depth=3
	s_and_not1_saveexec_b32 s13, s43
; %bb.3695:                             ;   in Loop: Header=BB4_3183 Depth=3
	v_or_b32_e32 v116, 0x7b, v100
; %bb.3696:                             ;   in Loop: Header=BB4_3183 Depth=3
	s_or_b32 exec_lo, exec_lo, s13
                                        ; implicit-def: $vgpr16
                                        ; implicit-def: $vgpr4_vgpr5
                                        ; implicit-def: $vgpr17
.LBB4_3697:                             ;   in Loop: Header=BB4_3183 Depth=3
	s_and_not1_saveexec_b32 s13, s42
	s_cbranch_execz .LBB4_3703
; %bb.3698:                             ;   in Loop: Header=BB4_3183 Depth=3
	s_mov_b32 s42, exec_lo
                                        ; implicit-def: $vgpr116
	v_cmpx_ne_u64_e32 0, v[4:5]
	s_xor_b32 s42, exec_lo, s42
; %bb.3699:                             ;   in Loop: Header=BB4_3183 Depth=3
	v_or_b32_e32 v116, 0x7f, v17
                                        ; implicit-def: $vgpr16
; %bb.3700:                             ;   in Loop: Header=BB4_3183 Depth=3
	s_and_not1_saveexec_b32 s42, s42
; %bb.3701:                             ;   in Loop: Header=BB4_3183 Depth=3
	v_cmp_lt_i32_e32 vcc_lo, -1, v16
	v_cndmask_b32_e32 v116, 0xfc, v113, vcc_lo
; %bb.3702:                             ;   in Loop: Header=BB4_3183 Depth=3
	s_or_b32 exec_lo, exec_lo, s42
.LBB4_3703:                             ;   in Loop: Header=BB4_3183 Depth=3
	s_delay_alu instid0(SALU_CYCLE_1) | instskip(SKIP_3) | instid1(VALU_DEP_2)
	s_or_b32 exec_lo, exec_lo, s13
	v_lshrrev_b16 v4, 8, v2
	v_dual_mov_b32 v16, 0 :: v_dual_mov_b32 v17, 0
	s_mov_b32 s13, exec_lo
	v_cmpx_ne_u16_e32 0, v4
	s_cbranch_execz .LBB4_3713
; %bb.3704:                             ;   in Loop: Header=BB4_3183 Depth=3
	v_bfrev_b32_e32 v17, 1
	s_mov_b32 s42, exec_lo
	v_cmpx_ne_u16_e32 0x80, v4
	s_cbranch_execz .LBB4_3712
; %bb.3705:                             ;   in Loop: Header=BB4_3183 Depth=3
	v_and_b32_e32 v100, 0xffff, v4
	s_delay_alu instid0(VALU_DEP_1) | instskip(SKIP_1) | instid1(VALU_DEP_2)
	v_and_b32_e32 v17, 0x7c, v100
	v_and_b32_e32 v5, 3, v100
	v_cmp_ne_u32_e32 vcc_lo, 0x7c, v17
                                        ; implicit-def: $vgpr17
	s_and_saveexec_b32 s43, vcc_lo
	s_delay_alu instid0(SALU_CYCLE_1)
	s_xor_b32 s43, exec_lo, s43
	s_cbranch_execz .LBB4_3709
; %bb.3706:                             ;   in Loop: Header=BB4_3183 Depth=3
	v_bfe_u32 v17, v100, 2, 5
	s_mov_b32 s72, exec_lo
	s_delay_alu instid0(VALU_DEP_1)
	v_cmpx_eq_u32_e32 0, v17
	s_cbranch_execz .LBB4_3708
; %bb.3707:                             ;   in Loop: Header=BB4_3183 Depth=3
	v_clz_i32_u32_e32 v5, v5
	s_delay_alu instid0(VALU_DEP_1) | instskip(SKIP_1) | instid1(VALU_DEP_2)
	v_min_u32_e32 v17, 32, v5
	v_mov_b32_e32 v5, v3
	v_subrev_nc_u32_e32 v100, 29, v17
	v_sub_nc_u32_e32 v17, 30, v17
	s_delay_alu instid0(VALU_DEP_2) | instskip(NEXT) | instid1(VALU_DEP_1)
	v_lshlrev_b64_e32 v[4:5], v100, v[4:5]
	v_and_b32_e32 v5, 3, v4
.LBB4_3708:                             ;   in Loop: Header=BB4_3183 Depth=3
	s_or_b32 exec_lo, exec_lo, s72
	v_lshlrev_b32_e32 v2, 16, v2
	s_delay_alu instid0(VALU_DEP_1) | instskip(NEXT) | instid1(VALU_DEP_1)
	v_and_b32_e32 v2, 0x80000000, v2
	v_lshl_add_u32 v2, v17, 23, v2
	s_delay_alu instid0(VALU_DEP_1) | instskip(NEXT) | instid1(VALU_DEP_1)
	v_lshl_or_b32 v2, v5, 21, v2
                                        ; implicit-def: $vgpr5
	v_add_nc_u32_e32 v17, 0x38000000, v2
.LBB4_3709:                             ;   in Loop: Header=BB4_3183 Depth=3
	s_and_not1_saveexec_b32 s43, s43
; %bb.3710:                             ;   in Loop: Header=BB4_3183 Depth=3
	v_cmp_lt_i16_e32 vcc_lo, -1, v2
	v_cndmask_b32_e32 v2, 0xff800000, v112, vcc_lo
	v_cmp_eq_u32_e32 vcc_lo, 0, v5
	s_delay_alu instid0(VALU_DEP_2)
	v_cndmask_b32_e32 v17, 0x7f800001, v2, vcc_lo
; %bb.3711:                             ;   in Loop: Header=BB4_3183 Depth=3
	s_or_b32 exec_lo, exec_lo, s43
.LBB4_3712:                             ;   in Loop: Header=BB4_3183 Depth=3
	s_delay_alu instid0(SALU_CYCLE_1)
	s_or_b32 exec_lo, exec_lo, s42
.LBB4_3713:                             ;   in Loop: Header=BB4_3183 Depth=3
	s_delay_alu instid0(SALU_CYCLE_1) | instskip(SKIP_2) | instid1(VALU_DEP_1)
	s_or_b32 exec_lo, exec_lo, s13
	v_lshrrev_b16 v4, 8, v19
	s_mov_b32 s13, exec_lo
	v_cmpx_ne_u16_e32 0, v4
	s_cbranch_execz .LBB4_3723
; %bb.3714:                             ;   in Loop: Header=BB4_3183 Depth=3
	v_bfrev_b32_e32 v16, 1
	s_mov_b32 s42, exec_lo
	v_cmpx_ne_u16_e32 0x80, v4
	s_cbranch_execz .LBB4_3722
; %bb.3715:                             ;   in Loop: Header=BB4_3183 Depth=3
	v_and_b32_e32 v5, 0xffff, v4
	s_delay_alu instid0(VALU_DEP_1) | instskip(SKIP_1) | instid1(VALU_DEP_2)
	v_and_b32_e32 v16, 0x7c, v5
	v_and_b32_e32 v2, 3, v5
	v_cmp_ne_u32_e32 vcc_lo, 0x7c, v16
                                        ; implicit-def: $vgpr16
	s_and_saveexec_b32 s43, vcc_lo
	s_delay_alu instid0(SALU_CYCLE_1)
	s_xor_b32 s43, exec_lo, s43
	s_cbranch_execz .LBB4_3719
; %bb.3716:                             ;   in Loop: Header=BB4_3183 Depth=3
	v_bfe_u32 v5, v5, 2, 5
	s_mov_b32 s72, exec_lo
	s_delay_alu instid0(VALU_DEP_1)
	v_cmpx_eq_u32_e32 0, v5
; %bb.3717:                             ;   in Loop: Header=BB4_3183 Depth=3
	v_clz_i32_u32_e32 v2, v2
	v_mov_b32_e32 v5, v3
	s_delay_alu instid0(VALU_DEP_2) | instskip(NEXT) | instid1(VALU_DEP_1)
	v_min_u32_e32 v2, 32, v2
	v_subrev_nc_u32_e32 v16, 29, v2
	s_delay_alu instid0(VALU_DEP_1) | instskip(NEXT) | instid1(VALU_DEP_1)
	v_lshlrev_b64_e32 v[4:5], v16, v[4:5]
	v_dual_sub_nc_u32 v5, 30, v2 :: v_dual_bitop2_b32 v2, 3, v4 bitop3:0x40
; %bb.3718:                             ;   in Loop: Header=BB4_3183 Depth=3
	s_or_b32 exec_lo, exec_lo, s72
	v_lshlrev_b32_e32 v4, 16, v19
	s_delay_alu instid0(VALU_DEP_1) | instskip(NEXT) | instid1(VALU_DEP_1)
	v_and_b32_e32 v4, 0x80000000, v4
	v_lshl_add_u32 v4, v5, 23, v4
	s_delay_alu instid0(VALU_DEP_1) | instskip(NEXT) | instid1(VALU_DEP_1)
	v_lshl_or_b32 v2, v2, 21, v4
	v_add_nc_u32_e32 v16, 0x38000000, v2
                                        ; implicit-def: $vgpr2
.LBB4_3719:                             ;   in Loop: Header=BB4_3183 Depth=3
	s_and_not1_saveexec_b32 s43, s43
; %bb.3720:                             ;   in Loop: Header=BB4_3183 Depth=3
	v_cmp_lt_i16_e32 vcc_lo, -1, v19
	v_cndmask_b32_e32 v4, 0xff800000, v112, vcc_lo
	v_cmp_eq_u32_e32 vcc_lo, 0, v2
	s_delay_alu instid0(VALU_DEP_2)
	v_cndmask_b32_e32 v16, 0x7f800001, v4, vcc_lo
; %bb.3721:                             ;   in Loop: Header=BB4_3183 Depth=3
	s_or_b32 exec_lo, exec_lo, s43
.LBB4_3722:                             ;   in Loop: Header=BB4_3183 Depth=3
	s_delay_alu instid0(SALU_CYCLE_1)
	s_or_b32 exec_lo, exec_lo, s42
.LBB4_3723:                             ;   in Loop: Header=BB4_3183 Depth=3
	s_delay_alu instid0(SALU_CYCLE_1) | instskip(NEXT) | instid1(VALU_DEP_1)
	s_or_b32 exec_lo, exec_lo, s13
	v_dual_mul_f32 v4, v17, v16 :: v_dual_mov_b32 v17, v3
                                        ; implicit-def: $vgpr117
	s_mov_b32 s13, exec_lo
	s_delay_alu instid0(VALU_DEP_1) | instskip(SKIP_2) | instid1(VALU_DEP_3)
	v_and_b32_e32 v16, 0x7f800000, v4
	v_and_b32_e32 v2, 0x7fffff, v4
	v_lshrrev_b32_e32 v5, 24, v4
	v_cmpx_ne_u64_e32 0x7f800000, v[16:17]
	s_xor_b32 s42, exec_lo, s13
	s_cbranch_execz .LBB4_3737
; %bb.3724:                             ;   in Loop: Header=BB4_3183 Depth=3
	v_and_b32_e32 v16, 0x7fffffff, v4
	v_mov_b32_e32 v17, v3
	v_and_b32_e32 v100, 0x80, v5
                                        ; implicit-def: $vgpr117
	s_mov_b32 s13, exec_lo
	s_delay_alu instid0(VALU_DEP_2)
	v_cmpx_gt_u64_e32 0x47600001, v[16:17]
	s_xor_b32 s43, exec_lo, s13
	s_cbranch_execz .LBB4_3734
; %bb.3725:                             ;   in Loop: Header=BB4_3183 Depth=3
	v_mov_b32_e32 v117, 0
	s_mov_b32 s72, exec_lo
	v_cmpx_ne_u32_e32 0, v4
	s_cbranch_execz .LBB4_3733
; %bb.3726:                             ;   in Loop: Header=BB4_3183 Depth=3
	v_bfe_u32 v101, v4, 23, 8
	v_or_b32_e32 v5, 0x800000, v2
	s_delay_alu instid0(VALU_DEP_2) | instskip(SKIP_2) | instid1(VALU_DEP_2)
	v_cmp_gt_u32_e64 s13, 0x72, v101
	v_sub_nc_u32_e32 v4, 0x71, v101
	v_cmp_eq_u32_e32 vcc_lo, 0, v101
	v_cndmask_b32_e64 v4, 0, v4, s13
	s_delay_alu instid0(VALU_DEP_1) | instskip(SKIP_1) | instid1(VALU_DEP_2)
	v_cndmask_b32_e64 v102, v4, 0x70, vcc_lo
	v_dual_cndmask_b32 v4, v5, v2 :: v_dual_mov_b32 v5, v3
	v_add_nc_u32_e32 v2, 21, v102
	s_delay_alu instid0(VALU_DEP_1) | instskip(SKIP_1) | instid1(VALU_DEP_1)
	v_lshlrev_b64_e64 v[16:17], v2, -1
	v_add_nc_u32_e32 v2, 20, v102
	v_lshlrev_b64_e64 v[44:45], v2, 1
	s_delay_alu instid0(VALU_DEP_3) | instskip(SKIP_2) | instid1(VALU_DEP_1)
	v_bfi_b32 v16, v16, 0, v4
	v_lshrrev_b64 v[4:5], v102, v[4:5]
	v_bfi_b32 v17, v17, 0, 0
	v_cmp_eq_u64_e64 s13, v[16:17], v[44:45]
	s_delay_alu instid0(VALU_DEP_3)
	v_mov_b64_e32 v[16:17], v[4:5]
	s_and_saveexec_b32 s73, s13
; %bb.3727:                             ;   in Loop: Header=BB4_3183 Depth=3
	v_bfe_u32 v16, v4, 21, 1
	v_mov_b32_e32 v17, v3
	s_delay_alu instid0(VALU_DEP_1) | instskip(NEXT) | instid1(VALU_DEP_1)
	v_add_nc_u64_e32 v[16:17], v[4:5], v[16:17]
	v_add_nc_u64_e32 v[16:17], -1, v[16:17]
; %bb.3728:                             ;   in Loop: Header=BB4_3183 Depth=3
	s_or_b32 exec_lo, exec_lo, s73
	v_add_nc_u32_e32 v2, 0xffffff81, v101
	v_lshrrev_b32_e32 v5, 23, v4
	s_mov_b32 s13, exec_lo
	s_delay_alu instid0(VALU_DEP_2) | instskip(NEXT) | instid1(VALU_DEP_1)
	v_cndmask_b32_e64 v2, v2, 0xffffff82, vcc_lo
	v_add3_u32 v17, v102, v2, v5
	v_and_b32_e32 v2, 0x1fffff, v16
                                        ; implicit-def: $vgpr16
	s_delay_alu instid0(VALU_DEP_1) | instskip(NEXT) | instid1(VALU_DEP_1)
	v_dual_add_nc_u32 v101, 14, v17 :: v_dual_add_nc_u32 v2, v2, v4
                                        ; implicit-def: $vgpr4_vgpr5
	v_cmpx_ne_u32_e32 0, v101
	s_xor_b32 s13, exec_lo, s13
; %bb.3729:                             ;   in Loop: Header=BB4_3183 Depth=3
	s_delay_alu instid0(VALU_DEP_2) | instskip(SKIP_1) | instid1(VALU_DEP_1)
	v_cmp_lt_u64_e32 vcc_lo, 0xffffff, v[2:3]
	v_add_nc_u32_e32 v4, 15, v17
	v_cndmask_b32_e32 v16, v101, v4, vcc_lo
	v_cndmask_b32_e64 v4, 0, 1, vcc_lo
	s_delay_alu instid0(VALU_DEP_1)
	v_lshrrev_b64 v[4:5], v4, v[2:3]
; %bb.3730:                             ;   in Loop: Header=BB4_3183 Depth=3
	s_and_not1_saveexec_b32 s13, s13
; %bb.3731:                             ;   in Loop: Header=BB4_3183 Depth=3
	v_mov_b64_e32 v[4:5], v[2:3]
	v_bfe_u32 v16, v2, 23, 1
; %bb.3732:                             ;   in Loop: Header=BB4_3183 Depth=3
	s_or_b32 exec_lo, exec_lo, s13
	s_delay_alu instid0(VALU_DEP_2) | instskip(NEXT) | instid1(VALU_DEP_2)
	v_lshrrev_b64 v[4:5], 21, v[4:5]
	v_cmp_gt_i32_e32 vcc_lo, 32, v16
	v_min_i32_e32 v2, 31, v16
	v_cmp_eq_u32_e64 s13, 0, v16
	s_delay_alu instid0(VALU_DEP_2) | instskip(SKIP_1) | instid1(VALU_DEP_2)
	v_dual_cndmask_b32 v5, 0, v5 :: v_dual_lshlrev_b32 v2, 2, v2
	v_cndmask_b32_e32 v4, 3, v4, vcc_lo
	v_and_b32_e32 v2, 0xfc, v2
	s_delay_alu instid0(VALU_DEP_2) | instskip(NEXT) | instid1(VALU_DEP_2)
	v_cmp_eq_u64_e32 vcc_lo, 0, v[4:5]
	v_and_or_b32 v2, v4, 3, v2
	s_and_b32 s13, s13, vcc_lo
	s_delay_alu instid0(VALU_DEP_1) | instid1(SALU_CYCLE_1)
	v_cndmask_b32_e64 v2, v2, 0, s13
	s_delay_alu instid0(VALU_DEP_1)
	v_or_b32_e32 v117, v2, v100
.LBB4_3733:                             ;   in Loop: Header=BB4_3183 Depth=3
	s_or_b32 exec_lo, exec_lo, s72
                                        ; implicit-def: $vgpr100
.LBB4_3734:                             ;   in Loop: Header=BB4_3183 Depth=3
	s_and_not1_saveexec_b32 s13, s43
; %bb.3735:                             ;   in Loop: Header=BB4_3183 Depth=3
	v_or_b32_e32 v117, 0x7b, v100
; %bb.3736:                             ;   in Loop: Header=BB4_3183 Depth=3
	s_or_b32 exec_lo, exec_lo, s13
                                        ; implicit-def: $vgpr4
                                        ; implicit-def: $vgpr5
.LBB4_3737:                             ;   in Loop: Header=BB4_3183 Depth=3
	s_and_not1_saveexec_b32 s13, s42
	s_cbranch_execz .LBB4_3743
; %bb.3738:                             ;   in Loop: Header=BB4_3183 Depth=3
	s_mov_b32 s42, exec_lo
                                        ; implicit-def: $vgpr117
	v_cmpx_ne_u64_e32 0, v[2:3]
	s_xor_b32 s42, exec_lo, s42
; %bb.3739:                             ;   in Loop: Header=BB4_3183 Depth=3
	v_or_b32_e32 v117, 0x7f, v5
                                        ; implicit-def: $vgpr4
; %bb.3740:                             ;   in Loop: Header=BB4_3183 Depth=3
	s_and_not1_saveexec_b32 s42, s42
; %bb.3741:                             ;   in Loop: Header=BB4_3183 Depth=3
	v_cmp_lt_i32_e32 vcc_lo, -1, v4
	v_cndmask_b32_e32 v117, 0xfc, v113, vcc_lo
; %bb.3742:                             ;   in Loop: Header=BB4_3183 Depth=3
	s_or_b32 exec_lo, exec_lo, s42
.LBB4_3743:                             ;   in Loop: Header=BB4_3183 Depth=3
	s_delay_alu instid0(SALU_CYCLE_1) | instskip(SKIP_3) | instid1(VALU_DEP_2)
	s_or_b32 exec_lo, exec_lo, s13
	v_dual_lshrrev_b32 v2, 16, v23 :: v_dual_mov_b32 v4, 0
	v_mov_b32_e32 v5, 0
	s_mov_b32 s13, exec_lo
	v_and_b32_e32 v16, 0xff, v2
	s_delay_alu instid0(VALU_DEP_1)
	v_cmpx_ne_u16_e32 0, v16
	s_cbranch_execz .LBB4_3753
; %bb.3744:                             ;   in Loop: Header=BB4_3183 Depth=3
	v_bfrev_b32_e32 v5, 1
	s_mov_b32 s42, exec_lo
	v_cmpx_ne_u16_e32 0x80, v16
	s_cbranch_execz .LBB4_3752
; %bb.3745:                             ;   in Loop: Header=BB4_3183 Depth=3
	v_and_b32_e32 v5, 0x7c0000, v23
	v_bfe_u32 v16, v23, 16, 2
	s_delay_alu instid0(VALU_DEP_2) | instskip(SKIP_1) | instid1(SALU_CYCLE_1)
	v_cmp_ne_u32_e32 vcc_lo, 0x7c0000, v5
                                        ; implicit-def: $vgpr5
	s_and_saveexec_b32 s43, vcc_lo
	s_xor_b32 s43, exec_lo, s43
	s_cbranch_execz .LBB4_3749
; %bb.3746:                             ;   in Loop: Header=BB4_3183 Depth=3
	v_bfe_u32 v5, v23, 18, 5
	s_mov_b32 s72, exec_lo
	s_delay_alu instid0(VALU_DEP_1)
	v_cmpx_eq_u32_e32 0, v5
; %bb.3747:                             ;   in Loop: Header=BB4_3183 Depth=3
	v_clz_i32_u32_e32 v5, v16
	s_delay_alu instid0(VALU_DEP_1) | instskip(NEXT) | instid1(VALU_DEP_1)
	v_min_u32_e32 v5, 32, v5
	v_subrev_nc_u32_e32 v16, 29, v5
	s_delay_alu instid0(VALU_DEP_1) | instskip(NEXT) | instid1(VALU_DEP_1)
	v_lshlrev_b64_e32 v[16:17], v16, v[2:3]
	v_dual_sub_nc_u32 v5, 30, v5 :: v_dual_bitop2_b32 v16, 3, v16 bitop3:0x40
; %bb.3748:                             ;   in Loop: Header=BB4_3183 Depth=3
	s_or_b32 exec_lo, exec_lo, s72
	v_lshlrev_b32_e32 v2, 24, v2
	s_delay_alu instid0(VALU_DEP_1) | instskip(NEXT) | instid1(VALU_DEP_1)
	v_and_b32_e32 v2, 0x80000000, v2
	v_lshl_add_u32 v2, v5, 23, v2
	s_delay_alu instid0(VALU_DEP_1) | instskip(NEXT) | instid1(VALU_DEP_1)
	v_lshl_or_b32 v2, v16, 21, v2
                                        ; implicit-def: $vgpr16
	v_add_nc_u32_e32 v5, 0x38000000, v2
                                        ; implicit-def: $vgpr2
.LBB4_3749:                             ;   in Loop: Header=BB4_3183 Depth=3
	s_and_not1_saveexec_b32 s43, s43
; %bb.3750:                             ;   in Loop: Header=BB4_3183 Depth=3
	v_bfe_i32 v2, v2, 0, 8
	s_delay_alu instid0(VALU_DEP_1) | instskip(SKIP_2) | instid1(VALU_DEP_2)
	v_cmp_lt_i16_e32 vcc_lo, -1, v2
	v_cndmask_b32_e32 v2, 0xff800000, v112, vcc_lo
	v_cmp_eq_u32_e32 vcc_lo, 0, v16
	v_cndmask_b32_e32 v5, 0x7f800001, v2, vcc_lo
; %bb.3751:                             ;   in Loop: Header=BB4_3183 Depth=3
	s_or_b32 exec_lo, exec_lo, s43
.LBB4_3752:                             ;   in Loop: Header=BB4_3183 Depth=3
	s_delay_alu instid0(SALU_CYCLE_1)
	s_or_b32 exec_lo, exec_lo, s42
.LBB4_3753:                             ;   in Loop: Header=BB4_3183 Depth=3
	s_delay_alu instid0(SALU_CYCLE_1) | instskip(SKIP_2) | instid1(VALU_DEP_1)
	s_or_b32 exec_lo, exec_lo, s13
	v_lshrrev_b32_e32 v2, 16, v19
	s_mov_b32 s13, exec_lo
	v_and_b32_e32 v16, 0xff, v2
	s_delay_alu instid0(VALU_DEP_1)
	v_cmpx_ne_u16_e32 0, v16
	s_cbranch_execz .LBB4_3763
; %bb.3754:                             ;   in Loop: Header=BB4_3183 Depth=3
	v_bfrev_b32_e32 v4, 1
	s_mov_b32 s42, exec_lo
	v_cmpx_ne_u16_e32 0x80, v16
	s_cbranch_execz .LBB4_3762
; %bb.3755:                             ;   in Loop: Header=BB4_3183 Depth=3
	v_and_b32_e32 v4, 0x7c0000, v19
	v_bfe_u32 v16, v19, 16, 2
	s_delay_alu instid0(VALU_DEP_2) | instskip(SKIP_1) | instid1(SALU_CYCLE_1)
	v_cmp_ne_u32_e32 vcc_lo, 0x7c0000, v4
                                        ; implicit-def: $vgpr4
	s_and_saveexec_b32 s43, vcc_lo
	s_xor_b32 s43, exec_lo, s43
	s_cbranch_execz .LBB4_3759
; %bb.3756:                             ;   in Loop: Header=BB4_3183 Depth=3
	v_bfe_u32 v4, v19, 18, 5
	s_mov_b32 s72, exec_lo
	s_delay_alu instid0(VALU_DEP_1)
	v_cmpx_eq_u32_e32 0, v4
; %bb.3757:                             ;   in Loop: Header=BB4_3183 Depth=3
	v_clz_i32_u32_e32 v4, v16
	s_delay_alu instid0(VALU_DEP_1) | instskip(NEXT) | instid1(VALU_DEP_1)
	v_min_u32_e32 v4, 32, v4
	v_subrev_nc_u32_e32 v16, 29, v4
	v_sub_nc_u32_e32 v4, 30, v4
	s_delay_alu instid0(VALU_DEP_2) | instskip(NEXT) | instid1(VALU_DEP_1)
	v_lshlrev_b64_e32 v[16:17], v16, v[2:3]
	v_and_b32_e32 v16, 3, v16
; %bb.3758:                             ;   in Loop: Header=BB4_3183 Depth=3
	s_or_b32 exec_lo, exec_lo, s72
	v_lshlrev_b32_e32 v2, 24, v2
	s_delay_alu instid0(VALU_DEP_1) | instskip(NEXT) | instid1(VALU_DEP_1)
	v_and_b32_e32 v2, 0x80000000, v2
	v_lshl_add_u32 v2, v4, 23, v2
	s_delay_alu instid0(VALU_DEP_1) | instskip(NEXT) | instid1(VALU_DEP_1)
	v_lshl_or_b32 v2, v16, 21, v2
                                        ; implicit-def: $vgpr16
	v_add_nc_u32_e32 v4, 0x38000000, v2
                                        ; implicit-def: $vgpr2
.LBB4_3759:                             ;   in Loop: Header=BB4_3183 Depth=3
	s_and_not1_saveexec_b32 s43, s43
; %bb.3760:                             ;   in Loop: Header=BB4_3183 Depth=3
	v_bfe_i32 v2, v2, 0, 8
	s_delay_alu instid0(VALU_DEP_1) | instskip(SKIP_2) | instid1(VALU_DEP_2)
	v_cmp_lt_i16_e32 vcc_lo, -1, v2
	v_cndmask_b32_e32 v2, 0xff800000, v112, vcc_lo
	v_cmp_eq_u32_e32 vcc_lo, 0, v16
	v_cndmask_b32_e32 v4, 0x7f800001, v2, vcc_lo
; %bb.3761:                             ;   in Loop: Header=BB4_3183 Depth=3
	s_or_b32 exec_lo, exec_lo, s43
.LBB4_3762:                             ;   in Loop: Header=BB4_3183 Depth=3
	s_delay_alu instid0(SALU_CYCLE_1)
	s_or_b32 exec_lo, exec_lo, s42
.LBB4_3763:                             ;   in Loop: Header=BB4_3183 Depth=3
	s_delay_alu instid0(SALU_CYCLE_1) | instskip(NEXT) | instid1(VALU_DEP_1)
	s_or_b32 exec_lo, exec_lo, s13
	v_dual_mul_f32 v4, v5, v4 :: v_dual_mov_b32 v17, v3
                                        ; implicit-def: $vgpr43
	s_mov_b32 s13, exec_lo
	s_delay_alu instid0(VALU_DEP_1) | instskip(SKIP_2) | instid1(VALU_DEP_3)
	v_and_b32_e32 v16, 0x7f800000, v4
	v_and_b32_e32 v2, 0x7fffff, v4
	v_lshrrev_b32_e32 v5, 24, v4
	v_cmpx_ne_u64_e32 0x7f800000, v[16:17]
	s_xor_b32 s42, exec_lo, s13
	s_cbranch_execz .LBB4_3777
; %bb.3764:                             ;   in Loop: Header=BB4_3183 Depth=3
	v_and_b32_e32 v16, 0x7fffffff, v4
	v_mov_b32_e32 v17, v3
	v_and_b32_e32 v100, 0x80, v5
                                        ; implicit-def: $vgpr43
	s_mov_b32 s13, exec_lo
	s_delay_alu instid0(VALU_DEP_2)
	v_cmpx_gt_u64_e32 0x47600001, v[16:17]
	s_xor_b32 s43, exec_lo, s13
	s_cbranch_execz .LBB4_3774
; %bb.3765:                             ;   in Loop: Header=BB4_3183 Depth=3
	v_mov_b32_e32 v43, 0
	s_mov_b32 s72, exec_lo
	v_cmpx_ne_u32_e32 0, v4
	s_cbranch_execz .LBB4_3773
; %bb.3766:                             ;   in Loop: Header=BB4_3183 Depth=3
	v_bfe_u32 v101, v4, 23, 8
	v_or_b32_e32 v5, 0x800000, v2
	s_delay_alu instid0(VALU_DEP_2) | instskip(SKIP_2) | instid1(VALU_DEP_2)
	v_cmp_gt_u32_e64 s13, 0x72, v101
	v_sub_nc_u32_e32 v4, 0x71, v101
	v_cmp_eq_u32_e32 vcc_lo, 0, v101
	v_cndmask_b32_e64 v4, 0, v4, s13
	s_delay_alu instid0(VALU_DEP_1) | instskip(SKIP_1) | instid1(VALU_DEP_2)
	v_cndmask_b32_e64 v102, v4, 0x70, vcc_lo
	v_dual_cndmask_b32 v4, v5, v2 :: v_dual_mov_b32 v5, v3
	v_add_nc_u32_e32 v2, 21, v102
	s_delay_alu instid0(VALU_DEP_1) | instskip(SKIP_1) | instid1(VALU_DEP_1)
	v_lshlrev_b64_e64 v[16:17], v2, -1
	v_add_nc_u32_e32 v2, 20, v102
	v_lshlrev_b64_e64 v[44:45], v2, 1
	s_delay_alu instid0(VALU_DEP_3) | instskip(SKIP_2) | instid1(VALU_DEP_1)
	v_bfi_b32 v16, v16, 0, v4
	v_lshrrev_b64 v[4:5], v102, v[4:5]
	v_bfi_b32 v17, v17, 0, 0
	v_cmp_eq_u64_e64 s13, v[16:17], v[44:45]
	s_delay_alu instid0(VALU_DEP_3)
	v_mov_b64_e32 v[16:17], v[4:5]
	s_and_saveexec_b32 s73, s13
; %bb.3767:                             ;   in Loop: Header=BB4_3183 Depth=3
	v_bfe_u32 v16, v4, 21, 1
	v_mov_b32_e32 v17, v3
	s_delay_alu instid0(VALU_DEP_1) | instskip(NEXT) | instid1(VALU_DEP_1)
	v_add_nc_u64_e32 v[16:17], v[4:5], v[16:17]
	v_add_nc_u64_e32 v[16:17], -1, v[16:17]
; %bb.3768:                             ;   in Loop: Header=BB4_3183 Depth=3
	s_or_b32 exec_lo, exec_lo, s73
	v_add_nc_u32_e32 v2, 0xffffff81, v101
	v_lshrrev_b32_e32 v5, 23, v4
	s_mov_b32 s13, exec_lo
	s_delay_alu instid0(VALU_DEP_2) | instskip(NEXT) | instid1(VALU_DEP_1)
	v_cndmask_b32_e64 v2, v2, 0xffffff82, vcc_lo
	v_add3_u32 v17, v102, v2, v5
	v_and_b32_e32 v2, 0x1fffff, v16
                                        ; implicit-def: $vgpr16
	s_delay_alu instid0(VALU_DEP_1) | instskip(NEXT) | instid1(VALU_DEP_1)
	v_dual_add_nc_u32 v101, 14, v17 :: v_dual_add_nc_u32 v2, v2, v4
                                        ; implicit-def: $vgpr4_vgpr5
	v_cmpx_ne_u32_e32 0, v101
	s_xor_b32 s13, exec_lo, s13
; %bb.3769:                             ;   in Loop: Header=BB4_3183 Depth=3
	s_delay_alu instid0(VALU_DEP_2) | instskip(SKIP_1) | instid1(VALU_DEP_1)
	v_cmp_lt_u64_e32 vcc_lo, 0xffffff, v[2:3]
	v_add_nc_u32_e32 v4, 15, v17
	v_cndmask_b32_e32 v16, v101, v4, vcc_lo
	v_cndmask_b32_e64 v4, 0, 1, vcc_lo
	s_delay_alu instid0(VALU_DEP_1)
	v_lshrrev_b64 v[4:5], v4, v[2:3]
; %bb.3770:                             ;   in Loop: Header=BB4_3183 Depth=3
	s_and_not1_saveexec_b32 s13, s13
; %bb.3771:                             ;   in Loop: Header=BB4_3183 Depth=3
	v_mov_b64_e32 v[4:5], v[2:3]
	v_bfe_u32 v16, v2, 23, 1
; %bb.3772:                             ;   in Loop: Header=BB4_3183 Depth=3
	s_or_b32 exec_lo, exec_lo, s13
	s_delay_alu instid0(VALU_DEP_2) | instskip(NEXT) | instid1(VALU_DEP_2)
	v_lshrrev_b64 v[4:5], 21, v[4:5]
	v_cmp_gt_i32_e32 vcc_lo, 32, v16
	v_min_i32_e32 v2, 31, v16
	v_cmp_eq_u32_e64 s13, 0, v16
	s_delay_alu instid0(VALU_DEP_2) | instskip(SKIP_1) | instid1(VALU_DEP_2)
	v_dual_cndmask_b32 v5, 0, v5 :: v_dual_lshlrev_b32 v2, 2, v2
	v_cndmask_b32_e32 v4, 3, v4, vcc_lo
	v_and_b32_e32 v2, 0xfc, v2
	s_delay_alu instid0(VALU_DEP_2) | instskip(NEXT) | instid1(VALU_DEP_2)
	v_cmp_eq_u64_e32 vcc_lo, 0, v[4:5]
	v_and_or_b32 v2, v4, 3, v2
	s_and_b32 s13, s13, vcc_lo
	s_delay_alu instid0(VALU_DEP_1) | instid1(SALU_CYCLE_1)
	v_cndmask_b32_e64 v2, v2, 0, s13
	s_delay_alu instid0(VALU_DEP_1)
	v_or_b32_e32 v43, v2, v100
.LBB4_3773:                             ;   in Loop: Header=BB4_3183 Depth=3
	s_or_b32 exec_lo, exec_lo, s72
                                        ; implicit-def: $vgpr100
.LBB4_3774:                             ;   in Loop: Header=BB4_3183 Depth=3
	s_and_not1_saveexec_b32 s13, s43
; %bb.3775:                             ;   in Loop: Header=BB4_3183 Depth=3
	v_or_b32_e32 v43, 0x7b, v100
; %bb.3776:                             ;   in Loop: Header=BB4_3183 Depth=3
	s_or_b32 exec_lo, exec_lo, s13
                                        ; implicit-def: $vgpr4
                                        ; implicit-def: $vgpr5
.LBB4_3777:                             ;   in Loop: Header=BB4_3183 Depth=3
	s_and_not1_saveexec_b32 s13, s42
	s_cbranch_execz .LBB4_3783
; %bb.3778:                             ;   in Loop: Header=BB4_3183 Depth=3
	s_mov_b32 s42, exec_lo
                                        ; implicit-def: $vgpr43
	v_cmpx_ne_u64_e32 0, v[2:3]
	s_xor_b32 s42, exec_lo, s42
; %bb.3779:                             ;   in Loop: Header=BB4_3183 Depth=3
	v_or_b32_e32 v43, 0x7f, v5
                                        ; implicit-def: $vgpr4
; %bb.3780:                             ;   in Loop: Header=BB4_3183 Depth=3
	s_and_not1_saveexec_b32 s42, s42
; %bb.3781:                             ;   in Loop: Header=BB4_3183 Depth=3
	v_cmp_lt_i32_e32 vcc_lo, -1, v4
	v_cndmask_b32_e32 v43, 0xfc, v113, vcc_lo
; %bb.3782:                             ;   in Loop: Header=BB4_3183 Depth=3
	s_or_b32 exec_lo, exec_lo, s42
.LBB4_3783:                             ;   in Loop: Header=BB4_3183 Depth=3
	s_delay_alu instid0(SALU_CYCLE_1)
	s_or_b32 exec_lo, exec_lo, s13
	v_dual_mov_b32 v4, 0 :: v_dual_mov_b32 v5, 0
	s_mov_b32 s13, exec_lo
	v_cmpx_lt_u64_e64 s[22:23], v[22:23]
	s_cbranch_execz .LBB4_3793
; %bb.3784:                             ;   in Loop: Header=BB4_3183 Depth=3
	v_lshrrev_b32_e32 v2, 24, v23
	v_bfrev_b32_e32 v5, 1
	s_mov_b32 s42, exec_lo
	s_delay_alu instid0(VALU_DEP_2)
	v_cmpx_ne_u32_e32 0x80, v2
	s_cbranch_execz .LBB4_3792
; %bb.3785:                             ;   in Loop: Header=BB4_3183 Depth=3
	v_and_b32_e32 v5, 0x7c000000, v23
	v_bfe_u32 v16, v23, 24, 2
	s_delay_alu instid0(VALU_DEP_2) | instskip(SKIP_1) | instid1(SALU_CYCLE_1)
	v_cmp_ne_u32_e32 vcc_lo, 0x7c000000, v5
                                        ; implicit-def: $vgpr5
	s_and_saveexec_b32 s43, vcc_lo
	s_xor_b32 s43, exec_lo, s43
	s_cbranch_execz .LBB4_3789
; %bb.3786:                             ;   in Loop: Header=BB4_3183 Depth=3
	v_bfe_u32 v5, v23, 26, 5
	s_mov_b32 s72, exec_lo
	s_delay_alu instid0(VALU_DEP_1)
	v_cmpx_eq_u32_e32 0, v5
; %bb.3787:                             ;   in Loop: Header=BB4_3183 Depth=3
	v_clz_i32_u32_e32 v5, v16
	s_delay_alu instid0(VALU_DEP_1) | instskip(NEXT) | instid1(VALU_DEP_1)
	v_min_u32_e32 v5, 32, v5
	v_subrev_nc_u32_e32 v16, 29, v5
	s_delay_alu instid0(VALU_DEP_1) | instskip(NEXT) | instid1(VALU_DEP_1)
	v_lshlrev_b64_e32 v[16:17], v16, v[2:3]
	v_dual_sub_nc_u32 v5, 30, v5 :: v_dual_bitop2_b32 v16, 3, v16 bitop3:0x40
; %bb.3788:                             ;   in Loop: Header=BB4_3183 Depth=3
	s_or_b32 exec_lo, exec_lo, s72
	v_and_b32_e32 v2, 0x80000000, v23
                                        ; implicit-def: $vgpr22_vgpr23
	s_delay_alu instid0(VALU_DEP_1) | instskip(NEXT) | instid1(VALU_DEP_1)
	v_lshl_add_u32 v2, v5, 23, v2
	v_lshl_or_b32 v2, v16, 21, v2
                                        ; implicit-def: $vgpr16
	s_delay_alu instid0(VALU_DEP_1)
	v_add_nc_u32_e32 v5, 0x38000000, v2
.LBB4_3789:                             ;   in Loop: Header=BB4_3183 Depth=3
	s_and_not1_saveexec_b32 s43, s43
; %bb.3790:                             ;   in Loop: Header=BB4_3183 Depth=3
	v_cmp_lt_i64_e32 vcc_lo, -1, v[22:23]
	v_cndmask_b32_e32 v2, 0xff800000, v112, vcc_lo
	v_cmp_eq_u32_e32 vcc_lo, 0, v16
	s_delay_alu instid0(VALU_DEP_2)
	v_cndmask_b32_e32 v5, 0x7f800001, v2, vcc_lo
; %bb.3791:                             ;   in Loop: Header=BB4_3183 Depth=3
	s_or_b32 exec_lo, exec_lo, s43
.LBB4_3792:                             ;   in Loop: Header=BB4_3183 Depth=3
	s_delay_alu instid0(SALU_CYCLE_1)
	s_or_b32 exec_lo, exec_lo, s42
.LBB4_3793:                             ;   in Loop: Header=BB4_3183 Depth=3
	s_delay_alu instid0(SALU_CYCLE_1) | instskip(NEXT) | instid1(SALU_CYCLE_1)
	s_or_b32 exec_lo, exec_lo, s13
	s_mov_b32 s13, exec_lo
	v_cmpx_lt_u64_e64 s[22:23], v[18:19]
	s_cbranch_execz .LBB4_3803
; %bb.3794:                             ;   in Loop: Header=BB4_3183 Depth=3
	v_lshrrev_b32_e32 v2, 24, v19
	v_bfrev_b32_e32 v4, 1
	s_mov_b32 s42, exec_lo
	s_delay_alu instid0(VALU_DEP_2)
	v_cmpx_ne_u32_e32 0x80, v2
	s_cbranch_execz .LBB4_3802
; %bb.3795:                             ;   in Loop: Header=BB4_3183 Depth=3
	v_and_b32_e32 v4, 0x7c000000, v19
	v_bfe_u32 v16, v19, 24, 2
	s_delay_alu instid0(VALU_DEP_2) | instskip(SKIP_1) | instid1(SALU_CYCLE_1)
	v_cmp_ne_u32_e32 vcc_lo, 0x7c000000, v4
                                        ; implicit-def: $vgpr4
	s_and_saveexec_b32 s43, vcc_lo
	s_xor_b32 s43, exec_lo, s43
	s_cbranch_execz .LBB4_3799
; %bb.3796:                             ;   in Loop: Header=BB4_3183 Depth=3
	v_bfe_u32 v4, v19, 26, 5
	s_mov_b32 s72, exec_lo
	s_delay_alu instid0(VALU_DEP_1)
	v_cmpx_eq_u32_e32 0, v4
; %bb.3797:                             ;   in Loop: Header=BB4_3183 Depth=3
	v_clz_i32_u32_e32 v4, v16
	s_delay_alu instid0(VALU_DEP_1) | instskip(NEXT) | instid1(VALU_DEP_1)
	v_min_u32_e32 v4, 32, v4
	v_subrev_nc_u32_e32 v16, 29, v4
	v_sub_nc_u32_e32 v4, 30, v4
	s_delay_alu instid0(VALU_DEP_2) | instskip(NEXT) | instid1(VALU_DEP_1)
	v_lshlrev_b64_e32 v[16:17], v16, v[2:3]
	v_and_b32_e32 v16, 3, v16
; %bb.3798:                             ;   in Loop: Header=BB4_3183 Depth=3
	s_or_b32 exec_lo, exec_lo, s72
	v_and_b32_e32 v2, 0x80000000, v19
                                        ; implicit-def: $vgpr18_vgpr19
	s_delay_alu instid0(VALU_DEP_1) | instskip(NEXT) | instid1(VALU_DEP_1)
	v_lshl_add_u32 v2, v4, 23, v2
	v_lshl_or_b32 v2, v16, 21, v2
                                        ; implicit-def: $vgpr16
	s_delay_alu instid0(VALU_DEP_1)
	v_add_nc_u32_e32 v4, 0x38000000, v2
.LBB4_3799:                             ;   in Loop: Header=BB4_3183 Depth=3
	s_and_not1_saveexec_b32 s43, s43
; %bb.3800:                             ;   in Loop: Header=BB4_3183 Depth=3
	v_cmp_lt_i64_e32 vcc_lo, -1, v[18:19]
	v_cndmask_b32_e32 v2, 0xff800000, v112, vcc_lo
	v_cmp_eq_u32_e32 vcc_lo, 0, v16
	s_delay_alu instid0(VALU_DEP_2)
	v_cndmask_b32_e32 v4, 0x7f800001, v2, vcc_lo
; %bb.3801:                             ;   in Loop: Header=BB4_3183 Depth=3
	s_or_b32 exec_lo, exec_lo, s43
.LBB4_3802:                             ;   in Loop: Header=BB4_3183 Depth=3
	s_delay_alu instid0(SALU_CYCLE_1)
	s_or_b32 exec_lo, exec_lo, s42
.LBB4_3803:                             ;   in Loop: Header=BB4_3183 Depth=3
	s_delay_alu instid0(SALU_CYCLE_1) | instskip(NEXT) | instid1(VALU_DEP_1)
	s_or_b32 exec_lo, exec_lo, s13
	v_dual_mul_f32 v4, v5, v4 :: v_dual_mov_b32 v17, v3
                                        ; implicit-def: $vgpr18
	s_mov_b32 s13, exec_lo
	s_delay_alu instid0(VALU_DEP_1) | instskip(SKIP_2) | instid1(VALU_DEP_3)
	v_and_b32_e32 v16, 0x7f800000, v4
	v_and_b32_e32 v2, 0x7fffff, v4
	v_lshrrev_b32_e32 v5, 24, v4
	v_cmpx_ne_u64_e32 0x7f800000, v[16:17]
	s_xor_b32 s42, exec_lo, s13
	s_cbranch_execz .LBB4_3817
; %bb.3804:                             ;   in Loop: Header=BB4_3183 Depth=3
	v_and_b32_e32 v16, 0x7fffffff, v4
	v_mov_b32_e32 v17, v3
	v_and_b32_e32 v19, 0x80, v5
                                        ; implicit-def: $vgpr18
	s_mov_b32 s13, exec_lo
	s_delay_alu instid0(VALU_DEP_2)
	v_cmpx_gt_u64_e32 0x47600001, v[16:17]
	s_xor_b32 s43, exec_lo, s13
	s_cbranch_execz .LBB4_3814
; %bb.3805:                             ;   in Loop: Header=BB4_3183 Depth=3
	v_mov_b32_e32 v18, 0
	s_mov_b32 s72, exec_lo
	v_cmpx_ne_u32_e32 0, v4
	s_cbranch_execz .LBB4_3813
; %bb.3806:                             ;   in Loop: Header=BB4_3183 Depth=3
	v_bfe_u32 v18, v4, 23, 8
	v_or_b32_e32 v16, 0x800000, v2
	s_mov_b32 s73, exec_lo
	s_delay_alu instid0(VALU_DEP_2) | instskip(SKIP_1) | instid1(VALU_DEP_2)
	v_dual_mov_b32 v17, v3 :: v_dual_sub_nc_u32 v4, 0x71, v18
	v_cmp_gt_u32_e32 vcc_lo, 0x72, v18
	v_cndmask_b32_e32 v4, 0, v4, vcc_lo
	v_cmp_eq_u32_e32 vcc_lo, 0, v18
	s_delay_alu instid0(VALU_DEP_2) | instskip(SKIP_1) | instid1(VALU_DEP_2)
	v_cndmask_b32_e64 v22, v4, 0x70, vcc_lo
	v_cndmask_b32_e32 v16, v16, v2, vcc_lo
	v_dual_add_nc_u32 v4, 21, v22 :: v_dual_add_nc_u32 v23, 20, v22
	s_delay_alu instid0(VALU_DEP_1) | instskip(NEXT) | instid1(VALU_DEP_2)
	v_lshlrev_b64_e64 v[4:5], v4, -1
	v_lshlrev_b64_e64 v[100:101], v23, 1
	s_delay_alu instid0(VALU_DEP_2) | instskip(NEXT) | instid1(VALU_DEP_3)
	v_bfi_b32 v103, v5, 0, 0
	v_bfi_b32 v102, v4, 0, v16
	v_lshrrev_b64 v[4:5], v22, v[16:17]
	s_delay_alu instid0(VALU_DEP_1) | instskip(NEXT) | instid1(VALU_DEP_3)
	v_mov_b64_e32 v[16:17], v[4:5]
	v_cmpx_eq_u64_e64 v[102:103], v[100:101]
; %bb.3807:                             ;   in Loop: Header=BB4_3183 Depth=3
	v_bfe_u32 v16, v4, 21, 1
	v_mov_b32_e32 v17, v3
	s_delay_alu instid0(VALU_DEP_1) | instskip(NEXT) | instid1(VALU_DEP_1)
	v_add_nc_u64_e32 v[16:17], v[4:5], v[16:17]
	v_add_nc_u64_e32 v[16:17], -1, v[16:17]
; %bb.3808:                             ;   in Loop: Header=BB4_3183 Depth=3
	s_or_b32 exec_lo, exec_lo, s73
	v_add_nc_u32_e32 v2, 0xffffff81, v18
	v_lshrrev_b32_e32 v5, 23, v4
	s_mov_b32 s13, exec_lo
	s_delay_alu instid0(VALU_DEP_2) | instskip(NEXT) | instid1(VALU_DEP_1)
	v_cndmask_b32_e64 v2, v2, 0xffffff82, vcc_lo
	v_add3_u32 v17, v22, v2, v5
	v_and_b32_e32 v2, 0x1fffff, v16
                                        ; implicit-def: $vgpr16
	s_delay_alu instid0(VALU_DEP_1) | instskip(NEXT) | instid1(VALU_DEP_1)
	v_dual_add_nc_u32 v18, 14, v17 :: v_dual_add_nc_u32 v2, v2, v4
                                        ; implicit-def: $vgpr4_vgpr5
	v_cmpx_ne_u32_e32 0, v18
	s_xor_b32 s13, exec_lo, s13
; %bb.3809:                             ;   in Loop: Header=BB4_3183 Depth=3
	s_delay_alu instid0(VALU_DEP_2) | instskip(SKIP_1) | instid1(VALU_DEP_1)
	v_cmp_lt_u64_e32 vcc_lo, 0xffffff, v[2:3]
	v_add_nc_u32_e32 v4, 15, v17
	v_cndmask_b32_e32 v16, v18, v4, vcc_lo
	v_cndmask_b32_e64 v4, 0, 1, vcc_lo
	s_delay_alu instid0(VALU_DEP_1)
	v_lshrrev_b64 v[4:5], v4, v[2:3]
; %bb.3810:                             ;   in Loop: Header=BB4_3183 Depth=3
	s_and_not1_saveexec_b32 s13, s13
; %bb.3811:                             ;   in Loop: Header=BB4_3183 Depth=3
	v_mov_b64_e32 v[4:5], v[2:3]
	v_bfe_u32 v16, v2, 23, 1
; %bb.3812:                             ;   in Loop: Header=BB4_3183 Depth=3
	s_or_b32 exec_lo, exec_lo, s13
	s_delay_alu instid0(VALU_DEP_2) | instskip(NEXT) | instid1(VALU_DEP_2)
	v_lshrrev_b64 v[4:5], 21, v[4:5]
	v_cmp_gt_i32_e32 vcc_lo, 32, v16
	v_min_i32_e32 v2, 31, v16
	v_cmp_eq_u32_e64 s13, 0, v16
	s_delay_alu instid0(VALU_DEP_2) | instskip(SKIP_1) | instid1(VALU_DEP_2)
	v_dual_cndmask_b32 v5, 0, v5 :: v_dual_lshlrev_b32 v2, 2, v2
	v_cndmask_b32_e32 v4, 3, v4, vcc_lo
	v_and_b32_e32 v2, 0xfc, v2
	s_delay_alu instid0(VALU_DEP_2) | instskip(NEXT) | instid1(VALU_DEP_2)
	v_cmp_eq_u64_e32 vcc_lo, 0, v[4:5]
	v_and_or_b32 v2, v4, 3, v2
	s_and_b32 s13, s13, vcc_lo
	s_delay_alu instid0(VALU_DEP_1) | instid1(SALU_CYCLE_1)
	v_cndmask_b32_e64 v2, v2, 0, s13
	s_delay_alu instid0(VALU_DEP_1)
	v_or_b32_e32 v18, v2, v19
.LBB4_3813:                             ;   in Loop: Header=BB4_3183 Depth=3
	s_or_b32 exec_lo, exec_lo, s72
                                        ; implicit-def: $vgpr19
.LBB4_3814:                             ;   in Loop: Header=BB4_3183 Depth=3
	s_and_not1_saveexec_b32 s13, s43
; %bb.3815:                             ;   in Loop: Header=BB4_3183 Depth=3
	v_or_b32_e32 v18, 0x7b, v19
; %bb.3816:                             ;   in Loop: Header=BB4_3183 Depth=3
	s_or_b32 exec_lo, exec_lo, s13
                                        ; implicit-def: $vgpr4
                                        ; implicit-def: $vgpr5
.LBB4_3817:                             ;   in Loop: Header=BB4_3183 Depth=3
	s_and_not1_saveexec_b32 s13, s42
	s_cbranch_execz .LBB4_3823
; %bb.3818:                             ;   in Loop: Header=BB4_3183 Depth=3
	s_mov_b32 s42, exec_lo
                                        ; implicit-def: $vgpr18
	v_cmpx_ne_u64_e32 0, v[2:3]
	s_xor_b32 s42, exec_lo, s42
; %bb.3819:                             ;   in Loop: Header=BB4_3183 Depth=3
	v_or_b32_e32 v18, 0x7f, v5
                                        ; implicit-def: $vgpr4
; %bb.3820:                             ;   in Loop: Header=BB4_3183 Depth=3
	s_and_not1_saveexec_b32 s42, s42
; %bb.3821:                             ;   in Loop: Header=BB4_3183 Depth=3
	v_cmp_lt_i32_e32 vcc_lo, -1, v4
	v_cndmask_b32_e32 v18, 0xfc, v113, vcc_lo
; %bb.3822:                             ;   in Loop: Header=BB4_3183 Depth=3
	s_or_b32 exec_lo, exec_lo, s42
.LBB4_3823:                             ;   in Loop: Header=BB4_3183 Depth=3
	s_delay_alu instid0(SALU_CYCLE_1) | instskip(SKIP_2) | instid1(VALU_DEP_2)
	s_or_b32 exec_lo, exec_lo, s13
	v_and_b32_e32 v4, 0xff, v12
	v_mov_b32_e32 v2, 0
	v_cmp_ne_u16_e32 vcc_lo, 0, v4
	v_mov_b32_e32 v4, 0
	s_and_saveexec_b32 s13, vcc_lo
	s_cbranch_execz .LBB4_3833
; %bb.3824:                             ;   in Loop: Header=BB4_3183 Depth=3
	v_bfe_i32 v16, v12, 0, 8
	v_bfrev_b32_e32 v4, 1
	s_mov_b32 s42, exec_lo
	s_delay_alu instid0(VALU_DEP_2)
	v_cmpx_ne_u16_e32 0xff80, v16
	s_cbranch_execz .LBB4_3832
; %bb.3825:                             ;   in Loop: Header=BB4_3183 Depth=3
	v_and_b32_e32 v4, 0x7c, v12
	v_and_b32_e32 v5, 3, v12
	s_delay_alu instid0(VALU_DEP_2) | instskip(SKIP_1) | instid1(SALU_CYCLE_1)
	v_cmp_ne_u32_e32 vcc_lo, 0x7c, v4
                                        ; implicit-def: $vgpr4
	s_and_saveexec_b32 s43, vcc_lo
	s_xor_b32 s43, exec_lo, s43
	s_cbranch_execz .LBB4_3829
; %bb.3826:                             ;   in Loop: Header=BB4_3183 Depth=3
	v_bfe_u32 v4, v12, 2, 5
	s_mov_b32 s72, exec_lo
	s_delay_alu instid0(VALU_DEP_1)
	v_cmpx_eq_u32_e32 0, v4
; %bb.3827:                             ;   in Loop: Header=BB4_3183 Depth=3
	v_clz_i32_u32_e32 v4, v5
	s_delay_alu instid0(VALU_DEP_1) | instskip(NEXT) | instid1(VALU_DEP_1)
	v_min_u32_e32 v4, 32, v4
	v_subrev_nc_u32_e32 v5, 29, v4
	v_sub_nc_u32_e32 v4, 30, v4
	s_delay_alu instid0(VALU_DEP_2) | instskip(NEXT) | instid1(VALU_DEP_1)
	v_lshlrev_b64_e32 v[16:17], v5, v[12:13]
	v_and_b32_e32 v5, 3, v16
; %bb.3828:                             ;   in Loop: Header=BB4_3183 Depth=3
	s_or_b32 exec_lo, exec_lo, s72
	v_lshlrev_b32_e32 v16, 24, v12
	s_delay_alu instid0(VALU_DEP_1) | instskip(NEXT) | instid1(VALU_DEP_1)
	v_and_b32_e32 v16, 0x80000000, v16
	v_lshl_add_u32 v4, v4, 23, v16
                                        ; implicit-def: $vgpr16
	s_delay_alu instid0(VALU_DEP_1) | instskip(NEXT) | instid1(VALU_DEP_1)
	v_lshl_or_b32 v4, v5, 21, v4
                                        ; implicit-def: $vgpr5
	v_add_nc_u32_e32 v4, 0x38000000, v4
.LBB4_3829:                             ;   in Loop: Header=BB4_3183 Depth=3
	s_and_not1_saveexec_b32 s43, s43
; %bb.3830:                             ;   in Loop: Header=BB4_3183 Depth=3
	v_cmp_lt_i16_e32 vcc_lo, -1, v16
	v_cndmask_b32_e32 v4, 0xff800000, v112, vcc_lo
	v_cmp_eq_u32_e32 vcc_lo, 0, v5
	s_delay_alu instid0(VALU_DEP_2)
	v_cndmask_b32_e32 v4, 0x7f800001, v4, vcc_lo
; %bb.3831:                             ;   in Loop: Header=BB4_3183 Depth=3
	s_or_b32 exec_lo, exec_lo, s43
.LBB4_3832:                             ;   in Loop: Header=BB4_3183 Depth=3
	s_delay_alu instid0(SALU_CYCLE_1)
	s_or_b32 exec_lo, exec_lo, s42
.LBB4_3833:                             ;   in Loop: Header=BB4_3183 Depth=3
	s_delay_alu instid0(SALU_CYCLE_1) | instskip(SKIP_3) | instid1(VALU_DEP_1)
	s_or_b32 exec_lo, exec_lo, s13
	s_wait_loadcnt 0x0
	v_and_b32_e32 v5, 0xff, v8
	s_mov_b32 s13, exec_lo
	v_cmpx_ne_u16_e32 0, v5
	s_cbranch_execz .LBB4_3843
; %bb.3834:                             ;   in Loop: Header=BB4_3183 Depth=3
	v_bfe_i32 v16, v8, 0, 8
	v_bfrev_b32_e32 v2, 1
	s_mov_b32 s42, exec_lo
	s_delay_alu instid0(VALU_DEP_2)
	v_cmpx_ne_u16_e32 0xff80, v16
	s_cbranch_execz .LBB4_3842
; %bb.3835:                             ;   in Loop: Header=BB4_3183 Depth=3
	v_and_b32_e32 v2, 0x7c, v8
	v_and_b32_e32 v5, 3, v8
	s_delay_alu instid0(VALU_DEP_2) | instskip(SKIP_1) | instid1(SALU_CYCLE_1)
	v_cmp_ne_u32_e32 vcc_lo, 0x7c, v2
                                        ; implicit-def: $vgpr2
	s_and_saveexec_b32 s43, vcc_lo
	s_xor_b32 s43, exec_lo, s43
	s_cbranch_execz .LBB4_3839
; %bb.3836:                             ;   in Loop: Header=BB4_3183 Depth=3
	v_bfe_u32 v2, v8, 2, 5
	s_mov_b32 s72, exec_lo
	s_delay_alu instid0(VALU_DEP_1)
	v_cmpx_eq_u32_e32 0, v2
; %bb.3837:                             ;   in Loop: Header=BB4_3183 Depth=3
	v_clz_i32_u32_e32 v2, v5
	s_delay_alu instid0(VALU_DEP_1) | instskip(NEXT) | instid1(VALU_DEP_1)
	v_min_u32_e32 v2, 32, v2
	v_subrev_nc_u32_e32 v5, 29, v2
	s_delay_alu instid0(VALU_DEP_1) | instskip(NEXT) | instid1(VALU_DEP_1)
	v_lshlrev_b64_e32 v[16:17], v5, v[8:9]
	v_dual_sub_nc_u32 v2, 30, v2 :: v_dual_bitop2_b32 v5, 3, v16 bitop3:0x40
; %bb.3838:                             ;   in Loop: Header=BB4_3183 Depth=3
	s_or_b32 exec_lo, exec_lo, s72
	v_lshlrev_b32_e32 v16, 24, v8
	s_delay_alu instid0(VALU_DEP_1) | instskip(NEXT) | instid1(VALU_DEP_1)
	v_and_b32_e32 v16, 0x80000000, v16
	v_lshl_add_u32 v2, v2, 23, v16
                                        ; implicit-def: $vgpr16
	s_delay_alu instid0(VALU_DEP_1) | instskip(NEXT) | instid1(VALU_DEP_1)
	v_lshl_or_b32 v2, v5, 21, v2
                                        ; implicit-def: $vgpr5
	v_add_nc_u32_e32 v2, 0x38000000, v2
.LBB4_3839:                             ;   in Loop: Header=BB4_3183 Depth=3
	s_and_not1_saveexec_b32 s43, s43
; %bb.3840:                             ;   in Loop: Header=BB4_3183 Depth=3
	v_cmp_lt_i16_e32 vcc_lo, -1, v16
	v_cndmask_b32_e32 v2, 0xff800000, v112, vcc_lo
	v_cmp_eq_u32_e32 vcc_lo, 0, v5
	s_delay_alu instid0(VALU_DEP_2)
	v_cndmask_b32_e32 v2, 0x7f800001, v2, vcc_lo
; %bb.3841:                             ;   in Loop: Header=BB4_3183 Depth=3
	s_or_b32 exec_lo, exec_lo, s43
.LBB4_3842:                             ;   in Loop: Header=BB4_3183 Depth=3
	s_delay_alu instid0(SALU_CYCLE_1)
	s_or_b32 exec_lo, exec_lo, s42
.LBB4_3843:                             ;   in Loop: Header=BB4_3183 Depth=3
	s_delay_alu instid0(SALU_CYCLE_1) | instskip(NEXT) | instid1(VALU_DEP_1)
	s_or_b32 exec_lo, exec_lo, s13
	v_dual_mul_f32 v4, v4, v2 :: v_dual_mov_b32 v17, v3
                                        ; implicit-def: $vgpr19
	s_mov_b32 s13, exec_lo
	s_delay_alu instid0(VALU_DEP_1) | instskip(SKIP_2) | instid1(VALU_DEP_3)
	v_and_b32_e32 v16, 0x7f800000, v4
	v_and_b32_e32 v2, 0x7fffff, v4
	v_lshrrev_b32_e32 v5, 24, v4
	v_cmpx_ne_u64_e32 0x7f800000, v[16:17]
	s_xor_b32 s42, exec_lo, s13
	s_cbranch_execz .LBB4_3857
; %bb.3844:                             ;   in Loop: Header=BB4_3183 Depth=3
	v_and_b32_e32 v16, 0x7fffffff, v4
	v_mov_b32_e32 v17, v3
	v_and_b32_e32 v22, 0x80, v5
                                        ; implicit-def: $vgpr19
	s_mov_b32 s13, exec_lo
	s_delay_alu instid0(VALU_DEP_2)
	v_cmpx_gt_u64_e32 0x47600001, v[16:17]
	s_xor_b32 s43, exec_lo, s13
	s_cbranch_execz .LBB4_3854
; %bb.3845:                             ;   in Loop: Header=BB4_3183 Depth=3
	v_mov_b32_e32 v19, 0
	s_mov_b32 s72, exec_lo
	v_cmpx_ne_u32_e32 0, v4
	s_cbranch_execz .LBB4_3853
; %bb.3846:                             ;   in Loop: Header=BB4_3183 Depth=3
	v_bfe_u32 v19, v4, 23, 8
	v_or_b32_e32 v5, 0x800000, v2
	s_delay_alu instid0(VALU_DEP_2) | instskip(SKIP_2) | instid1(VALU_DEP_2)
	v_cmp_gt_u32_e64 s13, 0x72, v19
	v_sub_nc_u32_e32 v4, 0x71, v19
	v_cmp_eq_u32_e32 vcc_lo, 0, v19
	v_cndmask_b32_e64 v4, 0, v4, s13
	s_delay_alu instid0(VALU_DEP_1) | instskip(SKIP_1) | instid1(VALU_DEP_2)
	v_cndmask_b32_e64 v23, v4, 0x70, vcc_lo
	v_dual_cndmask_b32 v4, v5, v2 :: v_dual_mov_b32 v5, v3
	v_add_nc_u32_e32 v2, 21, v23
	s_delay_alu instid0(VALU_DEP_1) | instskip(SKIP_1) | instid1(VALU_DEP_1)
	v_lshlrev_b64_e64 v[16:17], v2, -1
	v_add_nc_u32_e32 v2, 20, v23
	v_lshlrev_b64_e64 v[100:101], v2, 1
	s_delay_alu instid0(VALU_DEP_3) | instskip(SKIP_2) | instid1(VALU_DEP_1)
	v_bfi_b32 v16, v16, 0, v4
	v_lshrrev_b64 v[4:5], v23, v[4:5]
	v_bfi_b32 v17, v17, 0, 0
	v_cmp_eq_u64_e64 s13, v[16:17], v[100:101]
	s_delay_alu instid0(VALU_DEP_3)
	v_mov_b64_e32 v[16:17], v[4:5]
	s_and_saveexec_b32 s73, s13
; %bb.3847:                             ;   in Loop: Header=BB4_3183 Depth=3
	v_bfe_u32 v16, v4, 21, 1
	v_mov_b32_e32 v17, v3
	s_delay_alu instid0(VALU_DEP_1) | instskip(NEXT) | instid1(VALU_DEP_1)
	v_add_nc_u64_e32 v[16:17], v[4:5], v[16:17]
	v_add_nc_u64_e32 v[16:17], -1, v[16:17]
; %bb.3848:                             ;   in Loop: Header=BB4_3183 Depth=3
	s_or_b32 exec_lo, exec_lo, s73
	v_add_nc_u32_e32 v2, 0xffffff81, v19
	v_lshrrev_b32_e32 v5, 23, v4
	s_mov_b32 s13, exec_lo
	s_delay_alu instid0(VALU_DEP_2) | instskip(NEXT) | instid1(VALU_DEP_1)
	v_cndmask_b32_e64 v2, v2, 0xffffff82, vcc_lo
	v_add3_u32 v17, v23, v2, v5
	v_and_b32_e32 v2, 0x1fffff, v16
                                        ; implicit-def: $vgpr16
	s_delay_alu instid0(VALU_DEP_1) | instskip(NEXT) | instid1(VALU_DEP_1)
	v_dual_add_nc_u32 v19, 14, v17 :: v_dual_add_nc_u32 v2, v2, v4
                                        ; implicit-def: $vgpr4_vgpr5
	v_cmpx_ne_u32_e32 0, v19
	s_xor_b32 s13, exec_lo, s13
; %bb.3849:                             ;   in Loop: Header=BB4_3183 Depth=3
	s_delay_alu instid0(VALU_DEP_2) | instskip(SKIP_1) | instid1(VALU_DEP_1)
	v_cmp_lt_u64_e32 vcc_lo, 0xffffff, v[2:3]
	v_add_nc_u32_e32 v4, 15, v17
	v_cndmask_b32_e32 v16, v19, v4, vcc_lo
	v_cndmask_b32_e64 v4, 0, 1, vcc_lo
	s_delay_alu instid0(VALU_DEP_1)
	v_lshrrev_b64 v[4:5], v4, v[2:3]
; %bb.3850:                             ;   in Loop: Header=BB4_3183 Depth=3
	s_and_not1_saveexec_b32 s13, s13
; %bb.3851:                             ;   in Loop: Header=BB4_3183 Depth=3
	v_mov_b64_e32 v[4:5], v[2:3]
	v_bfe_u32 v16, v2, 23, 1
; %bb.3852:                             ;   in Loop: Header=BB4_3183 Depth=3
	s_or_b32 exec_lo, exec_lo, s13
	s_delay_alu instid0(VALU_DEP_2) | instskip(NEXT) | instid1(VALU_DEP_2)
	v_lshrrev_b64 v[4:5], 21, v[4:5]
	v_cmp_gt_i32_e32 vcc_lo, 32, v16
	v_min_i32_e32 v2, 31, v16
	v_cmp_eq_u32_e64 s13, 0, v16
	s_delay_alu instid0(VALU_DEP_2) | instskip(SKIP_1) | instid1(VALU_DEP_2)
	v_dual_cndmask_b32 v5, 0, v5 :: v_dual_lshlrev_b32 v2, 2, v2
	v_cndmask_b32_e32 v4, 3, v4, vcc_lo
	v_and_b32_e32 v2, 0xfc, v2
	s_delay_alu instid0(VALU_DEP_2) | instskip(NEXT) | instid1(VALU_DEP_2)
	v_cmp_eq_u64_e32 vcc_lo, 0, v[4:5]
	v_and_or_b32 v2, v4, 3, v2
	s_and_b32 s13, s13, vcc_lo
	s_delay_alu instid0(VALU_DEP_1) | instid1(SALU_CYCLE_1)
	v_cndmask_b32_e64 v2, v2, 0, s13
	s_delay_alu instid0(VALU_DEP_1)
	v_or_b32_e32 v19, v2, v22
.LBB4_3853:                             ;   in Loop: Header=BB4_3183 Depth=3
	s_or_b32 exec_lo, exec_lo, s72
                                        ; implicit-def: $vgpr22
.LBB4_3854:                             ;   in Loop: Header=BB4_3183 Depth=3
	s_and_not1_saveexec_b32 s13, s43
; %bb.3855:                             ;   in Loop: Header=BB4_3183 Depth=3
	v_or_b32_e32 v19, 0x7b, v22
; %bb.3856:                             ;   in Loop: Header=BB4_3183 Depth=3
	s_or_b32 exec_lo, exec_lo, s13
                                        ; implicit-def: $vgpr4
                                        ; implicit-def: $vgpr5
.LBB4_3857:                             ;   in Loop: Header=BB4_3183 Depth=3
	s_and_not1_saveexec_b32 s13, s42
	s_cbranch_execz .LBB4_3863
; %bb.3858:                             ;   in Loop: Header=BB4_3183 Depth=3
	s_mov_b32 s42, exec_lo
                                        ; implicit-def: $vgpr19
	v_cmpx_ne_u64_e32 0, v[2:3]
	s_xor_b32 s42, exec_lo, s42
; %bb.3859:                             ;   in Loop: Header=BB4_3183 Depth=3
	v_or_b32_e32 v19, 0x7f, v5
                                        ; implicit-def: $vgpr4
; %bb.3860:                             ;   in Loop: Header=BB4_3183 Depth=3
	s_and_not1_saveexec_b32 s42, s42
; %bb.3861:                             ;   in Loop: Header=BB4_3183 Depth=3
	v_cmp_lt_i32_e32 vcc_lo, -1, v4
	v_cndmask_b32_e32 v19, 0xfc, v113, vcc_lo
; %bb.3862:                             ;   in Loop: Header=BB4_3183 Depth=3
	s_or_b32 exec_lo, exec_lo, s42
.LBB4_3863:                             ;   in Loop: Header=BB4_3183 Depth=3
	s_delay_alu instid0(SALU_CYCLE_1) | instskip(SKIP_3) | instid1(VALU_DEP_2)
	s_or_b32 exec_lo, exec_lo, s13
	v_lshrrev_b16 v4, 8, v12
	v_dual_mov_b32 v2, 0 :: v_dual_mov_b32 v16, 0
	s_mov_b32 s13, exec_lo
	v_cmpx_ne_u16_e32 0, v4
	s_cbranch_execz .LBB4_3873
; %bb.3864:                             ;   in Loop: Header=BB4_3183 Depth=3
	v_bfrev_b32_e32 v16, 1
	s_mov_b32 s42, exec_lo
	v_cmpx_ne_u16_e32 0x80, v4
	s_cbranch_execz .LBB4_3872
; %bb.3865:                             ;   in Loop: Header=BB4_3183 Depth=3
	v_and_b32_e32 v17, 0xffff, v4
	s_delay_alu instid0(VALU_DEP_1) | instskip(SKIP_1) | instid1(VALU_DEP_2)
	v_and_b32_e32 v16, 0x7c, v17
	v_and_b32_e32 v5, 3, v17
	v_cmp_ne_u32_e32 vcc_lo, 0x7c, v16
                                        ; implicit-def: $vgpr16
	s_and_saveexec_b32 s43, vcc_lo
	s_delay_alu instid0(SALU_CYCLE_1)
	s_xor_b32 s43, exec_lo, s43
	s_cbranch_execz .LBB4_3869
; %bb.3866:                             ;   in Loop: Header=BB4_3183 Depth=3
	v_bfe_u32 v16, v17, 2, 5
	s_mov_b32 s72, exec_lo
	s_delay_alu instid0(VALU_DEP_1)
	v_cmpx_eq_u32_e32 0, v16
	s_cbranch_execz .LBB4_3868
; %bb.3867:                             ;   in Loop: Header=BB4_3183 Depth=3
	v_clz_i32_u32_e32 v5, v5
	s_delay_alu instid0(VALU_DEP_1) | instskip(SKIP_1) | instid1(VALU_DEP_2)
	v_min_u32_e32 v16, 32, v5
	v_mov_b32_e32 v5, v3
	v_subrev_nc_u32_e32 v17, 29, v16
	v_sub_nc_u32_e32 v16, 30, v16
	s_delay_alu instid0(VALU_DEP_2) | instskip(NEXT) | instid1(VALU_DEP_1)
	v_lshlrev_b64_e32 v[4:5], v17, v[4:5]
	v_and_b32_e32 v5, 3, v4
.LBB4_3868:                             ;   in Loop: Header=BB4_3183 Depth=3
	s_or_b32 exec_lo, exec_lo, s72
	v_lshlrev_b32_e32 v4, 16, v12
	s_delay_alu instid0(VALU_DEP_1) | instskip(NEXT) | instid1(VALU_DEP_1)
	v_and_b32_e32 v4, 0x80000000, v4
	v_lshl_add_u32 v4, v16, 23, v4
	s_delay_alu instid0(VALU_DEP_1) | instskip(NEXT) | instid1(VALU_DEP_1)
	v_lshl_or_b32 v4, v5, 21, v4
                                        ; implicit-def: $vgpr5
	v_add_nc_u32_e32 v16, 0x38000000, v4
.LBB4_3869:                             ;   in Loop: Header=BB4_3183 Depth=3
	s_and_not1_saveexec_b32 s43, s43
; %bb.3870:                             ;   in Loop: Header=BB4_3183 Depth=3
	v_cmp_lt_i16_e32 vcc_lo, -1, v12
	v_cndmask_b32_e32 v4, 0xff800000, v112, vcc_lo
	v_cmp_eq_u32_e32 vcc_lo, 0, v5
	s_delay_alu instid0(VALU_DEP_2)
	v_cndmask_b32_e32 v16, 0x7f800001, v4, vcc_lo
; %bb.3871:                             ;   in Loop: Header=BB4_3183 Depth=3
	s_or_b32 exec_lo, exec_lo, s43
.LBB4_3872:                             ;   in Loop: Header=BB4_3183 Depth=3
	s_delay_alu instid0(SALU_CYCLE_1)
	s_or_b32 exec_lo, exec_lo, s42
.LBB4_3873:                             ;   in Loop: Header=BB4_3183 Depth=3
	s_delay_alu instid0(SALU_CYCLE_1) | instskip(SKIP_2) | instid1(VALU_DEP_1)
	s_or_b32 exec_lo, exec_lo, s13
	v_lshrrev_b16 v4, 8, v8
	s_mov_b32 s13, exec_lo
	v_cmpx_ne_u16_e32 0, v4
	s_cbranch_execz .LBB4_3883
; %bb.3874:                             ;   in Loop: Header=BB4_3183 Depth=3
	v_bfrev_b32_e32 v2, 1
	s_mov_b32 s42, exec_lo
	v_cmpx_ne_u16_e32 0x80, v4
	s_cbranch_execz .LBB4_3882
; %bb.3875:                             ;   in Loop: Header=BB4_3183 Depth=3
	v_and_b32_e32 v17, 0xffff, v4
	s_delay_alu instid0(VALU_DEP_1) | instskip(SKIP_1) | instid1(VALU_DEP_2)
	v_and_b32_e32 v2, 0x7c, v17
	v_and_b32_e32 v5, 3, v17
	v_cmp_ne_u32_e32 vcc_lo, 0x7c, v2
                                        ; implicit-def: $vgpr2
	s_and_saveexec_b32 s43, vcc_lo
	s_delay_alu instid0(SALU_CYCLE_1)
	s_xor_b32 s43, exec_lo, s43
	s_cbranch_execz .LBB4_3879
; %bb.3876:                             ;   in Loop: Header=BB4_3183 Depth=3
	v_bfe_u32 v2, v17, 2, 5
	s_mov_b32 s72, exec_lo
	s_delay_alu instid0(VALU_DEP_1)
	v_cmpx_eq_u32_e32 0, v2
	s_cbranch_execz .LBB4_3878
; %bb.3877:                             ;   in Loop: Header=BB4_3183 Depth=3
	v_clz_i32_u32_e32 v2, v5
	s_delay_alu instid0(VALU_DEP_1) | instskip(SKIP_1) | instid1(VALU_DEP_2)
	v_min_u32_e32 v2, 32, v2
	v_mov_b32_e32 v5, v3
	v_subrev_nc_u32_e32 v17, 29, v2
	v_sub_nc_u32_e32 v2, 30, v2
	s_delay_alu instid0(VALU_DEP_2) | instskip(NEXT) | instid1(VALU_DEP_1)
	v_lshlrev_b64_e32 v[4:5], v17, v[4:5]
	v_and_b32_e32 v5, 3, v4
.LBB4_3878:                             ;   in Loop: Header=BB4_3183 Depth=3
	s_or_b32 exec_lo, exec_lo, s72
	v_lshlrev_b32_e32 v4, 16, v8
	s_delay_alu instid0(VALU_DEP_1) | instskip(NEXT) | instid1(VALU_DEP_1)
	v_and_b32_e32 v4, 0x80000000, v4
	v_lshl_add_u32 v2, v2, 23, v4
	s_delay_alu instid0(VALU_DEP_1) | instskip(NEXT) | instid1(VALU_DEP_1)
	v_lshl_or_b32 v2, v5, 21, v2
                                        ; implicit-def: $vgpr5
	v_add_nc_u32_e32 v2, 0x38000000, v2
.LBB4_3879:                             ;   in Loop: Header=BB4_3183 Depth=3
	s_and_not1_saveexec_b32 s43, s43
; %bb.3880:                             ;   in Loop: Header=BB4_3183 Depth=3
	v_cmp_lt_i16_e32 vcc_lo, -1, v8
	v_cndmask_b32_e32 v2, 0xff800000, v112, vcc_lo
	v_cmp_eq_u32_e32 vcc_lo, 0, v5
	s_delay_alu instid0(VALU_DEP_2)
	v_cndmask_b32_e32 v2, 0x7f800001, v2, vcc_lo
; %bb.3881:                             ;   in Loop: Header=BB4_3183 Depth=3
	s_or_b32 exec_lo, exec_lo, s43
.LBB4_3882:                             ;   in Loop: Header=BB4_3183 Depth=3
	s_delay_alu instid0(SALU_CYCLE_1)
	s_or_b32 exec_lo, exec_lo, s42
.LBB4_3883:                             ;   in Loop: Header=BB4_3183 Depth=3
	s_delay_alu instid0(SALU_CYCLE_1) | instskip(NEXT) | instid1(VALU_DEP_1)
	s_or_b32 exec_lo, exec_lo, s13
	v_dual_mul_f32 v4, v16, v2 :: v_dual_mov_b32 v17, v3
                                        ; implicit-def: $vgpr22
	s_mov_b32 s13, exec_lo
	s_delay_alu instid0(VALU_DEP_1) | instskip(SKIP_2) | instid1(VALU_DEP_3)
	v_and_b32_e32 v16, 0x7f800000, v4
	v_and_b32_e32 v2, 0x7fffff, v4
	v_lshrrev_b32_e32 v5, 24, v4
	v_cmpx_ne_u64_e32 0x7f800000, v[16:17]
	s_xor_b32 s42, exec_lo, s13
	s_cbranch_execz .LBB4_3897
; %bb.3884:                             ;   in Loop: Header=BB4_3183 Depth=3
	v_and_b32_e32 v16, 0x7fffffff, v4
	v_mov_b32_e32 v17, v3
	v_and_b32_e32 v23, 0x80, v5
                                        ; implicit-def: $vgpr22
	s_mov_b32 s13, exec_lo
	s_delay_alu instid0(VALU_DEP_2)
	v_cmpx_gt_u64_e32 0x47600001, v[16:17]
	s_xor_b32 s43, exec_lo, s13
	s_cbranch_execz .LBB4_3894
; %bb.3885:                             ;   in Loop: Header=BB4_3183 Depth=3
	v_mov_b32_e32 v22, 0
	s_mov_b32 s72, exec_lo
	v_cmpx_ne_u32_e32 0, v4
	s_cbranch_execz .LBB4_3893
; %bb.3886:                             ;   in Loop: Header=BB4_3183 Depth=3
	v_bfe_u32 v22, v4, 23, 8
	v_or_b32_e32 v5, 0x800000, v2
	s_delay_alu instid0(VALU_DEP_2) | instskip(SKIP_2) | instid1(VALU_DEP_2)
	v_cmp_gt_u32_e64 s13, 0x72, v22
	v_sub_nc_u32_e32 v4, 0x71, v22
	v_cmp_eq_u32_e32 vcc_lo, 0, v22
	v_cndmask_b32_e64 v4, 0, v4, s13
	s_delay_alu instid0(VALU_DEP_1) | instskip(SKIP_1) | instid1(VALU_DEP_2)
	v_cndmask_b32_e64 v100, v4, 0x70, vcc_lo
	v_dual_cndmask_b32 v4, v5, v2 :: v_dual_mov_b32 v5, v3
	v_add_nc_u32_e32 v2, 21, v100
	s_delay_alu instid0(VALU_DEP_1) | instskip(SKIP_1) | instid1(VALU_DEP_1)
	v_lshlrev_b64_e64 v[16:17], v2, -1
	v_add_nc_u32_e32 v2, 20, v100
	v_lshlrev_b64_e64 v[102:103], v2, 1
	s_delay_alu instid0(VALU_DEP_3) | instskip(SKIP_2) | instid1(VALU_DEP_1)
	v_bfi_b32 v16, v16, 0, v4
	v_lshrrev_b64 v[4:5], v100, v[4:5]
	v_bfi_b32 v17, v17, 0, 0
	v_cmp_eq_u64_e64 s13, v[16:17], v[102:103]
	s_delay_alu instid0(VALU_DEP_3)
	v_mov_b64_e32 v[16:17], v[4:5]
	s_and_saveexec_b32 s73, s13
; %bb.3887:                             ;   in Loop: Header=BB4_3183 Depth=3
	v_bfe_u32 v16, v4, 21, 1
	v_mov_b32_e32 v17, v3
	s_delay_alu instid0(VALU_DEP_1) | instskip(NEXT) | instid1(VALU_DEP_1)
	v_add_nc_u64_e32 v[16:17], v[4:5], v[16:17]
	v_add_nc_u64_e32 v[16:17], -1, v[16:17]
; %bb.3888:                             ;   in Loop: Header=BB4_3183 Depth=3
	s_or_b32 exec_lo, exec_lo, s73
	v_add_nc_u32_e32 v2, 0xffffff81, v22
	v_lshrrev_b32_e32 v5, 23, v4
	s_mov_b32 s13, exec_lo
	s_delay_alu instid0(VALU_DEP_2) | instskip(NEXT) | instid1(VALU_DEP_1)
	v_cndmask_b32_e64 v2, v2, 0xffffff82, vcc_lo
	v_add3_u32 v17, v100, v2, v5
	v_and_b32_e32 v2, 0x1fffff, v16
                                        ; implicit-def: $vgpr16
	s_delay_alu instid0(VALU_DEP_1) | instskip(NEXT) | instid1(VALU_DEP_1)
	v_dual_add_nc_u32 v22, 14, v17 :: v_dual_add_nc_u32 v2, v2, v4
                                        ; implicit-def: $vgpr4_vgpr5
	v_cmpx_ne_u32_e32 0, v22
	s_xor_b32 s13, exec_lo, s13
; %bb.3889:                             ;   in Loop: Header=BB4_3183 Depth=3
	s_delay_alu instid0(VALU_DEP_2) | instskip(SKIP_1) | instid1(VALU_DEP_1)
	v_cmp_lt_u64_e32 vcc_lo, 0xffffff, v[2:3]
	v_add_nc_u32_e32 v4, 15, v17
	v_cndmask_b32_e32 v16, v22, v4, vcc_lo
	v_cndmask_b32_e64 v4, 0, 1, vcc_lo
	s_delay_alu instid0(VALU_DEP_1)
	v_lshrrev_b64 v[4:5], v4, v[2:3]
; %bb.3890:                             ;   in Loop: Header=BB4_3183 Depth=3
	s_and_not1_saveexec_b32 s13, s13
; %bb.3891:                             ;   in Loop: Header=BB4_3183 Depth=3
	v_mov_b64_e32 v[4:5], v[2:3]
	v_bfe_u32 v16, v2, 23, 1
; %bb.3892:                             ;   in Loop: Header=BB4_3183 Depth=3
	s_or_b32 exec_lo, exec_lo, s13
	s_delay_alu instid0(VALU_DEP_2) | instskip(NEXT) | instid1(VALU_DEP_2)
	v_lshrrev_b64 v[4:5], 21, v[4:5]
	v_cmp_gt_i32_e32 vcc_lo, 32, v16
	v_min_i32_e32 v2, 31, v16
	v_cmp_eq_u32_e64 s13, 0, v16
	s_delay_alu instid0(VALU_DEP_2) | instskip(SKIP_1) | instid1(VALU_DEP_2)
	v_dual_cndmask_b32 v5, 0, v5 :: v_dual_lshlrev_b32 v2, 2, v2
	v_cndmask_b32_e32 v4, 3, v4, vcc_lo
	v_and_b32_e32 v2, 0xfc, v2
	s_delay_alu instid0(VALU_DEP_2) | instskip(NEXT) | instid1(VALU_DEP_2)
	v_cmp_eq_u64_e32 vcc_lo, 0, v[4:5]
	v_and_or_b32 v2, v4, 3, v2
	s_and_b32 s13, s13, vcc_lo
	s_delay_alu instid0(VALU_DEP_1) | instid1(SALU_CYCLE_1)
	v_cndmask_b32_e64 v2, v2, 0, s13
	s_delay_alu instid0(VALU_DEP_1)
	v_or_b32_e32 v22, v2, v23
.LBB4_3893:                             ;   in Loop: Header=BB4_3183 Depth=3
	s_or_b32 exec_lo, exec_lo, s72
                                        ; implicit-def: $vgpr23
.LBB4_3894:                             ;   in Loop: Header=BB4_3183 Depth=3
	s_and_not1_saveexec_b32 s13, s43
; %bb.3895:                             ;   in Loop: Header=BB4_3183 Depth=3
	v_or_b32_e32 v22, 0x7b, v23
; %bb.3896:                             ;   in Loop: Header=BB4_3183 Depth=3
	s_or_b32 exec_lo, exec_lo, s13
                                        ; implicit-def: $vgpr4
                                        ; implicit-def: $vgpr5
.LBB4_3897:                             ;   in Loop: Header=BB4_3183 Depth=3
	s_and_not1_saveexec_b32 s13, s42
	s_cbranch_execz .LBB4_3903
; %bb.3898:                             ;   in Loop: Header=BB4_3183 Depth=3
	s_mov_b32 s42, exec_lo
                                        ; implicit-def: $vgpr22
	v_cmpx_ne_u64_e32 0, v[2:3]
	s_xor_b32 s42, exec_lo, s42
; %bb.3899:                             ;   in Loop: Header=BB4_3183 Depth=3
	v_or_b32_e32 v22, 0x7f, v5
                                        ; implicit-def: $vgpr4
; %bb.3900:                             ;   in Loop: Header=BB4_3183 Depth=3
	s_and_not1_saveexec_b32 s42, s42
; %bb.3901:                             ;   in Loop: Header=BB4_3183 Depth=3
	v_cmp_lt_i32_e32 vcc_lo, -1, v4
	v_cndmask_b32_e32 v22, 0xfc, v113, vcc_lo
; %bb.3902:                             ;   in Loop: Header=BB4_3183 Depth=3
	s_or_b32 exec_lo, exec_lo, s42
.LBB4_3903:                             ;   in Loop: Header=BB4_3183 Depth=3
	s_delay_alu instid0(SALU_CYCLE_1) | instskip(SKIP_3) | instid1(VALU_DEP_2)
	s_or_b32 exec_lo, exec_lo, s13
	v_dual_lshrrev_b32 v2, 16, v12 :: v_dual_mov_b32 v4, 0
	v_mov_b32_e32 v5, 0
	s_mov_b32 s13, exec_lo
	v_and_b32_e32 v16, 0xff, v2
	s_delay_alu instid0(VALU_DEP_1)
	v_cmpx_ne_u16_e32 0, v16
	s_cbranch_execz .LBB4_3913
; %bb.3904:                             ;   in Loop: Header=BB4_3183 Depth=3
	v_bfrev_b32_e32 v5, 1
	s_mov_b32 s42, exec_lo
	v_cmpx_ne_u16_e32 0x80, v16
	s_cbranch_execz .LBB4_3912
; %bb.3905:                             ;   in Loop: Header=BB4_3183 Depth=3
	v_and_b32_e32 v5, 0x7c0000, v12
	v_bfe_u32 v16, v12, 16, 2
	s_delay_alu instid0(VALU_DEP_2) | instskip(SKIP_1) | instid1(SALU_CYCLE_1)
	v_cmp_ne_u32_e32 vcc_lo, 0x7c0000, v5
                                        ; implicit-def: $vgpr5
	s_and_saveexec_b32 s43, vcc_lo
	s_xor_b32 s43, exec_lo, s43
	s_cbranch_execz .LBB4_3909
; %bb.3906:                             ;   in Loop: Header=BB4_3183 Depth=3
	v_bfe_u32 v5, v12, 18, 5
	s_mov_b32 s72, exec_lo
	s_delay_alu instid0(VALU_DEP_1)
	v_cmpx_eq_u32_e32 0, v5
; %bb.3907:                             ;   in Loop: Header=BB4_3183 Depth=3
	v_clz_i32_u32_e32 v5, v16
	s_delay_alu instid0(VALU_DEP_1) | instskip(NEXT) | instid1(VALU_DEP_1)
	v_min_u32_e32 v5, 32, v5
	v_subrev_nc_u32_e32 v16, 29, v5
	s_delay_alu instid0(VALU_DEP_1) | instskip(NEXT) | instid1(VALU_DEP_1)
	v_lshlrev_b64_e32 v[16:17], v16, v[2:3]
	v_dual_sub_nc_u32 v5, 30, v5 :: v_dual_bitop2_b32 v16, 3, v16 bitop3:0x40
; %bb.3908:                             ;   in Loop: Header=BB4_3183 Depth=3
	s_or_b32 exec_lo, exec_lo, s72
	v_lshlrev_b32_e32 v2, 24, v2
	s_delay_alu instid0(VALU_DEP_1) | instskip(NEXT) | instid1(VALU_DEP_1)
	v_and_b32_e32 v2, 0x80000000, v2
	v_lshl_add_u32 v2, v5, 23, v2
	s_delay_alu instid0(VALU_DEP_1) | instskip(NEXT) | instid1(VALU_DEP_1)
	v_lshl_or_b32 v2, v16, 21, v2
                                        ; implicit-def: $vgpr16
	v_add_nc_u32_e32 v5, 0x38000000, v2
                                        ; implicit-def: $vgpr2
.LBB4_3909:                             ;   in Loop: Header=BB4_3183 Depth=3
	s_and_not1_saveexec_b32 s43, s43
; %bb.3910:                             ;   in Loop: Header=BB4_3183 Depth=3
	v_bfe_i32 v2, v2, 0, 8
	s_delay_alu instid0(VALU_DEP_1) | instskip(SKIP_2) | instid1(VALU_DEP_2)
	v_cmp_lt_i16_e32 vcc_lo, -1, v2
	v_cndmask_b32_e32 v2, 0xff800000, v112, vcc_lo
	v_cmp_eq_u32_e32 vcc_lo, 0, v16
	v_cndmask_b32_e32 v5, 0x7f800001, v2, vcc_lo
; %bb.3911:                             ;   in Loop: Header=BB4_3183 Depth=3
	s_or_b32 exec_lo, exec_lo, s43
.LBB4_3912:                             ;   in Loop: Header=BB4_3183 Depth=3
	s_delay_alu instid0(SALU_CYCLE_1)
	s_or_b32 exec_lo, exec_lo, s42
.LBB4_3913:                             ;   in Loop: Header=BB4_3183 Depth=3
	s_delay_alu instid0(SALU_CYCLE_1) | instskip(SKIP_2) | instid1(VALU_DEP_1)
	s_or_b32 exec_lo, exec_lo, s13
	v_lshrrev_b32_e32 v2, 16, v8
	s_mov_b32 s13, exec_lo
	v_and_b32_e32 v16, 0xff, v2
	s_delay_alu instid0(VALU_DEP_1)
	v_cmpx_ne_u16_e32 0, v16
	s_cbranch_execz .LBB4_3923
; %bb.3914:                             ;   in Loop: Header=BB4_3183 Depth=3
	v_bfrev_b32_e32 v4, 1
	s_mov_b32 s42, exec_lo
	v_cmpx_ne_u16_e32 0x80, v16
	s_cbranch_execz .LBB4_3922
; %bb.3915:                             ;   in Loop: Header=BB4_3183 Depth=3
	v_and_b32_e32 v4, 0x7c0000, v8
	v_bfe_u32 v16, v8, 16, 2
	s_delay_alu instid0(VALU_DEP_2) | instskip(SKIP_1) | instid1(SALU_CYCLE_1)
	v_cmp_ne_u32_e32 vcc_lo, 0x7c0000, v4
                                        ; implicit-def: $vgpr4
	s_and_saveexec_b32 s43, vcc_lo
	s_xor_b32 s43, exec_lo, s43
	s_cbranch_execz .LBB4_3919
; %bb.3916:                             ;   in Loop: Header=BB4_3183 Depth=3
	v_bfe_u32 v4, v8, 18, 5
	s_mov_b32 s72, exec_lo
	s_delay_alu instid0(VALU_DEP_1)
	v_cmpx_eq_u32_e32 0, v4
; %bb.3917:                             ;   in Loop: Header=BB4_3183 Depth=3
	v_clz_i32_u32_e32 v4, v16
	s_delay_alu instid0(VALU_DEP_1) | instskip(NEXT) | instid1(VALU_DEP_1)
	v_min_u32_e32 v4, 32, v4
	v_subrev_nc_u32_e32 v16, 29, v4
	v_sub_nc_u32_e32 v4, 30, v4
	s_delay_alu instid0(VALU_DEP_2) | instskip(NEXT) | instid1(VALU_DEP_1)
	v_lshlrev_b64_e32 v[16:17], v16, v[2:3]
	v_and_b32_e32 v16, 3, v16
; %bb.3918:                             ;   in Loop: Header=BB4_3183 Depth=3
	s_or_b32 exec_lo, exec_lo, s72
	v_lshlrev_b32_e32 v2, 24, v2
	s_delay_alu instid0(VALU_DEP_1) | instskip(NEXT) | instid1(VALU_DEP_1)
	v_and_b32_e32 v2, 0x80000000, v2
	v_lshl_add_u32 v2, v4, 23, v2
	s_delay_alu instid0(VALU_DEP_1) | instskip(NEXT) | instid1(VALU_DEP_1)
	v_lshl_or_b32 v2, v16, 21, v2
                                        ; implicit-def: $vgpr16
	v_add_nc_u32_e32 v4, 0x38000000, v2
                                        ; implicit-def: $vgpr2
.LBB4_3919:                             ;   in Loop: Header=BB4_3183 Depth=3
	s_and_not1_saveexec_b32 s43, s43
; %bb.3920:                             ;   in Loop: Header=BB4_3183 Depth=3
	v_bfe_i32 v2, v2, 0, 8
	s_delay_alu instid0(VALU_DEP_1) | instskip(SKIP_2) | instid1(VALU_DEP_2)
	v_cmp_lt_i16_e32 vcc_lo, -1, v2
	v_cndmask_b32_e32 v2, 0xff800000, v112, vcc_lo
	v_cmp_eq_u32_e32 vcc_lo, 0, v16
	v_cndmask_b32_e32 v4, 0x7f800001, v2, vcc_lo
; %bb.3921:                             ;   in Loop: Header=BB4_3183 Depth=3
	s_or_b32 exec_lo, exec_lo, s43
.LBB4_3922:                             ;   in Loop: Header=BB4_3183 Depth=3
	s_delay_alu instid0(SALU_CYCLE_1)
	s_or_b32 exec_lo, exec_lo, s42
.LBB4_3923:                             ;   in Loop: Header=BB4_3183 Depth=3
	s_delay_alu instid0(SALU_CYCLE_1) | instskip(NEXT) | instid1(VALU_DEP_1)
	s_or_b32 exec_lo, exec_lo, s13
	v_dual_mul_f32 v4, v5, v4 :: v_dual_mov_b32 v17, v3
                                        ; implicit-def: $vgpr23
	s_mov_b32 s13, exec_lo
	s_delay_alu instid0(VALU_DEP_1) | instskip(SKIP_2) | instid1(VALU_DEP_3)
	v_and_b32_e32 v16, 0x7f800000, v4
	v_and_b32_e32 v2, 0x7fffff, v4
	v_lshrrev_b32_e32 v5, 24, v4
	v_cmpx_ne_u64_e32 0x7f800000, v[16:17]
	s_xor_b32 s42, exec_lo, s13
	s_cbranch_execz .LBB4_3937
; %bb.3924:                             ;   in Loop: Header=BB4_3183 Depth=3
	v_and_b32_e32 v16, 0x7fffffff, v4
	v_mov_b32_e32 v17, v3
	v_and_b32_e32 v100, 0x80, v5
                                        ; implicit-def: $vgpr23
	s_mov_b32 s13, exec_lo
	s_delay_alu instid0(VALU_DEP_2)
	v_cmpx_gt_u64_e32 0x47600001, v[16:17]
	s_xor_b32 s43, exec_lo, s13
	s_cbranch_execz .LBB4_3934
; %bb.3925:                             ;   in Loop: Header=BB4_3183 Depth=3
	v_mov_b32_e32 v23, 0
	s_mov_b32 s72, exec_lo
	v_cmpx_ne_u32_e32 0, v4
	s_cbranch_execz .LBB4_3933
; %bb.3926:                             ;   in Loop: Header=BB4_3183 Depth=3
	v_bfe_u32 v23, v4, 23, 8
	v_or_b32_e32 v5, 0x800000, v2
	s_delay_alu instid0(VALU_DEP_2) | instskip(SKIP_2) | instid1(VALU_DEP_2)
	v_cmp_gt_u32_e64 s13, 0x72, v23
	v_sub_nc_u32_e32 v4, 0x71, v23
	v_cmp_eq_u32_e32 vcc_lo, 0, v23
	v_cndmask_b32_e64 v4, 0, v4, s13
	s_delay_alu instid0(VALU_DEP_1) | instskip(SKIP_1) | instid1(VALU_DEP_2)
	v_cndmask_b32_e64 v101, v4, 0x70, vcc_lo
	v_dual_cndmask_b32 v4, v5, v2 :: v_dual_mov_b32 v5, v3
	v_add_nc_u32_e32 v2, 21, v101
	s_delay_alu instid0(VALU_DEP_1) | instskip(SKIP_1) | instid1(VALU_DEP_1)
	v_lshlrev_b64_e64 v[16:17], v2, -1
	v_add_nc_u32_e32 v2, 20, v101
	v_lshlrev_b64_e64 v[102:103], v2, 1
	s_delay_alu instid0(VALU_DEP_3) | instskip(SKIP_2) | instid1(VALU_DEP_1)
	v_bfi_b32 v16, v16, 0, v4
	v_lshrrev_b64 v[4:5], v101, v[4:5]
	v_bfi_b32 v17, v17, 0, 0
	v_cmp_eq_u64_e64 s13, v[16:17], v[102:103]
	s_delay_alu instid0(VALU_DEP_3)
	v_mov_b64_e32 v[16:17], v[4:5]
	s_and_saveexec_b32 s73, s13
; %bb.3927:                             ;   in Loop: Header=BB4_3183 Depth=3
	v_bfe_u32 v16, v4, 21, 1
	v_mov_b32_e32 v17, v3
	s_delay_alu instid0(VALU_DEP_1) | instskip(NEXT) | instid1(VALU_DEP_1)
	v_add_nc_u64_e32 v[16:17], v[4:5], v[16:17]
	v_add_nc_u64_e32 v[16:17], -1, v[16:17]
; %bb.3928:                             ;   in Loop: Header=BB4_3183 Depth=3
	s_or_b32 exec_lo, exec_lo, s73
	v_add_nc_u32_e32 v2, 0xffffff81, v23
	v_lshrrev_b32_e32 v5, 23, v4
	s_mov_b32 s13, exec_lo
	s_delay_alu instid0(VALU_DEP_2) | instskip(NEXT) | instid1(VALU_DEP_1)
	v_cndmask_b32_e64 v2, v2, 0xffffff82, vcc_lo
	v_add3_u32 v17, v101, v2, v5
	v_and_b32_e32 v2, 0x1fffff, v16
                                        ; implicit-def: $vgpr16
	s_delay_alu instid0(VALU_DEP_1) | instskip(NEXT) | instid1(VALU_DEP_1)
	v_dual_add_nc_u32 v23, 14, v17 :: v_dual_add_nc_u32 v2, v2, v4
                                        ; implicit-def: $vgpr4_vgpr5
	v_cmpx_ne_u32_e32 0, v23
	s_xor_b32 s13, exec_lo, s13
; %bb.3929:                             ;   in Loop: Header=BB4_3183 Depth=3
	s_delay_alu instid0(VALU_DEP_2) | instskip(SKIP_1) | instid1(VALU_DEP_1)
	v_cmp_lt_u64_e32 vcc_lo, 0xffffff, v[2:3]
	v_add_nc_u32_e32 v4, 15, v17
	v_cndmask_b32_e32 v16, v23, v4, vcc_lo
	v_cndmask_b32_e64 v4, 0, 1, vcc_lo
	s_delay_alu instid0(VALU_DEP_1)
	v_lshrrev_b64 v[4:5], v4, v[2:3]
; %bb.3930:                             ;   in Loop: Header=BB4_3183 Depth=3
	s_and_not1_saveexec_b32 s13, s13
; %bb.3931:                             ;   in Loop: Header=BB4_3183 Depth=3
	v_mov_b64_e32 v[4:5], v[2:3]
	v_bfe_u32 v16, v2, 23, 1
; %bb.3932:                             ;   in Loop: Header=BB4_3183 Depth=3
	s_or_b32 exec_lo, exec_lo, s13
	s_delay_alu instid0(VALU_DEP_2) | instskip(NEXT) | instid1(VALU_DEP_2)
	v_lshrrev_b64 v[4:5], 21, v[4:5]
	v_cmp_gt_i32_e32 vcc_lo, 32, v16
	v_min_i32_e32 v2, 31, v16
	v_cmp_eq_u32_e64 s13, 0, v16
	s_delay_alu instid0(VALU_DEP_2) | instskip(SKIP_1) | instid1(VALU_DEP_2)
	v_dual_cndmask_b32 v5, 0, v5 :: v_dual_lshlrev_b32 v2, 2, v2
	v_cndmask_b32_e32 v4, 3, v4, vcc_lo
	v_and_b32_e32 v2, 0xfc, v2
	s_delay_alu instid0(VALU_DEP_2) | instskip(NEXT) | instid1(VALU_DEP_2)
	v_cmp_eq_u64_e32 vcc_lo, 0, v[4:5]
	v_and_or_b32 v2, v4, 3, v2
	s_and_b32 s13, s13, vcc_lo
	s_delay_alu instid0(VALU_DEP_1) | instid1(SALU_CYCLE_1)
	v_cndmask_b32_e64 v2, v2, 0, s13
	s_delay_alu instid0(VALU_DEP_1)
	v_or_b32_e32 v23, v2, v100
.LBB4_3933:                             ;   in Loop: Header=BB4_3183 Depth=3
	s_or_b32 exec_lo, exec_lo, s72
                                        ; implicit-def: $vgpr100
.LBB4_3934:                             ;   in Loop: Header=BB4_3183 Depth=3
	s_and_not1_saveexec_b32 s13, s43
; %bb.3935:                             ;   in Loop: Header=BB4_3183 Depth=3
	v_or_b32_e32 v23, 0x7b, v100
; %bb.3936:                             ;   in Loop: Header=BB4_3183 Depth=3
	s_or_b32 exec_lo, exec_lo, s13
                                        ; implicit-def: $vgpr4
                                        ; implicit-def: $vgpr5
.LBB4_3937:                             ;   in Loop: Header=BB4_3183 Depth=3
	s_and_not1_saveexec_b32 s13, s42
	s_cbranch_execz .LBB4_3943
; %bb.3938:                             ;   in Loop: Header=BB4_3183 Depth=3
	s_mov_b32 s42, exec_lo
                                        ; implicit-def: $vgpr23
	v_cmpx_ne_u64_e32 0, v[2:3]
	s_xor_b32 s42, exec_lo, s42
; %bb.3939:                             ;   in Loop: Header=BB4_3183 Depth=3
	v_or_b32_e32 v23, 0x7f, v5
                                        ; implicit-def: $vgpr4
; %bb.3940:                             ;   in Loop: Header=BB4_3183 Depth=3
	s_and_not1_saveexec_b32 s42, s42
; %bb.3941:                             ;   in Loop: Header=BB4_3183 Depth=3
	v_cmp_lt_i32_e32 vcc_lo, -1, v4
	v_cndmask_b32_e32 v23, 0xfc, v113, vcc_lo
; %bb.3942:                             ;   in Loop: Header=BB4_3183 Depth=3
	s_or_b32 exec_lo, exec_lo, s42
.LBB4_3943:                             ;   in Loop: Header=BB4_3183 Depth=3
	s_delay_alu instid0(SALU_CYCLE_1)
	s_or_b32 exec_lo, exec_lo, s13
	v_dual_mov_b32 v4, 0 :: v_dual_mov_b32 v5, 0
	s_mov_b32 s13, exec_lo
	v_cmpx_lt_u32_e32 0xffffff, v12
	s_cbranch_execz .LBB4_3953
; %bb.3944:                             ;   in Loop: Header=BB4_3183 Depth=3
	v_lshrrev_b32_e32 v2, 24, v12
	v_bfrev_b32_e32 v5, 1
	s_mov_b32 s42, exec_lo
	s_delay_alu instid0(VALU_DEP_2)
	v_cmpx_ne_u32_e32 0x80, v2
	s_cbranch_execz .LBB4_3952
; %bb.3945:                             ;   in Loop: Header=BB4_3183 Depth=3
	v_and_b32_e32 v5, 0x7c000000, v12
	v_bfe_u32 v16, v12, 24, 2
	s_delay_alu instid0(VALU_DEP_2) | instskip(SKIP_1) | instid1(SALU_CYCLE_1)
	v_cmp_ne_u32_e32 vcc_lo, 0x7c000000, v5
                                        ; implicit-def: $vgpr5
	s_and_saveexec_b32 s43, vcc_lo
	s_xor_b32 s43, exec_lo, s43
	s_cbranch_execz .LBB4_3949
; %bb.3946:                             ;   in Loop: Header=BB4_3183 Depth=3
	v_bfe_u32 v5, v12, 26, 5
	s_mov_b32 s72, exec_lo
	s_delay_alu instid0(VALU_DEP_1)
	v_cmpx_eq_u32_e32 0, v5
; %bb.3947:                             ;   in Loop: Header=BB4_3183 Depth=3
	v_clz_i32_u32_e32 v5, v16
	s_delay_alu instid0(VALU_DEP_1) | instskip(NEXT) | instid1(VALU_DEP_1)
	v_min_u32_e32 v5, 32, v5
	v_subrev_nc_u32_e32 v16, 29, v5
	s_delay_alu instid0(VALU_DEP_1) | instskip(NEXT) | instid1(VALU_DEP_1)
	v_lshlrev_b64_e32 v[16:17], v16, v[2:3]
	v_dual_sub_nc_u32 v5, 30, v5 :: v_dual_bitop2_b32 v16, 3, v16 bitop3:0x40
; %bb.3948:                             ;   in Loop: Header=BB4_3183 Depth=3
	s_or_b32 exec_lo, exec_lo, s72
	v_and_b32_e32 v2, 0x80000000, v12
	s_delay_alu instid0(VALU_DEP_1) | instskip(NEXT) | instid1(VALU_DEP_1)
	v_lshl_add_u32 v2, v5, 23, v2
	v_lshl_or_b32 v2, v16, 21, v2
                                        ; implicit-def: $vgpr16
	s_delay_alu instid0(VALU_DEP_1)
	v_add_nc_u32_e32 v5, 0x38000000, v2
.LBB4_3949:                             ;   in Loop: Header=BB4_3183 Depth=3
	s_and_not1_saveexec_b32 s43, s43
; %bb.3950:                             ;   in Loop: Header=BB4_3183 Depth=3
	v_cmp_lt_i32_e32 vcc_lo, -1, v12
	v_cndmask_b32_e32 v2, 0xff800000, v112, vcc_lo
	v_cmp_eq_u32_e32 vcc_lo, 0, v16
	s_delay_alu instid0(VALU_DEP_2)
	v_cndmask_b32_e32 v5, 0x7f800001, v2, vcc_lo
; %bb.3951:                             ;   in Loop: Header=BB4_3183 Depth=3
	s_or_b32 exec_lo, exec_lo, s43
.LBB4_3952:                             ;   in Loop: Header=BB4_3183 Depth=3
	s_delay_alu instid0(SALU_CYCLE_1)
	s_or_b32 exec_lo, exec_lo, s42
.LBB4_3953:                             ;   in Loop: Header=BB4_3183 Depth=3
	s_delay_alu instid0(SALU_CYCLE_1) | instskip(NEXT) | instid1(SALU_CYCLE_1)
	s_or_b32 exec_lo, exec_lo, s13
	s_mov_b32 s13, exec_lo
	v_cmpx_lt_u32_e32 0xffffff, v8
	s_cbranch_execz .LBB4_3963
; %bb.3954:                             ;   in Loop: Header=BB4_3183 Depth=3
	v_lshrrev_b32_e32 v2, 24, v8
	v_bfrev_b32_e32 v4, 1
	s_mov_b32 s42, exec_lo
	s_delay_alu instid0(VALU_DEP_2)
	v_cmpx_ne_u32_e32 0x80, v2
	s_cbranch_execz .LBB4_3962
; %bb.3955:                             ;   in Loop: Header=BB4_3183 Depth=3
	v_and_b32_e32 v4, 0x7c000000, v8
	v_bfe_u32 v16, v8, 24, 2
	s_delay_alu instid0(VALU_DEP_2) | instskip(SKIP_1) | instid1(SALU_CYCLE_1)
	v_cmp_ne_u32_e32 vcc_lo, 0x7c000000, v4
                                        ; implicit-def: $vgpr4
	s_and_saveexec_b32 s43, vcc_lo
	s_xor_b32 s43, exec_lo, s43
	s_cbranch_execz .LBB4_3959
; %bb.3956:                             ;   in Loop: Header=BB4_3183 Depth=3
	v_bfe_u32 v4, v8, 26, 5
	s_mov_b32 s72, exec_lo
	s_delay_alu instid0(VALU_DEP_1)
	v_cmpx_eq_u32_e32 0, v4
; %bb.3957:                             ;   in Loop: Header=BB4_3183 Depth=3
	v_clz_i32_u32_e32 v4, v16
	s_delay_alu instid0(VALU_DEP_1) | instskip(NEXT) | instid1(VALU_DEP_1)
	v_min_u32_e32 v4, 32, v4
	v_subrev_nc_u32_e32 v16, 29, v4
	v_sub_nc_u32_e32 v4, 30, v4
	s_delay_alu instid0(VALU_DEP_2) | instskip(NEXT) | instid1(VALU_DEP_1)
	v_lshlrev_b64_e32 v[16:17], v16, v[2:3]
	v_and_b32_e32 v16, 3, v16
; %bb.3958:                             ;   in Loop: Header=BB4_3183 Depth=3
	s_or_b32 exec_lo, exec_lo, s72
	v_and_b32_e32 v2, 0x80000000, v8
	s_delay_alu instid0(VALU_DEP_1) | instskip(NEXT) | instid1(VALU_DEP_1)
	v_lshl_add_u32 v2, v4, 23, v2
	v_lshl_or_b32 v2, v16, 21, v2
                                        ; implicit-def: $vgpr16
	s_delay_alu instid0(VALU_DEP_1)
	v_add_nc_u32_e32 v4, 0x38000000, v2
.LBB4_3959:                             ;   in Loop: Header=BB4_3183 Depth=3
	s_and_not1_saveexec_b32 s43, s43
; %bb.3960:                             ;   in Loop: Header=BB4_3183 Depth=3
	v_cmp_lt_i32_e32 vcc_lo, -1, v8
	v_cndmask_b32_e32 v2, 0xff800000, v112, vcc_lo
	v_cmp_eq_u32_e32 vcc_lo, 0, v16
	s_delay_alu instid0(VALU_DEP_2)
	v_cndmask_b32_e32 v4, 0x7f800001, v2, vcc_lo
; %bb.3961:                             ;   in Loop: Header=BB4_3183 Depth=3
	s_or_b32 exec_lo, exec_lo, s43
.LBB4_3962:                             ;   in Loop: Header=BB4_3183 Depth=3
	s_delay_alu instid0(SALU_CYCLE_1)
	s_or_b32 exec_lo, exec_lo, s42
.LBB4_3963:                             ;   in Loop: Header=BB4_3183 Depth=3
	s_delay_alu instid0(SALU_CYCLE_1) | instskip(NEXT) | instid1(VALU_DEP_1)
	s_or_b32 exec_lo, exec_lo, s13
	v_dual_mul_f32 v4, v5, v4 :: v_dual_mov_b32 v17, v3
                                        ; implicit-def: $vgpr100
	s_mov_b32 s13, exec_lo
	s_delay_alu instid0(VALU_DEP_1) | instskip(SKIP_2) | instid1(VALU_DEP_3)
	v_and_b32_e32 v16, 0x7f800000, v4
	v_and_b32_e32 v2, 0x7fffff, v4
	v_lshrrev_b32_e32 v5, 24, v4
	v_cmpx_ne_u64_e32 0x7f800000, v[16:17]
	s_xor_b32 s42, exec_lo, s13
	s_cbranch_execz .LBB4_3977
; %bb.3964:                             ;   in Loop: Header=BB4_3183 Depth=3
	v_and_b32_e32 v16, 0x7fffffff, v4
	v_mov_b32_e32 v17, v3
	v_and_b32_e32 v101, 0x80, v5
                                        ; implicit-def: $vgpr100
	s_mov_b32 s13, exec_lo
	s_delay_alu instid0(VALU_DEP_2)
	v_cmpx_gt_u64_e32 0x47600001, v[16:17]
	s_xor_b32 s43, exec_lo, s13
	s_cbranch_execz .LBB4_3974
; %bb.3965:                             ;   in Loop: Header=BB4_3183 Depth=3
	v_mov_b32_e32 v100, 0
	s_mov_b32 s72, exec_lo
	v_cmpx_ne_u32_e32 0, v4
	s_cbranch_execz .LBB4_3973
; %bb.3966:                             ;   in Loop: Header=BB4_3183 Depth=3
	v_bfe_u32 v100, v4, 23, 8
	v_or_b32_e32 v5, 0x800000, v2
	s_delay_alu instid0(VALU_DEP_2) | instskip(SKIP_2) | instid1(VALU_DEP_2)
	v_cmp_gt_u32_e64 s13, 0x72, v100
	v_sub_nc_u32_e32 v4, 0x71, v100
	v_cmp_eq_u32_e32 vcc_lo, 0, v100
	v_cndmask_b32_e64 v4, 0, v4, s13
	s_delay_alu instid0(VALU_DEP_1) | instskip(SKIP_1) | instid1(VALU_DEP_2)
	v_cndmask_b32_e64 v102, v4, 0x70, vcc_lo
	v_dual_cndmask_b32 v4, v5, v2 :: v_dual_mov_b32 v5, v3
	v_add_nc_u32_e32 v2, 21, v102
	s_delay_alu instid0(VALU_DEP_1) | instskip(SKIP_1) | instid1(VALU_DEP_1)
	v_lshlrev_b64_e64 v[16:17], v2, -1
	v_add_nc_u32_e32 v2, 20, v102
	v_lshlrev_b64_e64 v[44:45], v2, 1
	s_delay_alu instid0(VALU_DEP_3) | instskip(SKIP_2) | instid1(VALU_DEP_1)
	v_bfi_b32 v16, v16, 0, v4
	v_lshrrev_b64 v[4:5], v102, v[4:5]
	v_bfi_b32 v17, v17, 0, 0
	v_cmp_eq_u64_e64 s13, v[16:17], v[44:45]
	s_delay_alu instid0(VALU_DEP_3)
	v_mov_b64_e32 v[16:17], v[4:5]
	s_and_saveexec_b32 s73, s13
; %bb.3967:                             ;   in Loop: Header=BB4_3183 Depth=3
	v_bfe_u32 v16, v4, 21, 1
	v_mov_b32_e32 v17, v3
	s_delay_alu instid0(VALU_DEP_1) | instskip(NEXT) | instid1(VALU_DEP_1)
	v_add_nc_u64_e32 v[16:17], v[4:5], v[16:17]
	v_add_nc_u64_e32 v[16:17], -1, v[16:17]
; %bb.3968:                             ;   in Loop: Header=BB4_3183 Depth=3
	s_or_b32 exec_lo, exec_lo, s73
	v_add_nc_u32_e32 v2, 0xffffff81, v100
	v_lshrrev_b32_e32 v5, 23, v4
	s_mov_b32 s13, exec_lo
	s_delay_alu instid0(VALU_DEP_2) | instskip(NEXT) | instid1(VALU_DEP_1)
	v_cndmask_b32_e64 v2, v2, 0xffffff82, vcc_lo
	v_add3_u32 v17, v102, v2, v5
	v_and_b32_e32 v2, 0x1fffff, v16
                                        ; implicit-def: $vgpr16
	s_delay_alu instid0(VALU_DEP_1) | instskip(NEXT) | instid1(VALU_DEP_1)
	v_dual_add_nc_u32 v100, 14, v17 :: v_dual_add_nc_u32 v2, v2, v4
                                        ; implicit-def: $vgpr4_vgpr5
	v_cmpx_ne_u32_e32 0, v100
	s_xor_b32 s13, exec_lo, s13
; %bb.3969:                             ;   in Loop: Header=BB4_3183 Depth=3
	s_delay_alu instid0(VALU_DEP_2) | instskip(SKIP_1) | instid1(VALU_DEP_1)
	v_cmp_lt_u64_e32 vcc_lo, 0xffffff, v[2:3]
	v_add_nc_u32_e32 v4, 15, v17
	v_cndmask_b32_e32 v16, v100, v4, vcc_lo
	v_cndmask_b32_e64 v4, 0, 1, vcc_lo
	s_delay_alu instid0(VALU_DEP_1)
	v_lshrrev_b64 v[4:5], v4, v[2:3]
; %bb.3970:                             ;   in Loop: Header=BB4_3183 Depth=3
	s_and_not1_saveexec_b32 s13, s13
; %bb.3971:                             ;   in Loop: Header=BB4_3183 Depth=3
	v_mov_b64_e32 v[4:5], v[2:3]
	v_bfe_u32 v16, v2, 23, 1
; %bb.3972:                             ;   in Loop: Header=BB4_3183 Depth=3
	s_or_b32 exec_lo, exec_lo, s13
	s_delay_alu instid0(VALU_DEP_2) | instskip(NEXT) | instid1(VALU_DEP_2)
	v_lshrrev_b64 v[4:5], 21, v[4:5]
	v_cmp_gt_i32_e32 vcc_lo, 32, v16
	v_min_i32_e32 v2, 31, v16
	v_cmp_eq_u32_e64 s13, 0, v16
	s_delay_alu instid0(VALU_DEP_2) | instskip(SKIP_1) | instid1(VALU_DEP_2)
	v_dual_cndmask_b32 v5, 0, v5 :: v_dual_lshlrev_b32 v2, 2, v2
	v_cndmask_b32_e32 v4, 3, v4, vcc_lo
	v_and_b32_e32 v2, 0xfc, v2
	s_delay_alu instid0(VALU_DEP_2) | instskip(NEXT) | instid1(VALU_DEP_2)
	v_cmp_eq_u64_e32 vcc_lo, 0, v[4:5]
	v_and_or_b32 v2, v4, 3, v2
	s_and_b32 s13, s13, vcc_lo
	s_delay_alu instid0(VALU_DEP_1) | instid1(SALU_CYCLE_1)
	v_cndmask_b32_e64 v2, v2, 0, s13
	s_delay_alu instid0(VALU_DEP_1)
	v_or_b32_e32 v100, v2, v101
.LBB4_3973:                             ;   in Loop: Header=BB4_3183 Depth=3
	s_or_b32 exec_lo, exec_lo, s72
                                        ; implicit-def: $vgpr101
.LBB4_3974:                             ;   in Loop: Header=BB4_3183 Depth=3
	s_and_not1_saveexec_b32 s13, s43
; %bb.3975:                             ;   in Loop: Header=BB4_3183 Depth=3
	v_or_b32_e32 v100, 0x7b, v101
; %bb.3976:                             ;   in Loop: Header=BB4_3183 Depth=3
	s_or_b32 exec_lo, exec_lo, s13
                                        ; implicit-def: $vgpr4
                                        ; implicit-def: $vgpr5
.LBB4_3977:                             ;   in Loop: Header=BB4_3183 Depth=3
	s_and_not1_saveexec_b32 s13, s42
	s_cbranch_execz .LBB4_3983
; %bb.3978:                             ;   in Loop: Header=BB4_3183 Depth=3
	s_mov_b32 s42, exec_lo
                                        ; implicit-def: $vgpr100
	v_cmpx_ne_u64_e32 0, v[2:3]
	s_xor_b32 s42, exec_lo, s42
; %bb.3979:                             ;   in Loop: Header=BB4_3183 Depth=3
	v_or_b32_e32 v100, 0x7f, v5
                                        ; implicit-def: $vgpr4
; %bb.3980:                             ;   in Loop: Header=BB4_3183 Depth=3
	s_and_not1_saveexec_b32 s42, s42
; %bb.3981:                             ;   in Loop: Header=BB4_3183 Depth=3
	v_cmp_lt_i32_e32 vcc_lo, -1, v4
	v_cndmask_b32_e32 v100, 0xfc, v113, vcc_lo
; %bb.3982:                             ;   in Loop: Header=BB4_3183 Depth=3
	s_or_b32 exec_lo, exec_lo, s42
.LBB4_3983:                             ;   in Loop: Header=BB4_3183 Depth=3
	s_delay_alu instid0(SALU_CYCLE_1) | instskip(SKIP_4) | instid1(VALU_DEP_3)
	s_or_b32 exec_lo, exec_lo, s13
	v_and_b32_e32 v16, 0xff, v13
	v_dual_mov_b32 v2, v13 :: v_dual_mov_b32 v5, 0
	v_mov_b32_e32 v4, 0
	s_mov_b32 s13, exec_lo
	v_cmpx_ne_u16_e32 0, v16
	s_cbranch_execz .LBB4_3993
; %bb.3984:                             ;   in Loop: Header=BB4_3183 Depth=3
	v_bfrev_b32_e32 v4, 1
	s_mov_b32 s42, exec_lo
	v_cmpx_ne_u16_e32 0x80, v16
	s_cbranch_execz .LBB4_3992
; %bb.3985:                             ;   in Loop: Header=BB4_3183 Depth=3
	v_and_b32_e32 v4, 0x7c, v13
	v_and_b32_e32 v16, 3, v13
	s_delay_alu instid0(VALU_DEP_2) | instskip(SKIP_1) | instid1(SALU_CYCLE_1)
	v_cmp_ne_u32_e32 vcc_lo, 0x7c, v4
                                        ; implicit-def: $vgpr4
	s_and_saveexec_b32 s43, vcc_lo
	s_xor_b32 s43, exec_lo, s43
	s_cbranch_execz .LBB4_3989
; %bb.3986:                             ;   in Loop: Header=BB4_3183 Depth=3
	v_bfe_u32 v4, v13, 2, 5
	s_mov_b32 s72, exec_lo
	s_delay_alu instid0(VALU_DEP_1)
	v_cmpx_eq_u32_e32 0, v4
; %bb.3987:                             ;   in Loop: Header=BB4_3183 Depth=3
	v_clz_i32_u32_e32 v4, v16
	s_delay_alu instid0(VALU_DEP_1) | instskip(NEXT) | instid1(VALU_DEP_1)
	v_min_u32_e32 v4, 32, v4
	v_subrev_nc_u32_e32 v16, 29, v4
	v_sub_nc_u32_e32 v4, 30, v4
	s_delay_alu instid0(VALU_DEP_2) | instskip(NEXT) | instid1(VALU_DEP_1)
	v_lshlrev_b64_e32 v[16:17], v16, v[2:3]
	v_and_b32_e32 v16, 3, v16
; %bb.3988:                             ;   in Loop: Header=BB4_3183 Depth=3
	s_or_b32 exec_lo, exec_lo, s72
	v_lshlrev_b32_e32 v17, 24, v13
	s_delay_alu instid0(VALU_DEP_1) | instskip(NEXT) | instid1(VALU_DEP_1)
	v_and_b32_e32 v17, 0x80000000, v17
	v_lshl_add_u32 v4, v4, 23, v17
	s_delay_alu instid0(VALU_DEP_1) | instskip(NEXT) | instid1(VALU_DEP_1)
	v_lshl_or_b32 v4, v16, 21, v4
                                        ; implicit-def: $vgpr16
	v_add_nc_u32_e32 v4, 0x38000000, v4
.LBB4_3989:                             ;   in Loop: Header=BB4_3183 Depth=3
	s_and_not1_saveexec_b32 s43, s43
; %bb.3990:                             ;   in Loop: Header=BB4_3183 Depth=3
	v_bfe_i32 v4, v13, 0, 8
	s_delay_alu instid0(VALU_DEP_1) | instskip(SKIP_2) | instid1(VALU_DEP_2)
	v_cmp_lt_i16_e32 vcc_lo, -1, v4
	v_cndmask_b32_e32 v4, 0xff800000, v112, vcc_lo
	v_cmp_eq_u32_e32 vcc_lo, 0, v16
	v_cndmask_b32_e32 v4, 0x7f800001, v4, vcc_lo
; %bb.3991:                             ;   in Loop: Header=BB4_3183 Depth=3
	s_or_b32 exec_lo, exec_lo, s43
.LBB4_3992:                             ;   in Loop: Header=BB4_3183 Depth=3
	s_delay_alu instid0(SALU_CYCLE_1)
	s_or_b32 exec_lo, exec_lo, s42
.LBB4_3993:                             ;   in Loop: Header=BB4_3183 Depth=3
	s_delay_alu instid0(SALU_CYCLE_1) | instskip(SKIP_2) | instid1(VALU_DEP_1)
	s_or_b32 exec_lo, exec_lo, s13
	v_and_b32_e32 v16, 0xff, v9
	s_mov_b32 s13, exec_lo
	v_cmpx_ne_u16_e32 0, v16
	s_cbranch_execz .LBB4_4003
; %bb.3994:                             ;   in Loop: Header=BB4_3183 Depth=3
	v_bfrev_b32_e32 v5, 1
	s_mov_b32 s42, exec_lo
	v_cmpx_ne_u16_e32 0x80, v16
	s_cbranch_execz .LBB4_4002
; %bb.3995:                             ;   in Loop: Header=BB4_3183 Depth=3
	v_and_b32_e32 v5, 0x7c, v9
	v_and_b32_e32 v16, 3, v9
	s_delay_alu instid0(VALU_DEP_2) | instskip(SKIP_1) | instid1(SALU_CYCLE_1)
	v_cmp_ne_u32_e32 vcc_lo, 0x7c, v5
                                        ; implicit-def: $vgpr5
	s_and_saveexec_b32 s43, vcc_lo
	s_xor_b32 s43, exec_lo, s43
	s_cbranch_execz .LBB4_3999
; %bb.3996:                             ;   in Loop: Header=BB4_3183 Depth=3
	v_bfe_u32 v5, v9, 2, 5
	s_mov_b32 s72, exec_lo
	s_delay_alu instid0(VALU_DEP_1)
	v_cmpx_eq_u32_e32 0, v5
; %bb.3997:                             ;   in Loop: Header=BB4_3183 Depth=3
	v_clz_i32_u32_e32 v5, v16
	v_dual_mov_b32 v16, v9 :: v_dual_mov_b32 v17, v3
	s_delay_alu instid0(VALU_DEP_2) | instskip(NEXT) | instid1(VALU_DEP_1)
	v_min_u32_e32 v5, 32, v5
	v_subrev_nc_u32_e32 v101, 29, v5
	s_delay_alu instid0(VALU_DEP_1) | instskip(NEXT) | instid1(VALU_DEP_1)
	v_lshlrev_b64_e32 v[16:17], v101, v[16:17]
	v_dual_sub_nc_u32 v5, 30, v5 :: v_dual_bitop2_b32 v16, 3, v16 bitop3:0x40
; %bb.3998:                             ;   in Loop: Header=BB4_3183 Depth=3
	s_or_b32 exec_lo, exec_lo, s72
	v_lshlrev_b32_e32 v17, 24, v9
	s_delay_alu instid0(VALU_DEP_1) | instskip(NEXT) | instid1(VALU_DEP_1)
	v_and_b32_e32 v17, 0x80000000, v17
	v_lshl_add_u32 v5, v5, 23, v17
	s_delay_alu instid0(VALU_DEP_1) | instskip(NEXT) | instid1(VALU_DEP_1)
	v_lshl_or_b32 v5, v16, 21, v5
                                        ; implicit-def: $vgpr16
	v_add_nc_u32_e32 v5, 0x38000000, v5
.LBB4_3999:                             ;   in Loop: Header=BB4_3183 Depth=3
	s_and_not1_saveexec_b32 s43, s43
; %bb.4000:                             ;   in Loop: Header=BB4_3183 Depth=3
	v_bfe_i32 v5, v9, 0, 8
	s_delay_alu instid0(VALU_DEP_1) | instskip(SKIP_2) | instid1(VALU_DEP_2)
	v_cmp_lt_i16_e32 vcc_lo, -1, v5
	v_cndmask_b32_e32 v5, 0xff800000, v112, vcc_lo
	v_cmp_eq_u32_e32 vcc_lo, 0, v16
	v_cndmask_b32_e32 v5, 0x7f800001, v5, vcc_lo
; %bb.4001:                             ;   in Loop: Header=BB4_3183 Depth=3
	s_or_b32 exec_lo, exec_lo, s43
.LBB4_4002:                             ;   in Loop: Header=BB4_3183 Depth=3
	s_delay_alu instid0(SALU_CYCLE_1)
	s_or_b32 exec_lo, exec_lo, s42
.LBB4_4003:                             ;   in Loop: Header=BB4_3183 Depth=3
	s_delay_alu instid0(SALU_CYCLE_1) | instskip(NEXT) | instid1(VALU_DEP_1)
	s_or_b32 exec_lo, exec_lo, s13
	v_dual_mul_f32 v16, v4, v5 :: v_dual_mov_b32 v103, v3
	v_mov_b32_e32 v5, v3
                                        ; implicit-def: $vgpr101
	s_mov_b32 s13, exec_lo
	s_delay_alu instid0(VALU_DEP_2) | instskip(SKIP_2) | instid1(VALU_DEP_3)
	v_and_b32_e32 v102, 0x7f800000, v16
	v_and_b32_e32 v4, 0x7fffff, v16
	v_lshrrev_b32_e32 v17, 24, v16
	v_cmpx_ne_u64_e32 0x7f800000, v[102:103]
	s_xor_b32 s42, exec_lo, s13
	s_cbranch_execz .LBB4_4017
; %bb.4004:                             ;   in Loop: Header=BB4_3183 Depth=3
	v_and_b32_e32 v102, 0x7fffffff, v16
	v_mov_b32_e32 v103, v3
                                        ; implicit-def: $vgpr101
	s_delay_alu instid0(VALU_DEP_1) | instskip(SKIP_2) | instid1(SALU_CYCLE_1)
	v_cmp_gt_u64_e32 vcc_lo, 0x47600001, v[102:103]
	v_and_b32_e32 v102, 0x80, v17
	s_and_saveexec_b32 s13, vcc_lo
	s_xor_b32 s43, exec_lo, s13
	s_cbranch_execz .LBB4_4014
; %bb.4005:                             ;   in Loop: Header=BB4_3183 Depth=3
	v_mov_b32_e32 v101, 0
	s_mov_b32 s72, exec_lo
	v_cmpx_ne_u32_e32 0, v16
	s_cbranch_execz .LBB4_4013
; %bb.4006:                             ;   in Loop: Header=BB4_3183 Depth=3
	v_bfe_u32 v101, v16, 23, 8
	v_or_b32_e32 v17, 0x800000, v4
	s_delay_alu instid0(VALU_DEP_2) | instskip(SKIP_2) | instid1(VALU_DEP_2)
	v_cmp_gt_u32_e64 s13, 0x72, v101
	v_sub_nc_u32_e32 v16, 0x71, v101
	v_cmp_eq_u32_e32 vcc_lo, 0, v101
	v_cndmask_b32_e64 v16, 0, v16, s13
	s_delay_alu instid0(VALU_DEP_1) | instskip(NEXT) | instid1(VALU_DEP_1)
	v_cndmask_b32_e64 v103, v16, 0x70, vcc_lo
	v_dual_cndmask_b32 v4, v17, v4, vcc_lo :: v_dual_add_nc_u32 v16, 21, v103
	v_add_nc_u32_e32 v41, 20, v103
	s_delay_alu instid0(VALU_DEP_2) | instskip(NEXT) | instid1(VALU_DEP_2)
	v_lshlrev_b64_e64 v[16:17], v16, -1
	v_lshlrev_b64_e64 v[44:45], v41, 1
	s_delay_alu instid0(VALU_DEP_2) | instskip(SKIP_1) | instid1(VALU_DEP_4)
	v_bfi_b32 v16, v16, 0, v4
	v_lshrrev_b64 v[4:5], v103, v[4:5]
	v_bfi_b32 v17, v17, 0, 0
	s_delay_alu instid0(VALU_DEP_1) | instskip(NEXT) | instid1(VALU_DEP_3)
	v_cmp_eq_u64_e64 s13, v[16:17], v[44:45]
	v_mov_b64_e32 v[16:17], v[4:5]
	s_and_saveexec_b32 s73, s13
; %bb.4007:                             ;   in Loop: Header=BB4_3183 Depth=3
	v_bfe_u32 v16, v4, 21, 1
	v_mov_b32_e32 v17, v3
	s_delay_alu instid0(VALU_DEP_1) | instskip(NEXT) | instid1(VALU_DEP_1)
	v_add_nc_u64_e32 v[16:17], v[4:5], v[16:17]
	v_add_nc_u64_e32 v[16:17], -1, v[16:17]
; %bb.4008:                             ;   in Loop: Header=BB4_3183 Depth=3
	s_or_b32 exec_lo, exec_lo, s73
	v_add_nc_u32_e32 v5, 0xffffff81, v101
	v_lshrrev_b32_e32 v17, 23, v4
	s_mov_b32 s13, exec_lo
	s_delay_alu instid0(VALU_DEP_2) | instskip(NEXT) | instid1(VALU_DEP_1)
	v_cndmask_b32_e64 v5, v5, 0xffffff82, vcc_lo
	v_add3_u32 v101, v103, v5, v17
	v_and_b32_e32 v5, 0x1fffff, v16
                                        ; implicit-def: $vgpr16
	s_delay_alu instid0(VALU_DEP_1) | instskip(SKIP_1) | instid1(VALU_DEP_2)
	v_dual_add_nc_u32 v17, 14, v101 :: v_dual_add_nc_u32 v4, v5, v4
	v_mov_b32_e32 v5, v3
	v_cmpx_ne_u32_e32 0, v17
	s_xor_b32 s13, exec_lo, s13
; %bb.4009:                             ;   in Loop: Header=BB4_3183 Depth=3
	s_delay_alu instid0(VALU_DEP_2) | instskip(SKIP_1) | instid1(VALU_DEP_1)
	v_cmp_lt_u64_e32 vcc_lo, 0xffffff, v[4:5]
	v_add_nc_u32_e32 v16, 15, v101
	v_cndmask_b32_e32 v16, v17, v16, vcc_lo
	v_cndmask_b32_e64 v17, 0, 1, vcc_lo
	s_delay_alu instid0(VALU_DEP_1)
	v_lshrrev_b64 v[4:5], v17, v[4:5]
; %bb.4010:                             ;   in Loop: Header=BB4_3183 Depth=3
	s_and_not1_saveexec_b32 s13, s13
; %bb.4011:                             ;   in Loop: Header=BB4_3183 Depth=3
	s_delay_alu instid0(VALU_DEP_1)
	v_bfe_u32 v16, v4, 23, 1
; %bb.4012:                             ;   in Loop: Header=BB4_3183 Depth=3
	s_or_b32 exec_lo, exec_lo, s13
	s_delay_alu instid0(VALU_DEP_2) | instskip(NEXT) | instid1(VALU_DEP_2)
	v_lshrrev_b64 v[4:5], 21, v[4:5]
	v_cmp_gt_i32_e32 vcc_lo, 32, v16
	v_min_i32_e32 v17, 31, v16
	v_cmp_eq_u32_e64 s13, 0, v16
	s_delay_alu instid0(VALU_DEP_4) | instskip(NEXT) | instid1(VALU_DEP_3)
	v_cndmask_b32_e32 v5, 0, v5, vcc_lo
	v_dual_cndmask_b32 v4, 3, v4 :: v_dual_lshlrev_b32 v17, 2, v17
	s_delay_alu instid0(VALU_DEP_1) | instskip(NEXT) | instid1(VALU_DEP_2)
	v_and_b32_e32 v17, 0xfc, v17
	v_cmp_eq_u64_e32 vcc_lo, 0, v[4:5]
	s_delay_alu instid0(VALU_DEP_2)
	v_and_or_b32 v4, v4, 3, v17
	s_and_b32 s13, s13, vcc_lo
	s_delay_alu instid0(VALU_DEP_1) | instid1(SALU_CYCLE_1)
	v_cndmask_b32_e64 v4, v4, 0, s13
	s_delay_alu instid0(VALU_DEP_1)
	v_or_b32_e32 v101, v4, v102
.LBB4_4013:                             ;   in Loop: Header=BB4_3183 Depth=3
	s_or_b32 exec_lo, exec_lo, s72
                                        ; implicit-def: $vgpr102
.LBB4_4014:                             ;   in Loop: Header=BB4_3183 Depth=3
	s_and_not1_saveexec_b32 s13, s43
; %bb.4015:                             ;   in Loop: Header=BB4_3183 Depth=3
	v_or_b32_e32 v101, 0x7b, v102
; %bb.4016:                             ;   in Loop: Header=BB4_3183 Depth=3
	s_or_b32 exec_lo, exec_lo, s13
                                        ; implicit-def: $vgpr16
                                        ; implicit-def: $vgpr4_vgpr5
                                        ; implicit-def: $vgpr17
.LBB4_4017:                             ;   in Loop: Header=BB4_3183 Depth=3
	s_and_not1_saveexec_b32 s13, s42
	s_cbranch_execz .LBB4_4023
; %bb.4018:                             ;   in Loop: Header=BB4_3183 Depth=3
	s_mov_b32 s42, exec_lo
                                        ; implicit-def: $vgpr101
	v_cmpx_ne_u64_e32 0, v[4:5]
	s_xor_b32 s42, exec_lo, s42
; %bb.4019:                             ;   in Loop: Header=BB4_3183 Depth=3
	v_or_b32_e32 v101, 0x7f, v17
                                        ; implicit-def: $vgpr16
; %bb.4020:                             ;   in Loop: Header=BB4_3183 Depth=3
	s_and_not1_saveexec_b32 s42, s42
; %bb.4021:                             ;   in Loop: Header=BB4_3183 Depth=3
	v_cmp_lt_i32_e32 vcc_lo, -1, v16
	v_cndmask_b32_e32 v101, 0xfc, v113, vcc_lo
; %bb.4022:                             ;   in Loop: Header=BB4_3183 Depth=3
	s_or_b32 exec_lo, exec_lo, s42
.LBB4_4023:                             ;   in Loop: Header=BB4_3183 Depth=3
	s_delay_alu instid0(SALU_CYCLE_1) | instskip(SKIP_3) | instid1(VALU_DEP_2)
	s_or_b32 exec_lo, exec_lo, s13
	v_lshrrev_b16 v4, 8, v2
	v_dual_mov_b32 v16, 0 :: v_dual_mov_b32 v17, 0
	s_mov_b32 s13, exec_lo
	v_cmpx_ne_u16_e32 0, v4
	s_cbranch_execz .LBB4_4033
; %bb.4024:                             ;   in Loop: Header=BB4_3183 Depth=3
	v_bfrev_b32_e32 v17, 1
	s_mov_b32 s42, exec_lo
	v_cmpx_ne_u16_e32 0x80, v4
	s_cbranch_execz .LBB4_4032
; %bb.4025:                             ;   in Loop: Header=BB4_3183 Depth=3
	v_and_b32_e32 v102, 0xffff, v4
	s_delay_alu instid0(VALU_DEP_1) | instskip(SKIP_1) | instid1(VALU_DEP_2)
	v_and_b32_e32 v17, 0x7c, v102
	v_and_b32_e32 v5, 3, v102
	v_cmp_ne_u32_e32 vcc_lo, 0x7c, v17
                                        ; implicit-def: $vgpr17
	s_and_saveexec_b32 s43, vcc_lo
	s_delay_alu instid0(SALU_CYCLE_1)
	s_xor_b32 s43, exec_lo, s43
	s_cbranch_execz .LBB4_4029
; %bb.4026:                             ;   in Loop: Header=BB4_3183 Depth=3
	v_bfe_u32 v17, v102, 2, 5
	s_mov_b32 s72, exec_lo
	s_delay_alu instid0(VALU_DEP_1)
	v_cmpx_eq_u32_e32 0, v17
	s_cbranch_execz .LBB4_4028
; %bb.4027:                             ;   in Loop: Header=BB4_3183 Depth=3
	v_clz_i32_u32_e32 v5, v5
	s_delay_alu instid0(VALU_DEP_1) | instskip(SKIP_1) | instid1(VALU_DEP_2)
	v_min_u32_e32 v17, 32, v5
	v_mov_b32_e32 v5, v3
	v_subrev_nc_u32_e32 v102, 29, v17
	v_sub_nc_u32_e32 v17, 30, v17
	s_delay_alu instid0(VALU_DEP_2) | instskip(NEXT) | instid1(VALU_DEP_1)
	v_lshlrev_b64_e32 v[4:5], v102, v[4:5]
	v_and_b32_e32 v5, 3, v4
.LBB4_4028:                             ;   in Loop: Header=BB4_3183 Depth=3
	s_or_b32 exec_lo, exec_lo, s72
	v_lshlrev_b32_e32 v2, 16, v2
	s_delay_alu instid0(VALU_DEP_1) | instskip(NEXT) | instid1(VALU_DEP_1)
	v_and_b32_e32 v2, 0x80000000, v2
	v_lshl_add_u32 v2, v17, 23, v2
	s_delay_alu instid0(VALU_DEP_1) | instskip(NEXT) | instid1(VALU_DEP_1)
	v_lshl_or_b32 v2, v5, 21, v2
                                        ; implicit-def: $vgpr5
	v_add_nc_u32_e32 v17, 0x38000000, v2
.LBB4_4029:                             ;   in Loop: Header=BB4_3183 Depth=3
	s_and_not1_saveexec_b32 s43, s43
; %bb.4030:                             ;   in Loop: Header=BB4_3183 Depth=3
	v_cmp_lt_i16_e32 vcc_lo, -1, v2
	v_cndmask_b32_e32 v2, 0xff800000, v112, vcc_lo
	v_cmp_eq_u32_e32 vcc_lo, 0, v5
	s_delay_alu instid0(VALU_DEP_2)
	v_cndmask_b32_e32 v17, 0x7f800001, v2, vcc_lo
; %bb.4031:                             ;   in Loop: Header=BB4_3183 Depth=3
	s_or_b32 exec_lo, exec_lo, s43
.LBB4_4032:                             ;   in Loop: Header=BB4_3183 Depth=3
	s_delay_alu instid0(SALU_CYCLE_1)
	s_or_b32 exec_lo, exec_lo, s42
.LBB4_4033:                             ;   in Loop: Header=BB4_3183 Depth=3
	s_delay_alu instid0(SALU_CYCLE_1) | instskip(SKIP_2) | instid1(VALU_DEP_1)
	s_or_b32 exec_lo, exec_lo, s13
	v_lshrrev_b16 v4, 8, v9
	s_mov_b32 s13, exec_lo
	v_cmpx_ne_u16_e32 0, v4
	s_cbranch_execz .LBB4_4043
; %bb.4034:                             ;   in Loop: Header=BB4_3183 Depth=3
	v_bfrev_b32_e32 v16, 1
	s_mov_b32 s42, exec_lo
	v_cmpx_ne_u16_e32 0x80, v4
	s_cbranch_execz .LBB4_4042
; %bb.4035:                             ;   in Loop: Header=BB4_3183 Depth=3
	v_and_b32_e32 v5, 0xffff, v4
	s_delay_alu instid0(VALU_DEP_1) | instskip(SKIP_1) | instid1(VALU_DEP_2)
	v_and_b32_e32 v16, 0x7c, v5
	v_and_b32_e32 v2, 3, v5
	v_cmp_ne_u32_e32 vcc_lo, 0x7c, v16
                                        ; implicit-def: $vgpr16
	s_and_saveexec_b32 s43, vcc_lo
	s_delay_alu instid0(SALU_CYCLE_1)
	s_xor_b32 s43, exec_lo, s43
	s_cbranch_execz .LBB4_4039
; %bb.4036:                             ;   in Loop: Header=BB4_3183 Depth=3
	v_bfe_u32 v5, v5, 2, 5
	s_mov_b32 s72, exec_lo
	s_delay_alu instid0(VALU_DEP_1)
	v_cmpx_eq_u32_e32 0, v5
; %bb.4037:                             ;   in Loop: Header=BB4_3183 Depth=3
	v_clz_i32_u32_e32 v2, v2
	v_mov_b32_e32 v5, v3
	s_delay_alu instid0(VALU_DEP_2) | instskip(NEXT) | instid1(VALU_DEP_1)
	v_min_u32_e32 v2, 32, v2
	v_subrev_nc_u32_e32 v16, 29, v2
	s_delay_alu instid0(VALU_DEP_1) | instskip(NEXT) | instid1(VALU_DEP_1)
	v_lshlrev_b64_e32 v[4:5], v16, v[4:5]
	v_dual_sub_nc_u32 v5, 30, v2 :: v_dual_bitop2_b32 v2, 3, v4 bitop3:0x40
; %bb.4038:                             ;   in Loop: Header=BB4_3183 Depth=3
	s_or_b32 exec_lo, exec_lo, s72
	v_lshlrev_b32_e32 v4, 16, v9
	s_delay_alu instid0(VALU_DEP_1) | instskip(NEXT) | instid1(VALU_DEP_1)
	v_and_b32_e32 v4, 0x80000000, v4
	v_lshl_add_u32 v4, v5, 23, v4
	s_delay_alu instid0(VALU_DEP_1) | instskip(NEXT) | instid1(VALU_DEP_1)
	v_lshl_or_b32 v2, v2, 21, v4
	v_add_nc_u32_e32 v16, 0x38000000, v2
                                        ; implicit-def: $vgpr2
.LBB4_4039:                             ;   in Loop: Header=BB4_3183 Depth=3
	s_and_not1_saveexec_b32 s43, s43
; %bb.4040:                             ;   in Loop: Header=BB4_3183 Depth=3
	v_cmp_lt_i16_e32 vcc_lo, -1, v9
	v_cndmask_b32_e32 v4, 0xff800000, v112, vcc_lo
	v_cmp_eq_u32_e32 vcc_lo, 0, v2
	s_delay_alu instid0(VALU_DEP_2)
	v_cndmask_b32_e32 v16, 0x7f800001, v4, vcc_lo
; %bb.4041:                             ;   in Loop: Header=BB4_3183 Depth=3
	s_or_b32 exec_lo, exec_lo, s43
.LBB4_4042:                             ;   in Loop: Header=BB4_3183 Depth=3
	s_delay_alu instid0(SALU_CYCLE_1)
	s_or_b32 exec_lo, exec_lo, s42
.LBB4_4043:                             ;   in Loop: Header=BB4_3183 Depth=3
	s_delay_alu instid0(SALU_CYCLE_1) | instskip(NEXT) | instid1(VALU_DEP_1)
	s_or_b32 exec_lo, exec_lo, s13
	v_dual_mul_f32 v4, v17, v16 :: v_dual_mov_b32 v17, v3
                                        ; implicit-def: $vgpr102
	s_mov_b32 s13, exec_lo
	s_delay_alu instid0(VALU_DEP_1) | instskip(SKIP_2) | instid1(VALU_DEP_3)
	v_and_b32_e32 v16, 0x7f800000, v4
	v_and_b32_e32 v2, 0x7fffff, v4
	v_lshrrev_b32_e32 v5, 24, v4
	v_cmpx_ne_u64_e32 0x7f800000, v[16:17]
	s_xor_b32 s42, exec_lo, s13
	s_cbranch_execz .LBB4_4057
; %bb.4044:                             ;   in Loop: Header=BB4_3183 Depth=3
	v_and_b32_e32 v16, 0x7fffffff, v4
	v_mov_b32_e32 v17, v3
	v_and_b32_e32 v103, 0x80, v5
                                        ; implicit-def: $vgpr102
	s_mov_b32 s13, exec_lo
	s_delay_alu instid0(VALU_DEP_2)
	v_cmpx_gt_u64_e32 0x47600001, v[16:17]
	s_xor_b32 s43, exec_lo, s13
	s_cbranch_execz .LBB4_4054
; %bb.4045:                             ;   in Loop: Header=BB4_3183 Depth=3
	v_mov_b32_e32 v102, 0
	s_mov_b32 s72, exec_lo
	v_cmpx_ne_u32_e32 0, v4
	s_cbranch_execz .LBB4_4053
; %bb.4046:                             ;   in Loop: Header=BB4_3183 Depth=3
	v_bfe_u32 v102, v4, 23, 8
	v_or_b32_e32 v5, 0x800000, v2
	s_delay_alu instid0(VALU_DEP_2) | instskip(SKIP_2) | instid1(VALU_DEP_2)
	v_cmp_gt_u32_e64 s13, 0x72, v102
	v_sub_nc_u32_e32 v4, 0x71, v102
	v_cmp_eq_u32_e32 vcc_lo, 0, v102
	v_cndmask_b32_e64 v4, 0, v4, s13
	s_delay_alu instid0(VALU_DEP_1) | instskip(SKIP_1) | instid1(VALU_DEP_2)
	v_cndmask_b32_e64 v41, v4, 0x70, vcc_lo
	v_dual_cndmask_b32 v4, v5, v2 :: v_dual_mov_b32 v5, v3
	v_add_nc_u32_e32 v2, 21, v41
	s_delay_alu instid0(VALU_DEP_1) | instskip(SKIP_1) | instid1(VALU_DEP_1)
	v_lshlrev_b64_e64 v[16:17], v2, -1
	v_add_nc_u32_e32 v2, 20, v41
	v_lshlrev_b64_e64 v[44:45], v2, 1
	s_delay_alu instid0(VALU_DEP_3) | instskip(SKIP_2) | instid1(VALU_DEP_1)
	v_bfi_b32 v16, v16, 0, v4
	v_lshrrev_b64 v[4:5], v41, v[4:5]
	v_bfi_b32 v17, v17, 0, 0
	v_cmp_eq_u64_e64 s13, v[16:17], v[44:45]
	s_delay_alu instid0(VALU_DEP_3)
	v_mov_b64_e32 v[16:17], v[4:5]
	s_and_saveexec_b32 s73, s13
; %bb.4047:                             ;   in Loop: Header=BB4_3183 Depth=3
	v_bfe_u32 v16, v4, 21, 1
	v_mov_b32_e32 v17, v3
	s_delay_alu instid0(VALU_DEP_1) | instskip(NEXT) | instid1(VALU_DEP_1)
	v_add_nc_u64_e32 v[16:17], v[4:5], v[16:17]
	v_add_nc_u64_e32 v[16:17], -1, v[16:17]
; %bb.4048:                             ;   in Loop: Header=BB4_3183 Depth=3
	s_or_b32 exec_lo, exec_lo, s73
	v_add_nc_u32_e32 v2, 0xffffff81, v102
	v_lshrrev_b32_e32 v5, 23, v4
	s_mov_b32 s13, exec_lo
	s_delay_alu instid0(VALU_DEP_2) | instskip(NEXT) | instid1(VALU_DEP_1)
	v_cndmask_b32_e64 v2, v2, 0xffffff82, vcc_lo
	v_add3_u32 v102, v41, v2, v5
	v_and_b32_e32 v2, 0x1fffff, v16
                                        ; implicit-def: $vgpr16
	s_delay_alu instid0(VALU_DEP_1) | instskip(NEXT) | instid1(VALU_DEP_1)
	v_dual_add_nc_u32 v17, 14, v102 :: v_dual_add_nc_u32 v2, v2, v4
                                        ; implicit-def: $vgpr4_vgpr5
	v_cmpx_ne_u32_e32 0, v17
	s_xor_b32 s13, exec_lo, s13
; %bb.4049:                             ;   in Loop: Header=BB4_3183 Depth=3
	s_delay_alu instid0(VALU_DEP_2) | instskip(SKIP_1) | instid1(VALU_DEP_1)
	v_cmp_lt_u64_e32 vcc_lo, 0xffffff, v[2:3]
	v_add_nc_u32_e32 v4, 15, v102
	v_cndmask_b32_e32 v16, v17, v4, vcc_lo
	v_cndmask_b32_e64 v4, 0, 1, vcc_lo
	s_delay_alu instid0(VALU_DEP_1)
	v_lshrrev_b64 v[4:5], v4, v[2:3]
; %bb.4050:                             ;   in Loop: Header=BB4_3183 Depth=3
	s_and_not1_saveexec_b32 s13, s13
; %bb.4051:                             ;   in Loop: Header=BB4_3183 Depth=3
	v_mov_b64_e32 v[4:5], v[2:3]
	v_bfe_u32 v16, v2, 23, 1
; %bb.4052:                             ;   in Loop: Header=BB4_3183 Depth=3
	s_or_b32 exec_lo, exec_lo, s13
	s_delay_alu instid0(VALU_DEP_2) | instskip(NEXT) | instid1(VALU_DEP_2)
	v_lshrrev_b64 v[4:5], 21, v[4:5]
	v_cmp_gt_i32_e32 vcc_lo, 32, v16
	v_min_i32_e32 v2, 31, v16
	v_cmp_eq_u32_e64 s13, 0, v16
	s_delay_alu instid0(VALU_DEP_2) | instskip(SKIP_1) | instid1(VALU_DEP_2)
	v_dual_cndmask_b32 v5, 0, v5 :: v_dual_lshlrev_b32 v2, 2, v2
	v_cndmask_b32_e32 v4, 3, v4, vcc_lo
	v_and_b32_e32 v2, 0xfc, v2
	s_delay_alu instid0(VALU_DEP_2) | instskip(NEXT) | instid1(VALU_DEP_2)
	v_cmp_eq_u64_e32 vcc_lo, 0, v[4:5]
	v_and_or_b32 v2, v4, 3, v2
	s_and_b32 s13, s13, vcc_lo
	s_delay_alu instid0(VALU_DEP_1) | instid1(SALU_CYCLE_1)
	v_cndmask_b32_e64 v2, v2, 0, s13
	s_delay_alu instid0(VALU_DEP_1)
	v_or_b32_e32 v102, v2, v103
.LBB4_4053:                             ;   in Loop: Header=BB4_3183 Depth=3
	s_or_b32 exec_lo, exec_lo, s72
                                        ; implicit-def: $vgpr103
.LBB4_4054:                             ;   in Loop: Header=BB4_3183 Depth=3
	s_and_not1_saveexec_b32 s13, s43
; %bb.4055:                             ;   in Loop: Header=BB4_3183 Depth=3
	v_or_b32_e32 v102, 0x7b, v103
; %bb.4056:                             ;   in Loop: Header=BB4_3183 Depth=3
	s_or_b32 exec_lo, exec_lo, s13
                                        ; implicit-def: $vgpr4
                                        ; implicit-def: $vgpr5
.LBB4_4057:                             ;   in Loop: Header=BB4_3183 Depth=3
	s_and_not1_saveexec_b32 s13, s42
	s_cbranch_execz .LBB4_4063
; %bb.4058:                             ;   in Loop: Header=BB4_3183 Depth=3
	s_mov_b32 s42, exec_lo
                                        ; implicit-def: $vgpr102
	v_cmpx_ne_u64_e32 0, v[2:3]
	s_xor_b32 s42, exec_lo, s42
; %bb.4059:                             ;   in Loop: Header=BB4_3183 Depth=3
	v_or_b32_e32 v102, 0x7f, v5
                                        ; implicit-def: $vgpr4
; %bb.4060:                             ;   in Loop: Header=BB4_3183 Depth=3
	s_and_not1_saveexec_b32 s42, s42
; %bb.4061:                             ;   in Loop: Header=BB4_3183 Depth=3
	v_cmp_lt_i32_e32 vcc_lo, -1, v4
	v_cndmask_b32_e32 v102, 0xfc, v113, vcc_lo
; %bb.4062:                             ;   in Loop: Header=BB4_3183 Depth=3
	s_or_b32 exec_lo, exec_lo, s42
.LBB4_4063:                             ;   in Loop: Header=BB4_3183 Depth=3
	s_delay_alu instid0(SALU_CYCLE_1) | instskip(SKIP_3) | instid1(VALU_DEP_2)
	s_or_b32 exec_lo, exec_lo, s13
	v_dual_lshrrev_b32 v2, 16, v13 :: v_dual_mov_b32 v4, 0
	v_mov_b32_e32 v5, 0
	s_mov_b32 s13, exec_lo
	v_and_b32_e32 v16, 0xff, v2
	s_delay_alu instid0(VALU_DEP_1)
	v_cmpx_ne_u16_e32 0, v16
	s_cbranch_execz .LBB4_4073
; %bb.4064:                             ;   in Loop: Header=BB4_3183 Depth=3
	v_bfrev_b32_e32 v5, 1
	s_mov_b32 s42, exec_lo
	v_cmpx_ne_u16_e32 0x80, v16
	s_cbranch_execz .LBB4_4072
; %bb.4065:                             ;   in Loop: Header=BB4_3183 Depth=3
	v_and_b32_e32 v5, 0x7c0000, v13
	v_bfe_u32 v16, v13, 16, 2
	s_delay_alu instid0(VALU_DEP_2) | instskip(SKIP_1) | instid1(SALU_CYCLE_1)
	v_cmp_ne_u32_e32 vcc_lo, 0x7c0000, v5
                                        ; implicit-def: $vgpr5
	s_and_saveexec_b32 s43, vcc_lo
	s_xor_b32 s43, exec_lo, s43
	s_cbranch_execz .LBB4_4069
; %bb.4066:                             ;   in Loop: Header=BB4_3183 Depth=3
	v_bfe_u32 v5, v13, 18, 5
	s_mov_b32 s72, exec_lo
	s_delay_alu instid0(VALU_DEP_1)
	v_cmpx_eq_u32_e32 0, v5
; %bb.4067:                             ;   in Loop: Header=BB4_3183 Depth=3
	v_clz_i32_u32_e32 v5, v16
	s_delay_alu instid0(VALU_DEP_1) | instskip(NEXT) | instid1(VALU_DEP_1)
	v_min_u32_e32 v5, 32, v5
	v_subrev_nc_u32_e32 v16, 29, v5
	s_delay_alu instid0(VALU_DEP_1) | instskip(NEXT) | instid1(VALU_DEP_1)
	v_lshlrev_b64_e32 v[16:17], v16, v[2:3]
	v_dual_sub_nc_u32 v5, 30, v5 :: v_dual_bitop2_b32 v16, 3, v16 bitop3:0x40
; %bb.4068:                             ;   in Loop: Header=BB4_3183 Depth=3
	s_or_b32 exec_lo, exec_lo, s72
	v_lshlrev_b32_e32 v2, 24, v2
	s_delay_alu instid0(VALU_DEP_1) | instskip(NEXT) | instid1(VALU_DEP_1)
	v_and_b32_e32 v2, 0x80000000, v2
	v_lshl_add_u32 v2, v5, 23, v2
	s_delay_alu instid0(VALU_DEP_1) | instskip(NEXT) | instid1(VALU_DEP_1)
	v_lshl_or_b32 v2, v16, 21, v2
                                        ; implicit-def: $vgpr16
	v_add_nc_u32_e32 v5, 0x38000000, v2
                                        ; implicit-def: $vgpr2
.LBB4_4069:                             ;   in Loop: Header=BB4_3183 Depth=3
	s_and_not1_saveexec_b32 s43, s43
; %bb.4070:                             ;   in Loop: Header=BB4_3183 Depth=3
	v_bfe_i32 v2, v2, 0, 8
	s_delay_alu instid0(VALU_DEP_1) | instskip(SKIP_2) | instid1(VALU_DEP_2)
	v_cmp_lt_i16_e32 vcc_lo, -1, v2
	v_cndmask_b32_e32 v2, 0xff800000, v112, vcc_lo
	v_cmp_eq_u32_e32 vcc_lo, 0, v16
	v_cndmask_b32_e32 v5, 0x7f800001, v2, vcc_lo
; %bb.4071:                             ;   in Loop: Header=BB4_3183 Depth=3
	s_or_b32 exec_lo, exec_lo, s43
.LBB4_4072:                             ;   in Loop: Header=BB4_3183 Depth=3
	s_delay_alu instid0(SALU_CYCLE_1)
	s_or_b32 exec_lo, exec_lo, s42
.LBB4_4073:                             ;   in Loop: Header=BB4_3183 Depth=3
	s_delay_alu instid0(SALU_CYCLE_1) | instskip(SKIP_2) | instid1(VALU_DEP_1)
	s_or_b32 exec_lo, exec_lo, s13
	v_lshrrev_b32_e32 v2, 16, v9
	s_mov_b32 s13, exec_lo
	v_and_b32_e32 v16, 0xff, v2
	s_delay_alu instid0(VALU_DEP_1)
	v_cmpx_ne_u16_e32 0, v16
	s_cbranch_execz .LBB4_4083
; %bb.4074:                             ;   in Loop: Header=BB4_3183 Depth=3
	v_bfrev_b32_e32 v4, 1
	s_mov_b32 s42, exec_lo
	v_cmpx_ne_u16_e32 0x80, v16
	s_cbranch_execz .LBB4_4082
; %bb.4075:                             ;   in Loop: Header=BB4_3183 Depth=3
	v_and_b32_e32 v4, 0x7c0000, v9
	v_bfe_u32 v16, v9, 16, 2
	s_delay_alu instid0(VALU_DEP_2) | instskip(SKIP_1) | instid1(SALU_CYCLE_1)
	v_cmp_ne_u32_e32 vcc_lo, 0x7c0000, v4
                                        ; implicit-def: $vgpr4
	s_and_saveexec_b32 s43, vcc_lo
	s_xor_b32 s43, exec_lo, s43
	s_cbranch_execz .LBB4_4079
; %bb.4076:                             ;   in Loop: Header=BB4_3183 Depth=3
	v_bfe_u32 v4, v9, 18, 5
	s_mov_b32 s72, exec_lo
	s_delay_alu instid0(VALU_DEP_1)
	v_cmpx_eq_u32_e32 0, v4
; %bb.4077:                             ;   in Loop: Header=BB4_3183 Depth=3
	v_clz_i32_u32_e32 v4, v16
	s_delay_alu instid0(VALU_DEP_1) | instskip(NEXT) | instid1(VALU_DEP_1)
	v_min_u32_e32 v4, 32, v4
	v_subrev_nc_u32_e32 v16, 29, v4
	v_sub_nc_u32_e32 v4, 30, v4
	s_delay_alu instid0(VALU_DEP_2) | instskip(NEXT) | instid1(VALU_DEP_1)
	v_lshlrev_b64_e32 v[16:17], v16, v[2:3]
	v_and_b32_e32 v16, 3, v16
; %bb.4078:                             ;   in Loop: Header=BB4_3183 Depth=3
	s_or_b32 exec_lo, exec_lo, s72
	v_lshlrev_b32_e32 v2, 24, v2
	s_delay_alu instid0(VALU_DEP_1) | instskip(NEXT) | instid1(VALU_DEP_1)
	v_and_b32_e32 v2, 0x80000000, v2
	v_lshl_add_u32 v2, v4, 23, v2
	s_delay_alu instid0(VALU_DEP_1) | instskip(NEXT) | instid1(VALU_DEP_1)
	v_lshl_or_b32 v2, v16, 21, v2
                                        ; implicit-def: $vgpr16
	v_add_nc_u32_e32 v4, 0x38000000, v2
                                        ; implicit-def: $vgpr2
.LBB4_4079:                             ;   in Loop: Header=BB4_3183 Depth=3
	s_and_not1_saveexec_b32 s43, s43
; %bb.4080:                             ;   in Loop: Header=BB4_3183 Depth=3
	v_bfe_i32 v2, v2, 0, 8
	s_delay_alu instid0(VALU_DEP_1) | instskip(SKIP_2) | instid1(VALU_DEP_2)
	v_cmp_lt_i16_e32 vcc_lo, -1, v2
	v_cndmask_b32_e32 v2, 0xff800000, v112, vcc_lo
	v_cmp_eq_u32_e32 vcc_lo, 0, v16
	v_cndmask_b32_e32 v4, 0x7f800001, v2, vcc_lo
; %bb.4081:                             ;   in Loop: Header=BB4_3183 Depth=3
	s_or_b32 exec_lo, exec_lo, s43
.LBB4_4082:                             ;   in Loop: Header=BB4_3183 Depth=3
	s_delay_alu instid0(SALU_CYCLE_1)
	s_or_b32 exec_lo, exec_lo, s42
.LBB4_4083:                             ;   in Loop: Header=BB4_3183 Depth=3
	s_delay_alu instid0(SALU_CYCLE_1) | instskip(NEXT) | instid1(VALU_DEP_1)
	s_or_b32 exec_lo, exec_lo, s13
	v_dual_mul_f32 v4, v5, v4 :: v_dual_mov_b32 v17, v3
	s_delay_alu instid0(VALU_DEP_1) | instskip(SKIP_2) | instid1(VALU_DEP_3)
	v_and_b32_e32 v16, 0x7f800000, v4
	v_and_b32_e32 v2, 0x7fffff, v4
	v_lshrrev_b32_e32 v5, 24, v4
	v_cmp_ne_u64_e32 vcc_lo, 0x7f800000, v[16:17]
                                        ; implicit-def: $vgpr16
	s_and_saveexec_b32 s13, vcc_lo
	s_delay_alu instid0(SALU_CYCLE_1)
	s_xor_b32 s42, exec_lo, s13
	s_cbranch_execz .LBB4_4097
; %bb.4084:                             ;   in Loop: Header=BB4_3183 Depth=3
	v_and_b32_e32 v16, 0x7fffffff, v4
	v_mov_b32_e32 v17, v3
	v_and_b32_e32 v103, 0x80, v5
	s_delay_alu instid0(VALU_DEP_2) | instskip(SKIP_1) | instid1(SALU_CYCLE_1)
	v_cmp_gt_u64_e32 vcc_lo, 0x47600001, v[16:17]
                                        ; implicit-def: $vgpr16
	s_and_saveexec_b32 s13, vcc_lo
	s_xor_b32 s43, exec_lo, s13
	s_cbranch_execz .LBB4_4094
; %bb.4085:                             ;   in Loop: Header=BB4_3183 Depth=3
	v_mov_b32_e32 v16, 0
	s_mov_b32 s72, exec_lo
	v_cmpx_ne_u32_e32 0, v4
	s_cbranch_execz .LBB4_4093
; %bb.4086:                             ;   in Loop: Header=BB4_3183 Depth=3
	v_bfe_u32 v41, v4, 23, 8
	v_or_b32_e32 v5, 0x800000, v2
	s_delay_alu instid0(VALU_DEP_2) | instskip(SKIP_2) | instid1(VALU_DEP_2)
	v_cmp_gt_u32_e64 s13, 0x72, v41
	v_sub_nc_u32_e32 v4, 0x71, v41
	v_cmp_eq_u32_e32 vcc_lo, 0, v41
	v_cndmask_b32_e64 v4, 0, v4, s13
	s_delay_alu instid0(VALU_DEP_1) | instskip(SKIP_1) | instid1(VALU_DEP_2)
	v_cndmask_b32_e64 v44, v4, 0x70, vcc_lo
	v_dual_cndmask_b32 v4, v5, v2 :: v_dual_mov_b32 v5, v3
	v_add_nc_u32_e32 v2, 21, v44
	s_delay_alu instid0(VALU_DEP_1) | instskip(SKIP_1) | instid1(VALU_DEP_1)
	v_lshlrev_b64_e64 v[16:17], v2, -1
	v_add_nc_u32_e32 v2, 20, v44
	v_lshlrev_b64_e64 v[46:47], v2, 1
	s_delay_alu instid0(VALU_DEP_3) | instskip(SKIP_2) | instid1(VALU_DEP_1)
	v_bfi_b32 v16, v16, 0, v4
	v_lshrrev_b64 v[4:5], v44, v[4:5]
	v_bfi_b32 v17, v17, 0, 0
	v_cmp_eq_u64_e64 s13, v[16:17], v[46:47]
	s_delay_alu instid0(VALU_DEP_3)
	v_mov_b64_e32 v[16:17], v[4:5]
	s_and_saveexec_b32 s73, s13
; %bb.4087:                             ;   in Loop: Header=BB4_3183 Depth=3
	v_bfe_u32 v16, v4, 21, 1
	v_mov_b32_e32 v17, v3
	s_delay_alu instid0(VALU_DEP_1) | instskip(NEXT) | instid1(VALU_DEP_1)
	v_add_nc_u64_e32 v[16:17], v[4:5], v[16:17]
	v_add_nc_u64_e32 v[16:17], -1, v[16:17]
; %bb.4088:                             ;   in Loop: Header=BB4_3183 Depth=3
	s_or_b32 exec_lo, exec_lo, s73
	v_add_nc_u32_e32 v2, 0xffffff81, v41
	v_lshrrev_b32_e32 v5, 23, v4
	s_mov_b32 s13, exec_lo
	s_delay_alu instid0(VALU_DEP_2) | instskip(NEXT) | instid1(VALU_DEP_1)
	v_cndmask_b32_e64 v2, v2, 0xffffff82, vcc_lo
	v_add3_u32 v41, v44, v2, v5
	v_and_b32_e32 v2, 0x1fffff, v16
                                        ; implicit-def: $vgpr16
	s_delay_alu instid0(VALU_DEP_1) | instskip(NEXT) | instid1(VALU_DEP_1)
	v_dual_add_nc_u32 v17, 14, v41 :: v_dual_add_nc_u32 v2, v2, v4
                                        ; implicit-def: $vgpr4_vgpr5
	v_cmpx_ne_u32_e32 0, v17
	s_xor_b32 s13, exec_lo, s13
; %bb.4089:                             ;   in Loop: Header=BB4_3183 Depth=3
	s_delay_alu instid0(VALU_DEP_2) | instskip(SKIP_1) | instid1(VALU_DEP_1)
	v_cmp_lt_u64_e32 vcc_lo, 0xffffff, v[2:3]
	v_add_nc_u32_e32 v4, 15, v41
	v_cndmask_b32_e32 v16, v17, v4, vcc_lo
	v_cndmask_b32_e64 v4, 0, 1, vcc_lo
	s_delay_alu instid0(VALU_DEP_1)
	v_lshrrev_b64 v[4:5], v4, v[2:3]
; %bb.4090:                             ;   in Loop: Header=BB4_3183 Depth=3
	s_and_not1_saveexec_b32 s13, s13
; %bb.4091:                             ;   in Loop: Header=BB4_3183 Depth=3
	v_mov_b64_e32 v[4:5], v[2:3]
	v_bfe_u32 v16, v2, 23, 1
; %bb.4092:                             ;   in Loop: Header=BB4_3183 Depth=3
	s_or_b32 exec_lo, exec_lo, s13
	s_delay_alu instid0(VALU_DEP_2) | instskip(NEXT) | instid1(VALU_DEP_2)
	v_lshrrev_b64 v[4:5], 21, v[4:5]
	v_cmp_gt_i32_e32 vcc_lo, 32, v16
	v_min_i32_e32 v2, 31, v16
	v_cmp_eq_u32_e64 s13, 0, v16
	s_delay_alu instid0(VALU_DEP_2) | instskip(SKIP_1) | instid1(VALU_DEP_2)
	v_dual_cndmask_b32 v5, 0, v5 :: v_dual_lshlrev_b32 v2, 2, v2
	v_cndmask_b32_e32 v4, 3, v4, vcc_lo
	v_and_b32_e32 v2, 0xfc, v2
	s_delay_alu instid0(VALU_DEP_2) | instskip(NEXT) | instid1(VALU_DEP_2)
	v_cmp_eq_u64_e32 vcc_lo, 0, v[4:5]
	v_and_or_b32 v2, v4, 3, v2
	s_and_b32 s13, s13, vcc_lo
	s_delay_alu instid0(VALU_DEP_1) | instid1(SALU_CYCLE_1)
	v_cndmask_b32_e64 v2, v2, 0, s13
	s_delay_alu instid0(VALU_DEP_1)
	v_or_b32_e32 v16, v2, v103
.LBB4_4093:                             ;   in Loop: Header=BB4_3183 Depth=3
	s_or_b32 exec_lo, exec_lo, s72
                                        ; implicit-def: $vgpr103
.LBB4_4094:                             ;   in Loop: Header=BB4_3183 Depth=3
	s_and_not1_saveexec_b32 s13, s43
; %bb.4095:                             ;   in Loop: Header=BB4_3183 Depth=3
	v_or_b32_e32 v16, 0x7b, v103
; %bb.4096:                             ;   in Loop: Header=BB4_3183 Depth=3
	s_or_b32 exec_lo, exec_lo, s13
                                        ; implicit-def: $vgpr4
                                        ; implicit-def: $vgpr5
.LBB4_4097:                             ;   in Loop: Header=BB4_3183 Depth=3
	s_and_not1_saveexec_b32 s13, s42
	s_cbranch_execz .LBB4_4103
; %bb.4098:                             ;   in Loop: Header=BB4_3183 Depth=3
	s_mov_b32 s42, exec_lo
                                        ; implicit-def: $vgpr16
	v_cmpx_ne_u64_e32 0, v[2:3]
	s_xor_b32 s42, exec_lo, s42
; %bb.4099:                             ;   in Loop: Header=BB4_3183 Depth=3
	v_or_b32_e32 v16, 0x7f, v5
                                        ; implicit-def: $vgpr4
; %bb.4100:                             ;   in Loop: Header=BB4_3183 Depth=3
	s_and_not1_saveexec_b32 s42, s42
; %bb.4101:                             ;   in Loop: Header=BB4_3183 Depth=3
	v_cmp_lt_i32_e32 vcc_lo, -1, v4
	v_cndmask_b32_e32 v16, 0xfc, v113, vcc_lo
; %bb.4102:                             ;   in Loop: Header=BB4_3183 Depth=3
	s_or_b32 exec_lo, exec_lo, s42
.LBB4_4103:                             ;   in Loop: Header=BB4_3183 Depth=3
	s_delay_alu instid0(SALU_CYCLE_1)
	s_or_b32 exec_lo, exec_lo, s13
	v_dual_mov_b32 v4, 0 :: v_dual_mov_b32 v5, 0
	s_mov_b32 s13, exec_lo
	v_cmpx_lt_u64_e64 s[22:23], v[12:13]
	s_cbranch_execz .LBB4_4113
; %bb.4104:                             ;   in Loop: Header=BB4_3183 Depth=3
	v_lshrrev_b32_e32 v2, 24, v13
	v_bfrev_b32_e32 v5, 1
	s_mov_b32 s42, exec_lo
	s_delay_alu instid0(VALU_DEP_2)
	v_cmpx_ne_u32_e32 0x80, v2
	s_cbranch_execz .LBB4_4112
; %bb.4105:                             ;   in Loop: Header=BB4_3183 Depth=3
	v_and_b32_e32 v5, 0x7c000000, v13
	v_bfe_u32 v17, v13, 24, 2
	s_delay_alu instid0(VALU_DEP_2) | instskip(SKIP_1) | instid1(SALU_CYCLE_1)
	v_cmp_ne_u32_e32 vcc_lo, 0x7c000000, v5
                                        ; implicit-def: $vgpr5
	s_and_saveexec_b32 s43, vcc_lo
	s_xor_b32 s43, exec_lo, s43
	s_cbranch_execz .LBB4_4109
; %bb.4106:                             ;   in Loop: Header=BB4_3183 Depth=3
	v_bfe_u32 v5, v13, 26, 5
	s_mov_b32 s72, exec_lo
	s_delay_alu instid0(VALU_DEP_1)
	v_cmpx_eq_u32_e32 0, v5
; %bb.4107:                             ;   in Loop: Header=BB4_3183 Depth=3
	v_clz_i32_u32_e32 v5, v17
	s_delay_alu instid0(VALU_DEP_1) | instskip(NEXT) | instid1(VALU_DEP_1)
	v_min_u32_e32 v5, 32, v5
	v_subrev_nc_u32_e32 v17, 29, v5
	s_delay_alu instid0(VALU_DEP_1) | instskip(NEXT) | instid1(VALU_DEP_1)
	v_lshlrev_b64_e32 v[44:45], v17, v[2:3]
	v_dual_sub_nc_u32 v5, 30, v5 :: v_dual_bitop2_b32 v17, 3, v44 bitop3:0x40
; %bb.4108:                             ;   in Loop: Header=BB4_3183 Depth=3
	s_or_b32 exec_lo, exec_lo, s72
	v_and_b32_e32 v2, 0x80000000, v13
	s_delay_alu instid0(VALU_DEP_1) | instskip(NEXT) | instid1(VALU_DEP_1)
	v_lshl_add_u32 v2, v5, 23, v2
	v_lshl_or_b32 v2, v17, 21, v2
                                        ; implicit-def: $vgpr17
	s_delay_alu instid0(VALU_DEP_1)
	v_add_nc_u32_e32 v5, 0x38000000, v2
.LBB4_4109:                             ;   in Loop: Header=BB4_3183 Depth=3
	s_and_not1_saveexec_b32 s43, s43
; %bb.4110:                             ;   in Loop: Header=BB4_3183 Depth=3
	v_cmp_lt_i64_e32 vcc_lo, -1, v[12:13]
	v_cndmask_b32_e32 v2, 0xff800000, v112, vcc_lo
	v_cmp_eq_u32_e32 vcc_lo, 0, v17
	s_delay_alu instid0(VALU_DEP_2)
	v_cndmask_b32_e32 v5, 0x7f800001, v2, vcc_lo
; %bb.4111:                             ;   in Loop: Header=BB4_3183 Depth=3
	s_or_b32 exec_lo, exec_lo, s43
.LBB4_4112:                             ;   in Loop: Header=BB4_3183 Depth=3
	s_delay_alu instid0(SALU_CYCLE_1)
	s_or_b32 exec_lo, exec_lo, s42
.LBB4_4113:                             ;   in Loop: Header=BB4_3183 Depth=3
	s_delay_alu instid0(SALU_CYCLE_1) | instskip(NEXT) | instid1(SALU_CYCLE_1)
	s_or_b32 exec_lo, exec_lo, s13
	s_mov_b32 s13, exec_lo
	v_cmpx_lt_u64_e64 s[22:23], v[8:9]
	s_cbranch_execz .LBB4_4123
; %bb.4114:                             ;   in Loop: Header=BB4_3183 Depth=3
	v_lshrrev_b32_e32 v2, 24, v9
	v_bfrev_b32_e32 v4, 1
	s_mov_b32 s42, exec_lo
	s_delay_alu instid0(VALU_DEP_2)
	v_cmpx_ne_u32_e32 0x80, v2
	s_cbranch_execz .LBB4_4122
; %bb.4115:                             ;   in Loop: Header=BB4_3183 Depth=3
	v_and_b32_e32 v4, 0x7c000000, v9
	v_bfe_u32 v12, v9, 24, 2
	s_delay_alu instid0(VALU_DEP_2) | instskip(SKIP_1) | instid1(SALU_CYCLE_1)
	v_cmp_ne_u32_e32 vcc_lo, 0x7c000000, v4
                                        ; implicit-def: $vgpr4
	s_and_saveexec_b32 s43, vcc_lo
	s_xor_b32 s43, exec_lo, s43
	s_cbranch_execz .LBB4_4119
; %bb.4116:                             ;   in Loop: Header=BB4_3183 Depth=3
	v_bfe_u32 v4, v9, 26, 5
	s_mov_b32 s72, exec_lo
	s_delay_alu instid0(VALU_DEP_1)
	v_cmpx_eq_u32_e32 0, v4
; %bb.4117:                             ;   in Loop: Header=BB4_3183 Depth=3
	v_clz_i32_u32_e32 v4, v12
	s_delay_alu instid0(VALU_DEP_1) | instskip(NEXT) | instid1(VALU_DEP_1)
	v_min_u32_e32 v4, 32, v4
	v_subrev_nc_u32_e32 v12, 29, v4
	v_sub_nc_u32_e32 v4, 30, v4
	s_delay_alu instid0(VALU_DEP_2) | instskip(NEXT) | instid1(VALU_DEP_1)
	v_lshlrev_b64_e32 v[12:13], v12, v[2:3]
	v_and_b32_e32 v12, 3, v12
; %bb.4118:                             ;   in Loop: Header=BB4_3183 Depth=3
	s_or_b32 exec_lo, exec_lo, s72
	v_and_b32_e32 v2, 0x80000000, v9
	s_delay_alu instid0(VALU_DEP_1) | instskip(NEXT) | instid1(VALU_DEP_1)
	v_lshl_add_u32 v2, v4, 23, v2
	v_lshl_or_b32 v2, v12, 21, v2
                                        ; implicit-def: $vgpr12
	s_delay_alu instid0(VALU_DEP_1)
	v_add_nc_u32_e32 v4, 0x38000000, v2
.LBB4_4119:                             ;   in Loop: Header=BB4_3183 Depth=3
	s_and_not1_saveexec_b32 s43, s43
; %bb.4120:                             ;   in Loop: Header=BB4_3183 Depth=3
	v_cmp_lt_i64_e32 vcc_lo, -1, v[8:9]
	v_cndmask_b32_e32 v2, 0xff800000, v112, vcc_lo
	v_cmp_eq_u32_e32 vcc_lo, 0, v12
	s_delay_alu instid0(VALU_DEP_2)
	v_cndmask_b32_e32 v4, 0x7f800001, v2, vcc_lo
; %bb.4121:                             ;   in Loop: Header=BB4_3183 Depth=3
	s_or_b32 exec_lo, exec_lo, s43
.LBB4_4122:                             ;   in Loop: Header=BB4_3183 Depth=3
	s_delay_alu instid0(SALU_CYCLE_1)
	s_or_b32 exec_lo, exec_lo, s42
.LBB4_4123:                             ;   in Loop: Header=BB4_3183 Depth=3
	s_delay_alu instid0(SALU_CYCLE_1) | instskip(NEXT) | instid1(VALU_DEP_1)
	s_or_b32 exec_lo, exec_lo, s13
	v_dual_mul_f32 v4, v5, v4 :: v_dual_mov_b32 v9, v3
                                        ; implicit-def: $vgpr12
	s_mov_b32 s13, exec_lo
	s_delay_alu instid0(VALU_DEP_1) | instskip(SKIP_2) | instid1(VALU_DEP_3)
	v_and_b32_e32 v8, 0x7f800000, v4
	v_and_b32_e32 v2, 0x7fffff, v4
	v_lshrrev_b32_e32 v5, 24, v4
	v_cmpx_ne_u64_e32 0x7f800000, v[8:9]
	s_xor_b32 s42, exec_lo, s13
	s_cbranch_execz .LBB4_4137
; %bb.4124:                             ;   in Loop: Header=BB4_3183 Depth=3
	v_and_b32_e32 v8, 0x7fffffff, v4
	v_mov_b32_e32 v9, v3
	v_and_b32_e32 v13, 0x80, v5
                                        ; implicit-def: $vgpr12
	s_mov_b32 s13, exec_lo
	s_delay_alu instid0(VALU_DEP_2)
	v_cmpx_gt_u64_e32 0x47600001, v[8:9]
	s_xor_b32 s43, exec_lo, s13
	s_cbranch_execz .LBB4_4134
; %bb.4125:                             ;   in Loop: Header=BB4_3183 Depth=3
	v_mov_b32_e32 v12, 0
	s_mov_b32 s72, exec_lo
	v_cmpx_ne_u32_e32 0, v4
	s_cbranch_execz .LBB4_4133
; %bb.4126:                             ;   in Loop: Header=BB4_3183 Depth=3
	v_bfe_u32 v12, v4, 23, 8
	v_or_b32_e32 v5, 0x800000, v2
	s_delay_alu instid0(VALU_DEP_2) | instskip(SKIP_2) | instid1(VALU_DEP_2)
	v_cmp_gt_u32_e64 s13, 0x72, v12
	v_sub_nc_u32_e32 v4, 0x71, v12
	v_cmp_eq_u32_e32 vcc_lo, 0, v12
	v_cndmask_b32_e64 v4, 0, v4, s13
	s_delay_alu instid0(VALU_DEP_1) | instskip(SKIP_1) | instid1(VALU_DEP_2)
	v_cndmask_b32_e64 v17, v4, 0x70, vcc_lo
	v_dual_cndmask_b32 v4, v5, v2 :: v_dual_mov_b32 v5, v3
	v_add_nc_u32_e32 v2, 21, v17
	s_delay_alu instid0(VALU_DEP_1) | instskip(SKIP_1) | instid1(VALU_DEP_1)
	v_lshlrev_b64_e64 v[8:9], v2, -1
	v_add_nc_u32_e32 v2, 20, v17
	v_lshlrev_b64_e64 v[44:45], v2, 1
	s_delay_alu instid0(VALU_DEP_3) | instskip(SKIP_2) | instid1(VALU_DEP_1)
	v_bfi_b32 v8, v8, 0, v4
	v_lshrrev_b64 v[4:5], v17, v[4:5]
	v_bfi_b32 v9, v9, 0, 0
	v_cmp_eq_u64_e64 s13, v[8:9], v[44:45]
	s_delay_alu instid0(VALU_DEP_3)
	v_mov_b64_e32 v[8:9], v[4:5]
	s_and_saveexec_b32 s73, s13
; %bb.4127:                             ;   in Loop: Header=BB4_3183 Depth=3
	v_bfe_u32 v8, v4, 21, 1
	v_mov_b32_e32 v9, v3
	s_delay_alu instid0(VALU_DEP_1) | instskip(NEXT) | instid1(VALU_DEP_1)
	v_add_nc_u64_e32 v[8:9], v[4:5], v[8:9]
	v_add_nc_u64_e32 v[8:9], -1, v[8:9]
; %bb.4128:                             ;   in Loop: Header=BB4_3183 Depth=3
	s_or_b32 exec_lo, exec_lo, s73
	v_add_nc_u32_e32 v2, 0xffffff81, v12
	v_lshrrev_b32_e32 v5, 23, v4
	s_mov_b32 s13, exec_lo
	s_delay_alu instid0(VALU_DEP_2) | instskip(NEXT) | instid1(VALU_DEP_1)
	v_cndmask_b32_e64 v2, v2, 0xffffff82, vcc_lo
	v_add3_u32 v9, v17, v2, v5
	v_and_b32_e32 v2, 0x1fffff, v8
                                        ; implicit-def: $vgpr8
	s_delay_alu instid0(VALU_DEP_1) | instskip(NEXT) | instid1(VALU_DEP_1)
	v_dual_add_nc_u32 v12, 14, v9 :: v_dual_add_nc_u32 v2, v2, v4
                                        ; implicit-def: $vgpr4_vgpr5
	v_cmpx_ne_u32_e32 0, v12
	s_xor_b32 s13, exec_lo, s13
; %bb.4129:                             ;   in Loop: Header=BB4_3183 Depth=3
	s_delay_alu instid0(VALU_DEP_2) | instskip(SKIP_1) | instid1(VALU_DEP_1)
	v_cmp_lt_u64_e32 vcc_lo, 0xffffff, v[2:3]
	v_add_nc_u32_e32 v4, 15, v9
	v_cndmask_b32_e32 v8, v12, v4, vcc_lo
	v_cndmask_b32_e64 v4, 0, 1, vcc_lo
	s_delay_alu instid0(VALU_DEP_1)
	v_lshrrev_b64 v[4:5], v4, v[2:3]
; %bb.4130:                             ;   in Loop: Header=BB4_3183 Depth=3
	s_and_not1_saveexec_b32 s13, s13
; %bb.4131:                             ;   in Loop: Header=BB4_3183 Depth=3
	v_mov_b64_e32 v[4:5], v[2:3]
	v_bfe_u32 v8, v2, 23, 1
; %bb.4132:                             ;   in Loop: Header=BB4_3183 Depth=3
	s_or_b32 exec_lo, exec_lo, s13
	s_delay_alu instid0(VALU_DEP_2) | instskip(NEXT) | instid1(VALU_DEP_2)
	v_lshrrev_b64 v[4:5], 21, v[4:5]
	v_cmp_gt_i32_e32 vcc_lo, 32, v8
	v_min_i32_e32 v2, 31, v8
	v_cmp_eq_u32_e64 s13, 0, v8
	s_delay_alu instid0(VALU_DEP_2) | instskip(SKIP_1) | instid1(VALU_DEP_2)
	v_dual_cndmask_b32 v5, 0, v5 :: v_dual_lshlrev_b32 v2, 2, v2
	v_cndmask_b32_e32 v4, 3, v4, vcc_lo
	v_and_b32_e32 v2, 0xfc, v2
	s_delay_alu instid0(VALU_DEP_2) | instskip(NEXT) | instid1(VALU_DEP_2)
	v_cmp_eq_u64_e32 vcc_lo, 0, v[4:5]
	v_and_or_b32 v2, v4, 3, v2
	s_and_b32 s13, s13, vcc_lo
	s_delay_alu instid0(VALU_DEP_1) | instid1(SALU_CYCLE_1)
	v_cndmask_b32_e64 v2, v2, 0, s13
	s_delay_alu instid0(VALU_DEP_1)
	v_or_b32_e32 v12, v2, v13
.LBB4_4133:                             ;   in Loop: Header=BB4_3183 Depth=3
	s_or_b32 exec_lo, exec_lo, s72
                                        ; implicit-def: $vgpr13
.LBB4_4134:                             ;   in Loop: Header=BB4_3183 Depth=3
	s_and_not1_saveexec_b32 s13, s43
; %bb.4135:                             ;   in Loop: Header=BB4_3183 Depth=3
	v_or_b32_e32 v12, 0x7b, v13
; %bb.4136:                             ;   in Loop: Header=BB4_3183 Depth=3
	s_or_b32 exec_lo, exec_lo, s13
                                        ; implicit-def: $vgpr4
                                        ; implicit-def: $vgpr5
.LBB4_4137:                             ;   in Loop: Header=BB4_3183 Depth=3
	s_and_not1_saveexec_b32 s13, s42
	s_cbranch_execz .LBB4_4143
; %bb.4138:                             ;   in Loop: Header=BB4_3183 Depth=3
	s_mov_b32 s42, exec_lo
                                        ; implicit-def: $vgpr12
	v_cmpx_ne_u64_e32 0, v[2:3]
	s_xor_b32 s42, exec_lo, s42
; %bb.4139:                             ;   in Loop: Header=BB4_3183 Depth=3
	v_or_b32_e32 v12, 0x7f, v5
                                        ; implicit-def: $vgpr4
; %bb.4140:                             ;   in Loop: Header=BB4_3183 Depth=3
	s_and_not1_saveexec_b32 s42, s42
; %bb.4141:                             ;   in Loop: Header=BB4_3183 Depth=3
	v_cmp_lt_i32_e32 vcc_lo, -1, v4
	v_cndmask_b32_e32 v12, 0xfc, v113, vcc_lo
; %bb.4142:                             ;   in Loop: Header=BB4_3183 Depth=3
	s_or_b32 exec_lo, exec_lo, s42
.LBB4_4143:                             ;   in Loop: Header=BB4_3183 Depth=3
	s_delay_alu instid0(SALU_CYCLE_1) | instskip(SKIP_2) | instid1(VALU_DEP_2)
	s_or_b32 exec_lo, exec_lo, s13
	v_and_b32_e32 v4, 0xff, v14
	v_mov_b32_e32 v2, 0
	v_cmp_ne_u16_e32 vcc_lo, 0, v4
	v_mov_b32_e32 v4, 0
	s_and_saveexec_b32 s13, vcc_lo
	s_cbranch_execz .LBB4_4153
; %bb.4144:                             ;   in Loop: Header=BB4_3183 Depth=3
	v_bfe_i32 v8, v14, 0, 8
	v_bfrev_b32_e32 v4, 1
	s_mov_b32 s42, exec_lo
	s_delay_alu instid0(VALU_DEP_2)
	v_cmpx_ne_u16_e32 0xff80, v8
	s_cbranch_execz .LBB4_4152
; %bb.4145:                             ;   in Loop: Header=BB4_3183 Depth=3
	v_and_b32_e32 v4, 0x7c, v14
	v_and_b32_e32 v5, 3, v14
	s_delay_alu instid0(VALU_DEP_2) | instskip(SKIP_1) | instid1(SALU_CYCLE_1)
	v_cmp_ne_u32_e32 vcc_lo, 0x7c, v4
                                        ; implicit-def: $vgpr4
	s_and_saveexec_b32 s43, vcc_lo
	s_xor_b32 s43, exec_lo, s43
	s_cbranch_execz .LBB4_4149
; %bb.4146:                             ;   in Loop: Header=BB4_3183 Depth=3
	v_bfe_u32 v4, v14, 2, 5
	s_mov_b32 s72, exec_lo
	s_delay_alu instid0(VALU_DEP_1)
	v_cmpx_eq_u32_e32 0, v4
; %bb.4147:                             ;   in Loop: Header=BB4_3183 Depth=3
	v_clz_i32_u32_e32 v4, v5
	s_delay_alu instid0(VALU_DEP_1) | instskip(NEXT) | instid1(VALU_DEP_1)
	v_min_u32_e32 v4, 32, v4
	v_subrev_nc_u32_e32 v5, 29, v4
	v_sub_nc_u32_e32 v4, 30, v4
	s_delay_alu instid0(VALU_DEP_2) | instskip(NEXT) | instid1(VALU_DEP_1)
	v_lshlrev_b64_e32 v[8:9], v5, v[14:15]
	v_and_b32_e32 v5, 3, v8
; %bb.4148:                             ;   in Loop: Header=BB4_3183 Depth=3
	s_or_b32 exec_lo, exec_lo, s72
	v_lshlrev_b32_e32 v8, 24, v14
	s_delay_alu instid0(VALU_DEP_1) | instskip(NEXT) | instid1(VALU_DEP_1)
	v_and_b32_e32 v8, 0x80000000, v8
	v_lshl_add_u32 v4, v4, 23, v8
                                        ; implicit-def: $vgpr8
	s_delay_alu instid0(VALU_DEP_1) | instskip(NEXT) | instid1(VALU_DEP_1)
	v_lshl_or_b32 v4, v5, 21, v4
                                        ; implicit-def: $vgpr5
	v_add_nc_u32_e32 v4, 0x38000000, v4
.LBB4_4149:                             ;   in Loop: Header=BB4_3183 Depth=3
	s_and_not1_saveexec_b32 s43, s43
; %bb.4150:                             ;   in Loop: Header=BB4_3183 Depth=3
	v_cmp_lt_i16_e32 vcc_lo, -1, v8
	v_cndmask_b32_e32 v4, 0xff800000, v112, vcc_lo
	v_cmp_eq_u32_e32 vcc_lo, 0, v5
	s_delay_alu instid0(VALU_DEP_2)
	v_cndmask_b32_e32 v4, 0x7f800001, v4, vcc_lo
; %bb.4151:                             ;   in Loop: Header=BB4_3183 Depth=3
	s_or_b32 exec_lo, exec_lo, s43
.LBB4_4152:                             ;   in Loop: Header=BB4_3183 Depth=3
	s_delay_alu instid0(SALU_CYCLE_1)
	s_or_b32 exec_lo, exec_lo, s42
.LBB4_4153:                             ;   in Loop: Header=BB4_3183 Depth=3
	s_delay_alu instid0(SALU_CYCLE_1) | instskip(SKIP_2) | instid1(VALU_DEP_1)
	s_or_b32 exec_lo, exec_lo, s13
	v_and_b32_e32 v5, 0xff, v10
	s_mov_b32 s13, exec_lo
	v_cmpx_ne_u16_e32 0, v5
	s_cbranch_execz .LBB4_4163
; %bb.4154:                             ;   in Loop: Header=BB4_3183 Depth=3
	v_bfe_i32 v8, v10, 0, 8
	v_bfrev_b32_e32 v2, 1
	s_mov_b32 s42, exec_lo
	s_delay_alu instid0(VALU_DEP_2)
	v_cmpx_ne_u16_e32 0xff80, v8
	s_cbranch_execz .LBB4_4162
; %bb.4155:                             ;   in Loop: Header=BB4_3183 Depth=3
	v_and_b32_e32 v2, 0x7c, v10
	v_and_b32_e32 v5, 3, v10
	s_delay_alu instid0(VALU_DEP_2) | instskip(SKIP_1) | instid1(SALU_CYCLE_1)
	v_cmp_ne_u32_e32 vcc_lo, 0x7c, v2
                                        ; implicit-def: $vgpr2
	s_and_saveexec_b32 s43, vcc_lo
	s_xor_b32 s43, exec_lo, s43
	s_cbranch_execz .LBB4_4159
; %bb.4156:                             ;   in Loop: Header=BB4_3183 Depth=3
	v_bfe_u32 v2, v10, 2, 5
	s_mov_b32 s72, exec_lo
	s_delay_alu instid0(VALU_DEP_1)
	v_cmpx_eq_u32_e32 0, v2
; %bb.4157:                             ;   in Loop: Header=BB4_3183 Depth=3
	v_clz_i32_u32_e32 v2, v5
	s_delay_alu instid0(VALU_DEP_1) | instskip(NEXT) | instid1(VALU_DEP_1)
	v_min_u32_e32 v2, 32, v2
	v_subrev_nc_u32_e32 v5, 29, v2
	s_delay_alu instid0(VALU_DEP_1) | instskip(NEXT) | instid1(VALU_DEP_1)
	v_lshlrev_b64_e32 v[8:9], v5, v[10:11]
	v_dual_sub_nc_u32 v2, 30, v2 :: v_dual_bitop2_b32 v5, 3, v8 bitop3:0x40
; %bb.4158:                             ;   in Loop: Header=BB4_3183 Depth=3
	s_or_b32 exec_lo, exec_lo, s72
	v_lshlrev_b32_e32 v8, 24, v10
	s_delay_alu instid0(VALU_DEP_1) | instskip(NEXT) | instid1(VALU_DEP_1)
	v_and_b32_e32 v8, 0x80000000, v8
	v_lshl_add_u32 v2, v2, 23, v8
                                        ; implicit-def: $vgpr8
	s_delay_alu instid0(VALU_DEP_1) | instskip(NEXT) | instid1(VALU_DEP_1)
	v_lshl_or_b32 v2, v5, 21, v2
                                        ; implicit-def: $vgpr5
	v_add_nc_u32_e32 v2, 0x38000000, v2
.LBB4_4159:                             ;   in Loop: Header=BB4_3183 Depth=3
	s_and_not1_saveexec_b32 s43, s43
; %bb.4160:                             ;   in Loop: Header=BB4_3183 Depth=3
	v_cmp_lt_i16_e32 vcc_lo, -1, v8
	v_cndmask_b32_e32 v2, 0xff800000, v112, vcc_lo
	v_cmp_eq_u32_e32 vcc_lo, 0, v5
	s_delay_alu instid0(VALU_DEP_2)
	v_cndmask_b32_e32 v2, 0x7f800001, v2, vcc_lo
; %bb.4161:                             ;   in Loop: Header=BB4_3183 Depth=3
	s_or_b32 exec_lo, exec_lo, s43
.LBB4_4162:                             ;   in Loop: Header=BB4_3183 Depth=3
	s_delay_alu instid0(SALU_CYCLE_1)
	s_or_b32 exec_lo, exec_lo, s42
.LBB4_4163:                             ;   in Loop: Header=BB4_3183 Depth=3
	s_delay_alu instid0(SALU_CYCLE_1) | instskip(NEXT) | instid1(VALU_DEP_1)
	s_or_b32 exec_lo, exec_lo, s13
	v_dual_mul_f32 v4, v4, v2 :: v_dual_mov_b32 v9, v3
                                        ; implicit-def: $vgpr13
	s_mov_b32 s13, exec_lo
	s_delay_alu instid0(VALU_DEP_1) | instskip(SKIP_2) | instid1(VALU_DEP_3)
	v_and_b32_e32 v8, 0x7f800000, v4
	v_and_b32_e32 v2, 0x7fffff, v4
	v_lshrrev_b32_e32 v5, 24, v4
	v_cmpx_ne_u64_e32 0x7f800000, v[8:9]
	s_xor_b32 s42, exec_lo, s13
	s_cbranch_execz .LBB4_4177
; %bb.4164:                             ;   in Loop: Header=BB4_3183 Depth=3
	v_and_b32_e32 v8, 0x7fffffff, v4
	v_mov_b32_e32 v9, v3
	v_and_b32_e32 v17, 0x80, v5
                                        ; implicit-def: $vgpr13
	s_mov_b32 s13, exec_lo
	s_delay_alu instid0(VALU_DEP_2)
	v_cmpx_gt_u64_e32 0x47600001, v[8:9]
	s_xor_b32 s43, exec_lo, s13
	s_cbranch_execz .LBB4_4174
; %bb.4165:                             ;   in Loop: Header=BB4_3183 Depth=3
	v_mov_b32_e32 v13, 0
	s_mov_b32 s72, exec_lo
	v_cmpx_ne_u32_e32 0, v4
	s_cbranch_execz .LBB4_4173
; %bb.4166:                             ;   in Loop: Header=BB4_3183 Depth=3
	v_bfe_u32 v13, v4, 23, 8
	v_or_b32_e32 v5, 0x800000, v2
	s_delay_alu instid0(VALU_DEP_2) | instskip(SKIP_2) | instid1(VALU_DEP_2)
	v_cmp_gt_u32_e64 s13, 0x72, v13
	v_sub_nc_u32_e32 v4, 0x71, v13
	v_cmp_eq_u32_e32 vcc_lo, 0, v13
	v_cndmask_b32_e64 v4, 0, v4, s13
	s_delay_alu instid0(VALU_DEP_1) | instskip(SKIP_1) | instid1(VALU_DEP_2)
	v_cndmask_b32_e64 v103, v4, 0x70, vcc_lo
	v_dual_cndmask_b32 v4, v5, v2 :: v_dual_mov_b32 v5, v3
	v_add_nc_u32_e32 v2, 21, v103
	s_delay_alu instid0(VALU_DEP_1) | instskip(SKIP_1) | instid1(VALU_DEP_1)
	v_lshlrev_b64_e64 v[8:9], v2, -1
	v_add_nc_u32_e32 v2, 20, v103
	v_lshlrev_b64_e64 v[44:45], v2, 1
	s_delay_alu instid0(VALU_DEP_3) | instskip(SKIP_2) | instid1(VALU_DEP_1)
	v_bfi_b32 v8, v8, 0, v4
	v_lshrrev_b64 v[4:5], v103, v[4:5]
	v_bfi_b32 v9, v9, 0, 0
	v_cmp_eq_u64_e64 s13, v[8:9], v[44:45]
	s_delay_alu instid0(VALU_DEP_3)
	v_mov_b64_e32 v[8:9], v[4:5]
	s_and_saveexec_b32 s73, s13
; %bb.4167:                             ;   in Loop: Header=BB4_3183 Depth=3
	v_bfe_u32 v8, v4, 21, 1
	v_mov_b32_e32 v9, v3
	s_delay_alu instid0(VALU_DEP_1) | instskip(NEXT) | instid1(VALU_DEP_1)
	v_add_nc_u64_e32 v[8:9], v[4:5], v[8:9]
	v_add_nc_u64_e32 v[8:9], -1, v[8:9]
; %bb.4168:                             ;   in Loop: Header=BB4_3183 Depth=3
	s_or_b32 exec_lo, exec_lo, s73
	v_add_nc_u32_e32 v2, 0xffffff81, v13
	v_lshrrev_b32_e32 v5, 23, v4
	s_mov_b32 s13, exec_lo
	s_delay_alu instid0(VALU_DEP_2) | instskip(NEXT) | instid1(VALU_DEP_1)
	v_cndmask_b32_e64 v2, v2, 0xffffff82, vcc_lo
	v_add3_u32 v9, v103, v2, v5
	v_and_b32_e32 v2, 0x1fffff, v8
                                        ; implicit-def: $vgpr8
	s_delay_alu instid0(VALU_DEP_1) | instskip(NEXT) | instid1(VALU_DEP_1)
	v_dual_add_nc_u32 v13, 14, v9 :: v_dual_add_nc_u32 v2, v2, v4
                                        ; implicit-def: $vgpr4_vgpr5
	v_cmpx_ne_u32_e32 0, v13
	s_xor_b32 s13, exec_lo, s13
; %bb.4169:                             ;   in Loop: Header=BB4_3183 Depth=3
	s_delay_alu instid0(VALU_DEP_2) | instskip(SKIP_1) | instid1(VALU_DEP_1)
	v_cmp_lt_u64_e32 vcc_lo, 0xffffff, v[2:3]
	v_add_nc_u32_e32 v4, 15, v9
	v_cndmask_b32_e32 v8, v13, v4, vcc_lo
	v_cndmask_b32_e64 v4, 0, 1, vcc_lo
	s_delay_alu instid0(VALU_DEP_1)
	v_lshrrev_b64 v[4:5], v4, v[2:3]
; %bb.4170:                             ;   in Loop: Header=BB4_3183 Depth=3
	s_and_not1_saveexec_b32 s13, s13
; %bb.4171:                             ;   in Loop: Header=BB4_3183 Depth=3
	v_mov_b64_e32 v[4:5], v[2:3]
	v_bfe_u32 v8, v2, 23, 1
; %bb.4172:                             ;   in Loop: Header=BB4_3183 Depth=3
	s_or_b32 exec_lo, exec_lo, s13
	s_delay_alu instid0(VALU_DEP_2) | instskip(NEXT) | instid1(VALU_DEP_2)
	v_lshrrev_b64 v[4:5], 21, v[4:5]
	v_cmp_gt_i32_e32 vcc_lo, 32, v8
	v_min_i32_e32 v2, 31, v8
	v_cmp_eq_u32_e64 s13, 0, v8
	s_delay_alu instid0(VALU_DEP_2) | instskip(SKIP_1) | instid1(VALU_DEP_2)
	v_dual_cndmask_b32 v5, 0, v5 :: v_dual_lshlrev_b32 v2, 2, v2
	v_cndmask_b32_e32 v4, 3, v4, vcc_lo
	v_and_b32_e32 v2, 0xfc, v2
	s_delay_alu instid0(VALU_DEP_2) | instskip(NEXT) | instid1(VALU_DEP_2)
	v_cmp_eq_u64_e32 vcc_lo, 0, v[4:5]
	v_and_or_b32 v2, v4, 3, v2
	s_and_b32 s13, s13, vcc_lo
	s_delay_alu instid0(VALU_DEP_1) | instid1(SALU_CYCLE_1)
	v_cndmask_b32_e64 v2, v2, 0, s13
	s_delay_alu instid0(VALU_DEP_1)
	v_or_b32_e32 v13, v2, v17
.LBB4_4173:                             ;   in Loop: Header=BB4_3183 Depth=3
	s_or_b32 exec_lo, exec_lo, s72
                                        ; implicit-def: $vgpr17
.LBB4_4174:                             ;   in Loop: Header=BB4_3183 Depth=3
	s_and_not1_saveexec_b32 s13, s43
; %bb.4175:                             ;   in Loop: Header=BB4_3183 Depth=3
	v_or_b32_e32 v13, 0x7b, v17
; %bb.4176:                             ;   in Loop: Header=BB4_3183 Depth=3
	s_or_b32 exec_lo, exec_lo, s13
                                        ; implicit-def: $vgpr4
                                        ; implicit-def: $vgpr5
.LBB4_4177:                             ;   in Loop: Header=BB4_3183 Depth=3
	s_and_not1_saveexec_b32 s13, s42
	s_cbranch_execz .LBB4_4183
; %bb.4178:                             ;   in Loop: Header=BB4_3183 Depth=3
	s_mov_b32 s42, exec_lo
                                        ; implicit-def: $vgpr13
	v_cmpx_ne_u64_e32 0, v[2:3]
	s_xor_b32 s42, exec_lo, s42
; %bb.4179:                             ;   in Loop: Header=BB4_3183 Depth=3
	v_or_b32_e32 v13, 0x7f, v5
                                        ; implicit-def: $vgpr4
; %bb.4180:                             ;   in Loop: Header=BB4_3183 Depth=3
	s_and_not1_saveexec_b32 s42, s42
; %bb.4181:                             ;   in Loop: Header=BB4_3183 Depth=3
	v_cmp_lt_i32_e32 vcc_lo, -1, v4
	v_cndmask_b32_e32 v13, 0xfc, v113, vcc_lo
; %bb.4182:                             ;   in Loop: Header=BB4_3183 Depth=3
	s_or_b32 exec_lo, exec_lo, s42
.LBB4_4183:                             ;   in Loop: Header=BB4_3183 Depth=3
	s_delay_alu instid0(SALU_CYCLE_1) | instskip(SKIP_3) | instid1(VALU_DEP_2)
	s_or_b32 exec_lo, exec_lo, s13
	v_lshrrev_b16 v4, 8, v14
	v_dual_mov_b32 v2, 0 :: v_dual_mov_b32 v8, 0
	s_mov_b32 s13, exec_lo
	v_cmpx_ne_u16_e32 0, v4
	s_cbranch_execz .LBB4_4193
; %bb.4184:                             ;   in Loop: Header=BB4_3183 Depth=3
	v_bfrev_b32_e32 v8, 1
	s_mov_b32 s42, exec_lo
	v_cmpx_ne_u16_e32 0x80, v4
	s_cbranch_execz .LBB4_4192
; %bb.4185:                             ;   in Loop: Header=BB4_3183 Depth=3
	v_and_b32_e32 v9, 0xffff, v4
	s_delay_alu instid0(VALU_DEP_1) | instskip(SKIP_1) | instid1(VALU_DEP_2)
	v_and_b32_e32 v8, 0x7c, v9
	v_and_b32_e32 v5, 3, v9
	v_cmp_ne_u32_e32 vcc_lo, 0x7c, v8
                                        ; implicit-def: $vgpr8
	s_and_saveexec_b32 s43, vcc_lo
	s_delay_alu instid0(SALU_CYCLE_1)
	s_xor_b32 s43, exec_lo, s43
	s_cbranch_execz .LBB4_4189
; %bb.4186:                             ;   in Loop: Header=BB4_3183 Depth=3
	v_bfe_u32 v8, v9, 2, 5
	s_mov_b32 s72, exec_lo
	s_delay_alu instid0(VALU_DEP_1)
	v_cmpx_eq_u32_e32 0, v8
	s_cbranch_execz .LBB4_4188
; %bb.4187:                             ;   in Loop: Header=BB4_3183 Depth=3
	v_clz_i32_u32_e32 v5, v5
	s_delay_alu instid0(VALU_DEP_1) | instskip(SKIP_1) | instid1(VALU_DEP_2)
	v_min_u32_e32 v8, 32, v5
	v_mov_b32_e32 v5, v3
	v_subrev_nc_u32_e32 v9, 29, v8
	v_sub_nc_u32_e32 v8, 30, v8
	s_delay_alu instid0(VALU_DEP_2) | instskip(NEXT) | instid1(VALU_DEP_1)
	v_lshlrev_b64_e32 v[4:5], v9, v[4:5]
	v_and_b32_e32 v5, 3, v4
.LBB4_4188:                             ;   in Loop: Header=BB4_3183 Depth=3
	s_or_b32 exec_lo, exec_lo, s72
	v_lshlrev_b32_e32 v4, 16, v14
	s_delay_alu instid0(VALU_DEP_1) | instskip(NEXT) | instid1(VALU_DEP_1)
	v_and_b32_e32 v4, 0x80000000, v4
	v_lshl_add_u32 v4, v8, 23, v4
	s_delay_alu instid0(VALU_DEP_1) | instskip(NEXT) | instid1(VALU_DEP_1)
	v_lshl_or_b32 v4, v5, 21, v4
                                        ; implicit-def: $vgpr5
	v_add_nc_u32_e32 v8, 0x38000000, v4
.LBB4_4189:                             ;   in Loop: Header=BB4_3183 Depth=3
	s_and_not1_saveexec_b32 s43, s43
; %bb.4190:                             ;   in Loop: Header=BB4_3183 Depth=3
	v_cmp_lt_i16_e32 vcc_lo, -1, v14
	v_cndmask_b32_e32 v4, 0xff800000, v112, vcc_lo
	v_cmp_eq_u32_e32 vcc_lo, 0, v5
	s_delay_alu instid0(VALU_DEP_2)
	v_cndmask_b32_e32 v8, 0x7f800001, v4, vcc_lo
; %bb.4191:                             ;   in Loop: Header=BB4_3183 Depth=3
	s_or_b32 exec_lo, exec_lo, s43
.LBB4_4192:                             ;   in Loop: Header=BB4_3183 Depth=3
	s_delay_alu instid0(SALU_CYCLE_1)
	s_or_b32 exec_lo, exec_lo, s42
.LBB4_4193:                             ;   in Loop: Header=BB4_3183 Depth=3
	s_delay_alu instid0(SALU_CYCLE_1) | instskip(SKIP_2) | instid1(VALU_DEP_1)
	s_or_b32 exec_lo, exec_lo, s13
	v_lshrrev_b16 v4, 8, v10
	s_mov_b32 s13, exec_lo
	v_cmpx_ne_u16_e32 0, v4
	s_cbranch_execz .LBB4_4203
; %bb.4194:                             ;   in Loop: Header=BB4_3183 Depth=3
	v_bfrev_b32_e32 v2, 1
	s_mov_b32 s42, exec_lo
	v_cmpx_ne_u16_e32 0x80, v4
	s_cbranch_execz .LBB4_4202
; %bb.4195:                             ;   in Loop: Header=BB4_3183 Depth=3
	v_and_b32_e32 v9, 0xffff, v4
	s_delay_alu instid0(VALU_DEP_1) | instskip(SKIP_1) | instid1(VALU_DEP_2)
	v_and_b32_e32 v2, 0x7c, v9
	v_and_b32_e32 v5, 3, v9
	v_cmp_ne_u32_e32 vcc_lo, 0x7c, v2
                                        ; implicit-def: $vgpr2
	s_and_saveexec_b32 s43, vcc_lo
	s_delay_alu instid0(SALU_CYCLE_1)
	s_xor_b32 s43, exec_lo, s43
	s_cbranch_execz .LBB4_4199
; %bb.4196:                             ;   in Loop: Header=BB4_3183 Depth=3
	v_bfe_u32 v2, v9, 2, 5
	s_mov_b32 s72, exec_lo
	s_delay_alu instid0(VALU_DEP_1)
	v_cmpx_eq_u32_e32 0, v2
	s_cbranch_execz .LBB4_4198
; %bb.4197:                             ;   in Loop: Header=BB4_3183 Depth=3
	v_clz_i32_u32_e32 v2, v5
	s_delay_alu instid0(VALU_DEP_1) | instskip(SKIP_1) | instid1(VALU_DEP_2)
	v_min_u32_e32 v2, 32, v2
	v_mov_b32_e32 v5, v3
	v_subrev_nc_u32_e32 v9, 29, v2
	v_sub_nc_u32_e32 v2, 30, v2
	s_delay_alu instid0(VALU_DEP_2) | instskip(NEXT) | instid1(VALU_DEP_1)
	v_lshlrev_b64_e32 v[4:5], v9, v[4:5]
	v_and_b32_e32 v5, 3, v4
.LBB4_4198:                             ;   in Loop: Header=BB4_3183 Depth=3
	s_or_b32 exec_lo, exec_lo, s72
	v_lshlrev_b32_e32 v4, 16, v10
	s_delay_alu instid0(VALU_DEP_1) | instskip(NEXT) | instid1(VALU_DEP_1)
	v_and_b32_e32 v4, 0x80000000, v4
	v_lshl_add_u32 v2, v2, 23, v4
	s_delay_alu instid0(VALU_DEP_1) | instskip(NEXT) | instid1(VALU_DEP_1)
	v_lshl_or_b32 v2, v5, 21, v2
                                        ; implicit-def: $vgpr5
	v_add_nc_u32_e32 v2, 0x38000000, v2
.LBB4_4199:                             ;   in Loop: Header=BB4_3183 Depth=3
	s_and_not1_saveexec_b32 s43, s43
; %bb.4200:                             ;   in Loop: Header=BB4_3183 Depth=3
	v_cmp_lt_i16_e32 vcc_lo, -1, v10
	v_cndmask_b32_e32 v2, 0xff800000, v112, vcc_lo
	v_cmp_eq_u32_e32 vcc_lo, 0, v5
	s_delay_alu instid0(VALU_DEP_2)
	v_cndmask_b32_e32 v2, 0x7f800001, v2, vcc_lo
; %bb.4201:                             ;   in Loop: Header=BB4_3183 Depth=3
	s_or_b32 exec_lo, exec_lo, s43
.LBB4_4202:                             ;   in Loop: Header=BB4_3183 Depth=3
	s_delay_alu instid0(SALU_CYCLE_1)
	s_or_b32 exec_lo, exec_lo, s42
.LBB4_4203:                             ;   in Loop: Header=BB4_3183 Depth=3
	s_delay_alu instid0(SALU_CYCLE_1) | instskip(NEXT) | instid1(VALU_DEP_1)
	s_or_b32 exec_lo, exec_lo, s13
	v_dual_mul_f32 v4, v8, v2 :: v_dual_mov_b32 v9, v3
                                        ; implicit-def: $vgpr17
	s_mov_b32 s13, exec_lo
	s_delay_alu instid0(VALU_DEP_1) | instskip(SKIP_2) | instid1(VALU_DEP_3)
	v_and_b32_e32 v8, 0x7f800000, v4
	v_and_b32_e32 v2, 0x7fffff, v4
	v_lshrrev_b32_e32 v5, 24, v4
	v_cmpx_ne_u64_e32 0x7f800000, v[8:9]
	s_xor_b32 s42, exec_lo, s13
	s_cbranch_execz .LBB4_4217
; %bb.4204:                             ;   in Loop: Header=BB4_3183 Depth=3
	v_and_b32_e32 v8, 0x7fffffff, v4
	v_mov_b32_e32 v9, v3
	v_and_b32_e32 v103, 0x80, v5
                                        ; implicit-def: $vgpr17
	s_mov_b32 s13, exec_lo
	s_delay_alu instid0(VALU_DEP_2)
	v_cmpx_gt_u64_e32 0x47600001, v[8:9]
	s_xor_b32 s43, exec_lo, s13
	s_cbranch_execz .LBB4_4214
; %bb.4205:                             ;   in Loop: Header=BB4_3183 Depth=3
	v_mov_b32_e32 v17, 0
	s_mov_b32 s72, exec_lo
	v_cmpx_ne_u32_e32 0, v4
	s_cbranch_execz .LBB4_4213
; %bb.4206:                             ;   in Loop: Header=BB4_3183 Depth=3
	v_bfe_u32 v17, v4, 23, 8
	v_or_b32_e32 v5, 0x800000, v2
	s_delay_alu instid0(VALU_DEP_2) | instskip(SKIP_2) | instid1(VALU_DEP_2)
	v_cmp_gt_u32_e64 s13, 0x72, v17
	v_sub_nc_u32_e32 v4, 0x71, v17
	v_cmp_eq_u32_e32 vcc_lo, 0, v17
	v_cndmask_b32_e64 v4, 0, v4, s13
	s_delay_alu instid0(VALU_DEP_1) | instskip(SKIP_1) | instid1(VALU_DEP_2)
	v_cndmask_b32_e64 v41, v4, 0x70, vcc_lo
	v_dual_cndmask_b32 v4, v5, v2 :: v_dual_mov_b32 v5, v3
	v_add_nc_u32_e32 v2, 21, v41
	s_delay_alu instid0(VALU_DEP_1) | instskip(SKIP_1) | instid1(VALU_DEP_1)
	v_lshlrev_b64_e64 v[8:9], v2, -1
	v_add_nc_u32_e32 v2, 20, v41
	v_lshlrev_b64_e64 v[44:45], v2, 1
	s_delay_alu instid0(VALU_DEP_3) | instskip(SKIP_2) | instid1(VALU_DEP_1)
	v_bfi_b32 v8, v8, 0, v4
	v_lshrrev_b64 v[4:5], v41, v[4:5]
	v_bfi_b32 v9, v9, 0, 0
	v_cmp_eq_u64_e64 s13, v[8:9], v[44:45]
	s_delay_alu instid0(VALU_DEP_3)
	v_mov_b64_e32 v[8:9], v[4:5]
	s_and_saveexec_b32 s73, s13
; %bb.4207:                             ;   in Loop: Header=BB4_3183 Depth=3
	v_bfe_u32 v8, v4, 21, 1
	v_mov_b32_e32 v9, v3
	s_delay_alu instid0(VALU_DEP_1) | instskip(NEXT) | instid1(VALU_DEP_1)
	v_add_nc_u64_e32 v[8:9], v[4:5], v[8:9]
	v_add_nc_u64_e32 v[8:9], -1, v[8:9]
; %bb.4208:                             ;   in Loop: Header=BB4_3183 Depth=3
	s_or_b32 exec_lo, exec_lo, s73
	v_add_nc_u32_e32 v2, 0xffffff81, v17
	v_lshrrev_b32_e32 v5, 23, v4
	s_mov_b32 s13, exec_lo
	s_delay_alu instid0(VALU_DEP_2) | instskip(NEXT) | instid1(VALU_DEP_1)
	v_cndmask_b32_e64 v2, v2, 0xffffff82, vcc_lo
	v_add3_u32 v17, v41, v2, v5
	v_and_b32_e32 v2, 0x1fffff, v8
                                        ; implicit-def: $vgpr8
	s_delay_alu instid0(VALU_DEP_1) | instskip(NEXT) | instid1(VALU_DEP_1)
	v_dual_add_nc_u32 v9, 14, v17 :: v_dual_add_nc_u32 v2, v2, v4
                                        ; implicit-def: $vgpr4_vgpr5
	v_cmpx_ne_u32_e32 0, v9
	s_xor_b32 s13, exec_lo, s13
; %bb.4209:                             ;   in Loop: Header=BB4_3183 Depth=3
	s_delay_alu instid0(VALU_DEP_2) | instskip(SKIP_1) | instid1(VALU_DEP_1)
	v_cmp_lt_u64_e32 vcc_lo, 0xffffff, v[2:3]
	v_add_nc_u32_e32 v4, 15, v17
	v_cndmask_b32_e32 v8, v9, v4, vcc_lo
	v_cndmask_b32_e64 v4, 0, 1, vcc_lo
	s_delay_alu instid0(VALU_DEP_1)
	v_lshrrev_b64 v[4:5], v4, v[2:3]
; %bb.4210:                             ;   in Loop: Header=BB4_3183 Depth=3
	s_and_not1_saveexec_b32 s13, s13
; %bb.4211:                             ;   in Loop: Header=BB4_3183 Depth=3
	v_mov_b64_e32 v[4:5], v[2:3]
	v_bfe_u32 v8, v2, 23, 1
; %bb.4212:                             ;   in Loop: Header=BB4_3183 Depth=3
	s_or_b32 exec_lo, exec_lo, s13
	s_delay_alu instid0(VALU_DEP_2) | instskip(NEXT) | instid1(VALU_DEP_2)
	v_lshrrev_b64 v[4:5], 21, v[4:5]
	v_cmp_gt_i32_e32 vcc_lo, 32, v8
	v_min_i32_e32 v2, 31, v8
	v_cmp_eq_u32_e64 s13, 0, v8
	s_delay_alu instid0(VALU_DEP_2) | instskip(SKIP_1) | instid1(VALU_DEP_2)
	v_dual_cndmask_b32 v5, 0, v5 :: v_dual_lshlrev_b32 v2, 2, v2
	v_cndmask_b32_e32 v4, 3, v4, vcc_lo
	v_and_b32_e32 v2, 0xfc, v2
	s_delay_alu instid0(VALU_DEP_2) | instskip(NEXT) | instid1(VALU_DEP_2)
	v_cmp_eq_u64_e32 vcc_lo, 0, v[4:5]
	v_and_or_b32 v2, v4, 3, v2
	s_and_b32 s13, s13, vcc_lo
	s_delay_alu instid0(VALU_DEP_1) | instid1(SALU_CYCLE_1)
	v_cndmask_b32_e64 v2, v2, 0, s13
	s_delay_alu instid0(VALU_DEP_1)
	v_or_b32_e32 v17, v2, v103
.LBB4_4213:                             ;   in Loop: Header=BB4_3183 Depth=3
	s_or_b32 exec_lo, exec_lo, s72
                                        ; implicit-def: $vgpr103
.LBB4_4214:                             ;   in Loop: Header=BB4_3183 Depth=3
	s_and_not1_saveexec_b32 s13, s43
; %bb.4215:                             ;   in Loop: Header=BB4_3183 Depth=3
	v_or_b32_e32 v17, 0x7b, v103
; %bb.4216:                             ;   in Loop: Header=BB4_3183 Depth=3
	s_or_b32 exec_lo, exec_lo, s13
                                        ; implicit-def: $vgpr4
                                        ; implicit-def: $vgpr5
.LBB4_4217:                             ;   in Loop: Header=BB4_3183 Depth=3
	s_and_not1_saveexec_b32 s13, s42
	s_cbranch_execz .LBB4_4223
; %bb.4218:                             ;   in Loop: Header=BB4_3183 Depth=3
	s_mov_b32 s42, exec_lo
                                        ; implicit-def: $vgpr17
	v_cmpx_ne_u64_e32 0, v[2:3]
	s_xor_b32 s42, exec_lo, s42
; %bb.4219:                             ;   in Loop: Header=BB4_3183 Depth=3
	v_or_b32_e32 v17, 0x7f, v5
                                        ; implicit-def: $vgpr4
; %bb.4220:                             ;   in Loop: Header=BB4_3183 Depth=3
	s_and_not1_saveexec_b32 s42, s42
; %bb.4221:                             ;   in Loop: Header=BB4_3183 Depth=3
	v_cmp_lt_i32_e32 vcc_lo, -1, v4
	v_cndmask_b32_e32 v17, 0xfc, v113, vcc_lo
; %bb.4222:                             ;   in Loop: Header=BB4_3183 Depth=3
	s_or_b32 exec_lo, exec_lo, s42
.LBB4_4223:                             ;   in Loop: Header=BB4_3183 Depth=3
	s_delay_alu instid0(SALU_CYCLE_1) | instskip(SKIP_3) | instid1(VALU_DEP_2)
	s_or_b32 exec_lo, exec_lo, s13
	v_dual_lshrrev_b32 v2, 16, v14 :: v_dual_mov_b32 v4, 0
	v_mov_b32_e32 v5, 0
	s_mov_b32 s13, exec_lo
	v_and_b32_e32 v8, 0xff, v2
	s_delay_alu instid0(VALU_DEP_1)
	v_cmpx_ne_u16_e32 0, v8
	s_cbranch_execz .LBB4_4233
; %bb.4224:                             ;   in Loop: Header=BB4_3183 Depth=3
	v_bfrev_b32_e32 v5, 1
	s_mov_b32 s42, exec_lo
	v_cmpx_ne_u16_e32 0x80, v8
	s_cbranch_execz .LBB4_4232
; %bb.4225:                             ;   in Loop: Header=BB4_3183 Depth=3
	v_and_b32_e32 v5, 0x7c0000, v14
	v_bfe_u32 v8, v14, 16, 2
	s_delay_alu instid0(VALU_DEP_2) | instskip(SKIP_1) | instid1(SALU_CYCLE_1)
	v_cmp_ne_u32_e32 vcc_lo, 0x7c0000, v5
                                        ; implicit-def: $vgpr5
	s_and_saveexec_b32 s43, vcc_lo
	s_xor_b32 s43, exec_lo, s43
	s_cbranch_execz .LBB4_4229
; %bb.4226:                             ;   in Loop: Header=BB4_3183 Depth=3
	v_bfe_u32 v5, v14, 18, 5
	s_mov_b32 s72, exec_lo
	s_delay_alu instid0(VALU_DEP_1)
	v_cmpx_eq_u32_e32 0, v5
; %bb.4227:                             ;   in Loop: Header=BB4_3183 Depth=3
	v_clz_i32_u32_e32 v5, v8
	s_delay_alu instid0(VALU_DEP_1) | instskip(NEXT) | instid1(VALU_DEP_1)
	v_min_u32_e32 v5, 32, v5
	v_subrev_nc_u32_e32 v8, 29, v5
	s_delay_alu instid0(VALU_DEP_1) | instskip(NEXT) | instid1(VALU_DEP_1)
	v_lshlrev_b64_e32 v[8:9], v8, v[2:3]
	v_dual_sub_nc_u32 v5, 30, v5 :: v_dual_bitop2_b32 v8, 3, v8 bitop3:0x40
; %bb.4228:                             ;   in Loop: Header=BB4_3183 Depth=3
	s_or_b32 exec_lo, exec_lo, s72
	v_lshlrev_b32_e32 v2, 24, v2
	s_delay_alu instid0(VALU_DEP_1) | instskip(NEXT) | instid1(VALU_DEP_1)
	v_and_b32_e32 v2, 0x80000000, v2
	v_lshl_add_u32 v2, v5, 23, v2
	s_delay_alu instid0(VALU_DEP_1) | instskip(NEXT) | instid1(VALU_DEP_1)
	v_lshl_or_b32 v2, v8, 21, v2
                                        ; implicit-def: $vgpr8
	v_add_nc_u32_e32 v5, 0x38000000, v2
                                        ; implicit-def: $vgpr2
.LBB4_4229:                             ;   in Loop: Header=BB4_3183 Depth=3
	s_and_not1_saveexec_b32 s43, s43
; %bb.4230:                             ;   in Loop: Header=BB4_3183 Depth=3
	v_bfe_i32 v2, v2, 0, 8
	s_delay_alu instid0(VALU_DEP_1) | instskip(SKIP_2) | instid1(VALU_DEP_2)
	v_cmp_lt_i16_e32 vcc_lo, -1, v2
	v_cndmask_b32_e32 v2, 0xff800000, v112, vcc_lo
	v_cmp_eq_u32_e32 vcc_lo, 0, v8
	v_cndmask_b32_e32 v5, 0x7f800001, v2, vcc_lo
; %bb.4231:                             ;   in Loop: Header=BB4_3183 Depth=3
	s_or_b32 exec_lo, exec_lo, s43
.LBB4_4232:                             ;   in Loop: Header=BB4_3183 Depth=3
	s_delay_alu instid0(SALU_CYCLE_1)
	s_or_b32 exec_lo, exec_lo, s42
.LBB4_4233:                             ;   in Loop: Header=BB4_3183 Depth=3
	s_delay_alu instid0(SALU_CYCLE_1) | instskip(SKIP_2) | instid1(VALU_DEP_1)
	s_or_b32 exec_lo, exec_lo, s13
	v_lshrrev_b32_e32 v2, 16, v10
	s_mov_b32 s13, exec_lo
	v_and_b32_e32 v8, 0xff, v2
	s_delay_alu instid0(VALU_DEP_1)
	v_cmpx_ne_u16_e32 0, v8
	s_cbranch_execz .LBB4_4243
; %bb.4234:                             ;   in Loop: Header=BB4_3183 Depth=3
	v_bfrev_b32_e32 v4, 1
	s_mov_b32 s42, exec_lo
	v_cmpx_ne_u16_e32 0x80, v8
	s_cbranch_execz .LBB4_4242
; %bb.4235:                             ;   in Loop: Header=BB4_3183 Depth=3
	v_and_b32_e32 v4, 0x7c0000, v10
	v_bfe_u32 v8, v10, 16, 2
	s_delay_alu instid0(VALU_DEP_2) | instskip(SKIP_1) | instid1(SALU_CYCLE_1)
	v_cmp_ne_u32_e32 vcc_lo, 0x7c0000, v4
                                        ; implicit-def: $vgpr4
	s_and_saveexec_b32 s43, vcc_lo
	s_xor_b32 s43, exec_lo, s43
	s_cbranch_execz .LBB4_4239
; %bb.4236:                             ;   in Loop: Header=BB4_3183 Depth=3
	v_bfe_u32 v4, v10, 18, 5
	s_mov_b32 s72, exec_lo
	s_delay_alu instid0(VALU_DEP_1)
	v_cmpx_eq_u32_e32 0, v4
; %bb.4237:                             ;   in Loop: Header=BB4_3183 Depth=3
	v_clz_i32_u32_e32 v4, v8
	s_delay_alu instid0(VALU_DEP_1) | instskip(NEXT) | instid1(VALU_DEP_1)
	v_min_u32_e32 v4, 32, v4
	v_subrev_nc_u32_e32 v8, 29, v4
	v_sub_nc_u32_e32 v4, 30, v4
	s_delay_alu instid0(VALU_DEP_2) | instskip(NEXT) | instid1(VALU_DEP_1)
	v_lshlrev_b64_e32 v[8:9], v8, v[2:3]
	v_and_b32_e32 v8, 3, v8
; %bb.4238:                             ;   in Loop: Header=BB4_3183 Depth=3
	s_or_b32 exec_lo, exec_lo, s72
	v_lshlrev_b32_e32 v2, 24, v2
	s_delay_alu instid0(VALU_DEP_1) | instskip(NEXT) | instid1(VALU_DEP_1)
	v_and_b32_e32 v2, 0x80000000, v2
	v_lshl_add_u32 v2, v4, 23, v2
	s_delay_alu instid0(VALU_DEP_1) | instskip(NEXT) | instid1(VALU_DEP_1)
	v_lshl_or_b32 v2, v8, 21, v2
                                        ; implicit-def: $vgpr8
	v_add_nc_u32_e32 v4, 0x38000000, v2
                                        ; implicit-def: $vgpr2
.LBB4_4239:                             ;   in Loop: Header=BB4_3183 Depth=3
	s_and_not1_saveexec_b32 s43, s43
; %bb.4240:                             ;   in Loop: Header=BB4_3183 Depth=3
	v_bfe_i32 v2, v2, 0, 8
	s_delay_alu instid0(VALU_DEP_1) | instskip(SKIP_2) | instid1(VALU_DEP_2)
	v_cmp_lt_i16_e32 vcc_lo, -1, v2
	v_cndmask_b32_e32 v2, 0xff800000, v112, vcc_lo
	v_cmp_eq_u32_e32 vcc_lo, 0, v8
	v_cndmask_b32_e32 v4, 0x7f800001, v2, vcc_lo
; %bb.4241:                             ;   in Loop: Header=BB4_3183 Depth=3
	s_or_b32 exec_lo, exec_lo, s43
.LBB4_4242:                             ;   in Loop: Header=BB4_3183 Depth=3
	s_delay_alu instid0(SALU_CYCLE_1)
	s_or_b32 exec_lo, exec_lo, s42
.LBB4_4243:                             ;   in Loop: Header=BB4_3183 Depth=3
	s_delay_alu instid0(SALU_CYCLE_1) | instskip(NEXT) | instid1(VALU_DEP_1)
	s_or_b32 exec_lo, exec_lo, s13
	v_dual_mul_f32 v4, v5, v4 :: v_dual_mov_b32 v9, v3
                                        ; implicit-def: $vgpr103
	s_mov_b32 s13, exec_lo
	s_delay_alu instid0(VALU_DEP_1) | instskip(SKIP_2) | instid1(VALU_DEP_3)
	v_and_b32_e32 v8, 0x7f800000, v4
	v_and_b32_e32 v2, 0x7fffff, v4
	v_lshrrev_b32_e32 v5, 24, v4
	v_cmpx_ne_u64_e32 0x7f800000, v[8:9]
	s_xor_b32 s42, exec_lo, s13
	s_cbranch_execz .LBB4_4257
; %bb.4244:                             ;   in Loop: Header=BB4_3183 Depth=3
	v_and_b32_e32 v8, 0x7fffffff, v4
	v_mov_b32_e32 v9, v3
	v_and_b32_e32 v41, 0x80, v5
                                        ; implicit-def: $vgpr103
	s_mov_b32 s13, exec_lo
	s_delay_alu instid0(VALU_DEP_2)
	v_cmpx_gt_u64_e32 0x47600001, v[8:9]
	s_xor_b32 s43, exec_lo, s13
	s_cbranch_execz .LBB4_4254
; %bb.4245:                             ;   in Loop: Header=BB4_3183 Depth=3
	v_mov_b32_e32 v103, 0
	s_mov_b32 s72, exec_lo
	v_cmpx_ne_u32_e32 0, v4
	s_cbranch_execz .LBB4_4253
; %bb.4246:                             ;   in Loop: Header=BB4_3183 Depth=3
	v_bfe_u32 v103, v4, 23, 8
	v_or_b32_e32 v5, 0x800000, v2
	s_delay_alu instid0(VALU_DEP_2) | instskip(SKIP_2) | instid1(VALU_DEP_2)
	v_cmp_gt_u32_e64 s13, 0x72, v103
	v_sub_nc_u32_e32 v4, 0x71, v103
	v_cmp_eq_u32_e32 vcc_lo, 0, v103
	v_cndmask_b32_e64 v4, 0, v4, s13
	s_delay_alu instid0(VALU_DEP_1) | instskip(SKIP_1) | instid1(VALU_DEP_2)
	v_cndmask_b32_e64 v44, v4, 0x70, vcc_lo
	v_dual_cndmask_b32 v4, v5, v2 :: v_dual_mov_b32 v5, v3
	v_add_nc_u32_e32 v2, 21, v44
	s_delay_alu instid0(VALU_DEP_1) | instskip(SKIP_1) | instid1(VALU_DEP_1)
	v_lshlrev_b64_e64 v[8:9], v2, -1
	v_add_nc_u32_e32 v2, 20, v44
	v_lshlrev_b64_e64 v[46:47], v2, 1
	s_delay_alu instid0(VALU_DEP_3) | instskip(SKIP_2) | instid1(VALU_DEP_1)
	v_bfi_b32 v8, v8, 0, v4
	v_lshrrev_b64 v[4:5], v44, v[4:5]
	v_bfi_b32 v9, v9, 0, 0
	v_cmp_eq_u64_e64 s13, v[8:9], v[46:47]
	s_delay_alu instid0(VALU_DEP_3)
	v_mov_b64_e32 v[8:9], v[4:5]
	s_and_saveexec_b32 s73, s13
; %bb.4247:                             ;   in Loop: Header=BB4_3183 Depth=3
	v_bfe_u32 v8, v4, 21, 1
	v_mov_b32_e32 v9, v3
	s_delay_alu instid0(VALU_DEP_1) | instskip(NEXT) | instid1(VALU_DEP_1)
	v_add_nc_u64_e32 v[8:9], v[4:5], v[8:9]
	v_add_nc_u64_e32 v[8:9], -1, v[8:9]
; %bb.4248:                             ;   in Loop: Header=BB4_3183 Depth=3
	s_or_b32 exec_lo, exec_lo, s73
	v_add_nc_u32_e32 v2, 0xffffff81, v103
	s_delay_alu instid0(VALU_DEP_2) | instskip(SKIP_2) | instid1(VALU_DEP_3)
	v_and_b32_e32 v8, 0x1fffff, v8
	v_lshrrev_b32_e32 v5, 23, v4
	s_mov_b32 s13, exec_lo
	v_cndmask_b32_e64 v2, v2, 0xffffff82, vcc_lo
	s_delay_alu instid0(VALU_DEP_1) | instskip(SKIP_1) | instid1(VALU_DEP_2)
	v_add3_u32 v103, v44, v2, v5
	v_add_nc_u32_e32 v2, v8, v4
                                        ; implicit-def: $vgpr4_vgpr5
                                        ; implicit-def: $vgpr8
	v_add_nc_u32_e32 v9, 14, v103
	s_delay_alu instid0(VALU_DEP_1)
	v_cmpx_ne_u32_e32 0, v9
	s_xor_b32 s13, exec_lo, s13
; %bb.4249:                             ;   in Loop: Header=BB4_3183 Depth=3
	s_delay_alu instid0(VALU_DEP_3) | instskip(SKIP_1) | instid1(VALU_DEP_1)
	v_cmp_lt_u64_e32 vcc_lo, 0xffffff, v[2:3]
	v_add_nc_u32_e32 v4, 15, v103
	v_cndmask_b32_e32 v8, v9, v4, vcc_lo
	v_cndmask_b32_e64 v4, 0, 1, vcc_lo
	s_delay_alu instid0(VALU_DEP_1)
	v_lshrrev_b64 v[4:5], v4, v[2:3]
; %bb.4250:                             ;   in Loop: Header=BB4_3183 Depth=3
	s_and_not1_saveexec_b32 s13, s13
; %bb.4251:                             ;   in Loop: Header=BB4_3183 Depth=3
	v_mov_b64_e32 v[4:5], v[2:3]
	v_bfe_u32 v8, v2, 23, 1
; %bb.4252:                             ;   in Loop: Header=BB4_3183 Depth=3
	s_or_b32 exec_lo, exec_lo, s13
	s_delay_alu instid0(VALU_DEP_2) | instskip(NEXT) | instid1(VALU_DEP_2)
	v_lshrrev_b64 v[4:5], 21, v[4:5]
	v_cmp_gt_i32_e32 vcc_lo, 32, v8
	v_min_i32_e32 v2, 31, v8
	v_cmp_eq_u32_e64 s13, 0, v8
	s_delay_alu instid0(VALU_DEP_2) | instskip(SKIP_1) | instid1(VALU_DEP_2)
	v_dual_cndmask_b32 v5, 0, v5 :: v_dual_lshlrev_b32 v2, 2, v2
	v_cndmask_b32_e32 v4, 3, v4, vcc_lo
	v_and_b32_e32 v2, 0xfc, v2
	s_delay_alu instid0(VALU_DEP_2) | instskip(NEXT) | instid1(VALU_DEP_2)
	v_cmp_eq_u64_e32 vcc_lo, 0, v[4:5]
	v_and_or_b32 v2, v4, 3, v2
	s_and_b32 s13, s13, vcc_lo
	s_delay_alu instid0(VALU_DEP_1) | instid1(SALU_CYCLE_1)
	v_cndmask_b32_e64 v2, v2, 0, s13
	s_delay_alu instid0(VALU_DEP_1)
	v_or_b32_e32 v103, v2, v41
.LBB4_4253:                             ;   in Loop: Header=BB4_3183 Depth=3
	s_or_b32 exec_lo, exec_lo, s72
                                        ; implicit-def: $vgpr41
.LBB4_4254:                             ;   in Loop: Header=BB4_3183 Depth=3
	s_and_not1_saveexec_b32 s13, s43
; %bb.4255:                             ;   in Loop: Header=BB4_3183 Depth=3
	v_or_b32_e32 v103, 0x7b, v41
; %bb.4256:                             ;   in Loop: Header=BB4_3183 Depth=3
	s_or_b32 exec_lo, exec_lo, s13
                                        ; implicit-def: $vgpr4
                                        ; implicit-def: $vgpr5
.LBB4_4257:                             ;   in Loop: Header=BB4_3183 Depth=3
	s_and_not1_saveexec_b32 s13, s42
	s_cbranch_execz .LBB4_4263
; %bb.4258:                             ;   in Loop: Header=BB4_3183 Depth=3
	s_mov_b32 s42, exec_lo
                                        ; implicit-def: $vgpr103
	v_cmpx_ne_u64_e32 0, v[2:3]
	s_xor_b32 s42, exec_lo, s42
; %bb.4259:                             ;   in Loop: Header=BB4_3183 Depth=3
	v_or_b32_e32 v103, 0x7f, v5
                                        ; implicit-def: $vgpr4
; %bb.4260:                             ;   in Loop: Header=BB4_3183 Depth=3
	s_and_not1_saveexec_b32 s42, s42
; %bb.4261:                             ;   in Loop: Header=BB4_3183 Depth=3
	v_cmp_lt_i32_e32 vcc_lo, -1, v4
	v_cndmask_b32_e32 v103, 0xfc, v113, vcc_lo
; %bb.4262:                             ;   in Loop: Header=BB4_3183 Depth=3
	s_or_b32 exec_lo, exec_lo, s42
.LBB4_4263:                             ;   in Loop: Header=BB4_3183 Depth=3
	s_delay_alu instid0(SALU_CYCLE_1)
	s_or_b32 exec_lo, exec_lo, s13
	v_dual_mov_b32 v4, 0 :: v_dual_mov_b32 v5, 0
	s_mov_b32 s13, exec_lo
	v_cmpx_lt_u32_e32 0xffffff, v14
	s_cbranch_execz .LBB4_4273
; %bb.4264:                             ;   in Loop: Header=BB4_3183 Depth=3
	v_lshrrev_b32_e32 v2, 24, v14
	v_bfrev_b32_e32 v5, 1
	s_mov_b32 s42, exec_lo
	s_delay_alu instid0(VALU_DEP_2)
	v_cmpx_ne_u32_e32 0x80, v2
	s_cbranch_execz .LBB4_4272
; %bb.4265:                             ;   in Loop: Header=BB4_3183 Depth=3
	v_and_b32_e32 v5, 0x7c000000, v14
	v_bfe_u32 v8, v14, 24, 2
	s_delay_alu instid0(VALU_DEP_2) | instskip(SKIP_1) | instid1(SALU_CYCLE_1)
	v_cmp_ne_u32_e32 vcc_lo, 0x7c000000, v5
                                        ; implicit-def: $vgpr5
	s_and_saveexec_b32 s43, vcc_lo
	s_xor_b32 s43, exec_lo, s43
	s_cbranch_execz .LBB4_4269
; %bb.4266:                             ;   in Loop: Header=BB4_3183 Depth=3
	v_bfe_u32 v5, v14, 26, 5
	s_mov_b32 s72, exec_lo
	s_delay_alu instid0(VALU_DEP_1)
	v_cmpx_eq_u32_e32 0, v5
; %bb.4267:                             ;   in Loop: Header=BB4_3183 Depth=3
	v_clz_i32_u32_e32 v5, v8
	s_delay_alu instid0(VALU_DEP_1) | instskip(NEXT) | instid1(VALU_DEP_1)
	v_min_u32_e32 v5, 32, v5
	v_subrev_nc_u32_e32 v8, 29, v5
	s_delay_alu instid0(VALU_DEP_1) | instskip(NEXT) | instid1(VALU_DEP_1)
	v_lshlrev_b64_e32 v[8:9], v8, v[2:3]
	v_dual_sub_nc_u32 v5, 30, v5 :: v_dual_bitop2_b32 v8, 3, v8 bitop3:0x40
; %bb.4268:                             ;   in Loop: Header=BB4_3183 Depth=3
	s_or_b32 exec_lo, exec_lo, s72
	v_and_b32_e32 v2, 0x80000000, v14
	s_delay_alu instid0(VALU_DEP_1) | instskip(NEXT) | instid1(VALU_DEP_1)
	v_lshl_add_u32 v2, v5, 23, v2
	v_lshl_or_b32 v2, v8, 21, v2
                                        ; implicit-def: $vgpr8
	s_delay_alu instid0(VALU_DEP_1)
	v_add_nc_u32_e32 v5, 0x38000000, v2
.LBB4_4269:                             ;   in Loop: Header=BB4_3183 Depth=3
	s_and_not1_saveexec_b32 s43, s43
; %bb.4270:                             ;   in Loop: Header=BB4_3183 Depth=3
	v_cmp_lt_i32_e32 vcc_lo, -1, v14
	v_cndmask_b32_e32 v2, 0xff800000, v112, vcc_lo
	v_cmp_eq_u32_e32 vcc_lo, 0, v8
	s_delay_alu instid0(VALU_DEP_2)
	v_cndmask_b32_e32 v5, 0x7f800001, v2, vcc_lo
; %bb.4271:                             ;   in Loop: Header=BB4_3183 Depth=3
	s_or_b32 exec_lo, exec_lo, s43
.LBB4_4272:                             ;   in Loop: Header=BB4_3183 Depth=3
	s_delay_alu instid0(SALU_CYCLE_1)
	s_or_b32 exec_lo, exec_lo, s42
.LBB4_4273:                             ;   in Loop: Header=BB4_3183 Depth=3
	s_delay_alu instid0(SALU_CYCLE_1) | instskip(NEXT) | instid1(SALU_CYCLE_1)
	s_or_b32 exec_lo, exec_lo, s13
	s_mov_b32 s13, exec_lo
	v_cmpx_lt_u32_e32 0xffffff, v10
	s_cbranch_execz .LBB4_4283
; %bb.4274:                             ;   in Loop: Header=BB4_3183 Depth=3
	v_lshrrev_b32_e32 v2, 24, v10
	v_bfrev_b32_e32 v4, 1
	s_mov_b32 s42, exec_lo
	s_delay_alu instid0(VALU_DEP_2)
	v_cmpx_ne_u32_e32 0x80, v2
	s_cbranch_execz .LBB4_4282
; %bb.4275:                             ;   in Loop: Header=BB4_3183 Depth=3
	v_and_b32_e32 v4, 0x7c000000, v10
	v_bfe_u32 v8, v10, 24, 2
	s_delay_alu instid0(VALU_DEP_2) | instskip(SKIP_1) | instid1(SALU_CYCLE_1)
	v_cmp_ne_u32_e32 vcc_lo, 0x7c000000, v4
                                        ; implicit-def: $vgpr4
	s_and_saveexec_b32 s43, vcc_lo
	s_xor_b32 s43, exec_lo, s43
	s_cbranch_execz .LBB4_4279
; %bb.4276:                             ;   in Loop: Header=BB4_3183 Depth=3
	v_bfe_u32 v4, v10, 26, 5
	s_mov_b32 s72, exec_lo
	s_delay_alu instid0(VALU_DEP_1)
	v_cmpx_eq_u32_e32 0, v4
; %bb.4277:                             ;   in Loop: Header=BB4_3183 Depth=3
	v_clz_i32_u32_e32 v4, v8
	s_delay_alu instid0(VALU_DEP_1) | instskip(NEXT) | instid1(VALU_DEP_1)
	v_min_u32_e32 v4, 32, v4
	v_subrev_nc_u32_e32 v8, 29, v4
	v_sub_nc_u32_e32 v4, 30, v4
	s_delay_alu instid0(VALU_DEP_2) | instskip(NEXT) | instid1(VALU_DEP_1)
	v_lshlrev_b64_e32 v[8:9], v8, v[2:3]
	v_and_b32_e32 v8, 3, v8
; %bb.4278:                             ;   in Loop: Header=BB4_3183 Depth=3
	s_or_b32 exec_lo, exec_lo, s72
	v_and_b32_e32 v2, 0x80000000, v10
	s_delay_alu instid0(VALU_DEP_1) | instskip(NEXT) | instid1(VALU_DEP_1)
	v_lshl_add_u32 v2, v4, 23, v2
	v_lshl_or_b32 v2, v8, 21, v2
                                        ; implicit-def: $vgpr8
	s_delay_alu instid0(VALU_DEP_1)
	v_add_nc_u32_e32 v4, 0x38000000, v2
.LBB4_4279:                             ;   in Loop: Header=BB4_3183 Depth=3
	s_and_not1_saveexec_b32 s43, s43
; %bb.4280:                             ;   in Loop: Header=BB4_3183 Depth=3
	v_cmp_lt_i32_e32 vcc_lo, -1, v10
	v_cndmask_b32_e32 v2, 0xff800000, v112, vcc_lo
	v_cmp_eq_u32_e32 vcc_lo, 0, v8
	s_delay_alu instid0(VALU_DEP_2)
	v_cndmask_b32_e32 v4, 0x7f800001, v2, vcc_lo
; %bb.4281:                             ;   in Loop: Header=BB4_3183 Depth=3
	s_or_b32 exec_lo, exec_lo, s43
.LBB4_4282:                             ;   in Loop: Header=BB4_3183 Depth=3
	s_delay_alu instid0(SALU_CYCLE_1)
	s_or_b32 exec_lo, exec_lo, s42
.LBB4_4283:                             ;   in Loop: Header=BB4_3183 Depth=3
	s_delay_alu instid0(SALU_CYCLE_1) | instskip(NEXT) | instid1(VALU_DEP_1)
	s_or_b32 exec_lo, exec_lo, s13
	v_dual_mul_f32 v4, v5, v4 :: v_dual_mov_b32 v9, v3
                                        ; implicit-def: $vgpr41
	s_mov_b32 s13, exec_lo
	s_delay_alu instid0(VALU_DEP_1) | instskip(SKIP_2) | instid1(VALU_DEP_3)
	v_and_b32_e32 v8, 0x7f800000, v4
	v_and_b32_e32 v2, 0x7fffff, v4
	v_lshrrev_b32_e32 v5, 24, v4
	v_cmpx_ne_u64_e32 0x7f800000, v[8:9]
	s_xor_b32 s42, exec_lo, s13
	s_cbranch_execz .LBB4_4297
; %bb.4284:                             ;   in Loop: Header=BB4_3183 Depth=3
	v_and_b32_e32 v8, 0x7fffffff, v4
	v_mov_b32_e32 v9, v3
	v_and_b32_e32 v44, 0x80, v5
                                        ; implicit-def: $vgpr41
	s_mov_b32 s13, exec_lo
	s_delay_alu instid0(VALU_DEP_2)
	v_cmpx_gt_u64_e32 0x47600001, v[8:9]
	s_xor_b32 s43, exec_lo, s13
	s_cbranch_execz .LBB4_4294
; %bb.4285:                             ;   in Loop: Header=BB4_3183 Depth=3
	v_mov_b32_e32 v41, 0
	s_mov_b32 s72, exec_lo
	v_cmpx_ne_u32_e32 0, v4
	s_cbranch_execz .LBB4_4293
; %bb.4286:                             ;   in Loop: Header=BB4_3183 Depth=3
	v_bfe_u32 v41, v4, 23, 8
	v_or_b32_e32 v5, 0x800000, v2
	s_delay_alu instid0(VALU_DEP_2) | instskip(SKIP_2) | instid1(VALU_DEP_2)
	v_cmp_gt_u32_e64 s13, 0x72, v41
	v_sub_nc_u32_e32 v4, 0x71, v41
	v_cmp_eq_u32_e32 vcc_lo, 0, v41
	v_cndmask_b32_e64 v4, 0, v4, s13
	s_delay_alu instid0(VALU_DEP_1) | instskip(SKIP_1) | instid1(VALU_DEP_2)
	v_cndmask_b32_e64 v45, v4, 0x70, vcc_lo
	v_dual_cndmask_b32 v4, v5, v2 :: v_dual_mov_b32 v5, v3
	v_add_nc_u32_e32 v2, 21, v45
	s_delay_alu instid0(VALU_DEP_1) | instskip(SKIP_1) | instid1(VALU_DEP_1)
	v_lshlrev_b64_e64 v[8:9], v2, -1
	v_add_nc_u32_e32 v2, 20, v45
	v_lshlrev_b64_e64 v[46:47], v2, 1
	s_delay_alu instid0(VALU_DEP_3) | instskip(SKIP_2) | instid1(VALU_DEP_1)
	v_bfi_b32 v8, v8, 0, v4
	v_lshrrev_b64 v[4:5], v45, v[4:5]
	v_bfi_b32 v9, v9, 0, 0
	v_cmp_eq_u64_e64 s13, v[8:9], v[46:47]
	s_delay_alu instid0(VALU_DEP_3)
	v_mov_b64_e32 v[8:9], v[4:5]
	s_and_saveexec_b32 s73, s13
; %bb.4287:                             ;   in Loop: Header=BB4_3183 Depth=3
	v_bfe_u32 v8, v4, 21, 1
	v_mov_b32_e32 v9, v3
	s_delay_alu instid0(VALU_DEP_1) | instskip(NEXT) | instid1(VALU_DEP_1)
	v_add_nc_u64_e32 v[8:9], v[4:5], v[8:9]
	v_add_nc_u64_e32 v[8:9], -1, v[8:9]
; %bb.4288:                             ;   in Loop: Header=BB4_3183 Depth=3
	s_or_b32 exec_lo, exec_lo, s73
	v_add_nc_u32_e32 v2, 0xffffff81, v41
	s_delay_alu instid0(VALU_DEP_2) | instskip(SKIP_2) | instid1(VALU_DEP_3)
	v_and_b32_e32 v8, 0x1fffff, v8
	v_lshrrev_b32_e32 v5, 23, v4
	s_mov_b32 s13, exec_lo
	v_cndmask_b32_e64 v2, v2, 0xffffff82, vcc_lo
	s_delay_alu instid0(VALU_DEP_1) | instskip(SKIP_1) | instid1(VALU_DEP_2)
	v_add3_u32 v41, v45, v2, v5
	v_add_nc_u32_e32 v2, v8, v4
                                        ; implicit-def: $vgpr4_vgpr5
                                        ; implicit-def: $vgpr8
	v_add_nc_u32_e32 v9, 14, v41
	s_delay_alu instid0(VALU_DEP_1)
	v_cmpx_ne_u32_e32 0, v9
	s_xor_b32 s13, exec_lo, s13
; %bb.4289:                             ;   in Loop: Header=BB4_3183 Depth=3
	s_delay_alu instid0(VALU_DEP_3) | instskip(SKIP_1) | instid1(VALU_DEP_1)
	v_cmp_lt_u64_e32 vcc_lo, 0xffffff, v[2:3]
	v_add_nc_u32_e32 v4, 15, v41
	v_cndmask_b32_e32 v8, v9, v4, vcc_lo
	v_cndmask_b32_e64 v4, 0, 1, vcc_lo
	s_delay_alu instid0(VALU_DEP_1)
	v_lshrrev_b64 v[4:5], v4, v[2:3]
; %bb.4290:                             ;   in Loop: Header=BB4_3183 Depth=3
	s_and_not1_saveexec_b32 s13, s13
; %bb.4291:                             ;   in Loop: Header=BB4_3183 Depth=3
	v_mov_b64_e32 v[4:5], v[2:3]
	v_bfe_u32 v8, v2, 23, 1
; %bb.4292:                             ;   in Loop: Header=BB4_3183 Depth=3
	s_or_b32 exec_lo, exec_lo, s13
	s_delay_alu instid0(VALU_DEP_2) | instskip(NEXT) | instid1(VALU_DEP_2)
	v_lshrrev_b64 v[4:5], 21, v[4:5]
	v_cmp_gt_i32_e32 vcc_lo, 32, v8
	v_min_i32_e32 v2, 31, v8
	v_cmp_eq_u32_e64 s13, 0, v8
	s_delay_alu instid0(VALU_DEP_2) | instskip(SKIP_1) | instid1(VALU_DEP_2)
	v_dual_cndmask_b32 v5, 0, v5 :: v_dual_lshlrev_b32 v2, 2, v2
	v_cndmask_b32_e32 v4, 3, v4, vcc_lo
	v_and_b32_e32 v2, 0xfc, v2
	s_delay_alu instid0(VALU_DEP_2) | instskip(NEXT) | instid1(VALU_DEP_2)
	v_cmp_eq_u64_e32 vcc_lo, 0, v[4:5]
	v_and_or_b32 v2, v4, 3, v2
	s_and_b32 s13, s13, vcc_lo
	s_delay_alu instid0(VALU_DEP_1) | instid1(SALU_CYCLE_1)
	v_cndmask_b32_e64 v2, v2, 0, s13
	s_delay_alu instid0(VALU_DEP_1)
	v_or_b32_e32 v41, v2, v44
.LBB4_4293:                             ;   in Loop: Header=BB4_3183 Depth=3
	s_or_b32 exec_lo, exec_lo, s72
                                        ; implicit-def: $vgpr44
.LBB4_4294:                             ;   in Loop: Header=BB4_3183 Depth=3
	s_and_not1_saveexec_b32 s13, s43
; %bb.4295:                             ;   in Loop: Header=BB4_3183 Depth=3
	v_or_b32_e32 v41, 0x7b, v44
; %bb.4296:                             ;   in Loop: Header=BB4_3183 Depth=3
	s_or_b32 exec_lo, exec_lo, s13
                                        ; implicit-def: $vgpr4
                                        ; implicit-def: $vgpr5
.LBB4_4297:                             ;   in Loop: Header=BB4_3183 Depth=3
	s_and_not1_saveexec_b32 s13, s42
	s_cbranch_execz .LBB4_4303
; %bb.4298:                             ;   in Loop: Header=BB4_3183 Depth=3
	s_mov_b32 s42, exec_lo
                                        ; implicit-def: $vgpr41
	v_cmpx_ne_u64_e32 0, v[2:3]
	s_xor_b32 s42, exec_lo, s42
; %bb.4299:                             ;   in Loop: Header=BB4_3183 Depth=3
	v_or_b32_e32 v41, 0x7f, v5
                                        ; implicit-def: $vgpr4
; %bb.4300:                             ;   in Loop: Header=BB4_3183 Depth=3
	s_and_not1_saveexec_b32 s42, s42
; %bb.4301:                             ;   in Loop: Header=BB4_3183 Depth=3
	v_cmp_lt_i32_e32 vcc_lo, -1, v4
	v_cndmask_b32_e32 v41, 0xfc, v113, vcc_lo
; %bb.4302:                             ;   in Loop: Header=BB4_3183 Depth=3
	s_or_b32 exec_lo, exec_lo, s42
.LBB4_4303:                             ;   in Loop: Header=BB4_3183 Depth=3
	s_delay_alu instid0(SALU_CYCLE_1) | instskip(SKIP_4) | instid1(VALU_DEP_3)
	s_or_b32 exec_lo, exec_lo, s13
	v_and_b32_e32 v8, 0xff, v15
	v_dual_mov_b32 v2, v15 :: v_dual_mov_b32 v5, 0
	v_mov_b32_e32 v4, 0
	s_mov_b32 s42, exec_lo
	v_cmpx_ne_u16_e32 0, v8
	s_cbranch_execz .LBB4_4313
; %bb.4304:                             ;   in Loop: Header=BB4_3183 Depth=3
	v_bfrev_b32_e32 v4, 1
	s_mov_b32 s43, exec_lo
	v_cmpx_ne_u16_e32 0x80, v8
	s_cbranch_execz .LBB4_4312
; %bb.4305:                             ;   in Loop: Header=BB4_3183 Depth=3
	v_and_b32_e32 v4, 0x7c, v15
	v_and_b32_e32 v8, 3, v15
	s_delay_alu instid0(VALU_DEP_2) | instskip(SKIP_1) | instid1(SALU_CYCLE_1)
	v_cmp_ne_u32_e32 vcc_lo, 0x7c, v4
                                        ; implicit-def: $vgpr4
	s_and_saveexec_b32 s13, vcc_lo
	s_xor_b32 s13, exec_lo, s13
	s_cbranch_execz .LBB4_4309
; %bb.4306:                             ;   in Loop: Header=BB4_3183 Depth=3
	v_bfe_u32 v4, v15, 2, 5
	s_mov_b32 s72, exec_lo
	s_delay_alu instid0(VALU_DEP_1)
	v_cmpx_eq_u32_e32 0, v4
; %bb.4307:                             ;   in Loop: Header=BB4_3183 Depth=3
	v_clz_i32_u32_e32 v4, v8
	s_delay_alu instid0(VALU_DEP_1) | instskip(NEXT) | instid1(VALU_DEP_1)
	v_min_u32_e32 v4, 32, v4
	v_subrev_nc_u32_e32 v8, 29, v4
	v_sub_nc_u32_e32 v4, 30, v4
	s_delay_alu instid0(VALU_DEP_2) | instskip(NEXT) | instid1(VALU_DEP_1)
	v_lshlrev_b64_e32 v[8:9], v8, v[2:3]
	v_and_b32_e32 v8, 3, v8
; %bb.4308:                             ;   in Loop: Header=BB4_3183 Depth=3
	s_or_b32 exec_lo, exec_lo, s72
	v_lshlrev_b32_e32 v9, 24, v15
	s_delay_alu instid0(VALU_DEP_1) | instskip(NEXT) | instid1(VALU_DEP_1)
	v_and_b32_e32 v9, 0x80000000, v9
	v_lshl_add_u32 v4, v4, 23, v9
	s_delay_alu instid0(VALU_DEP_1) | instskip(NEXT) | instid1(VALU_DEP_1)
	v_lshl_or_b32 v4, v8, 21, v4
                                        ; implicit-def: $vgpr8
	v_add_nc_u32_e32 v4, 0x38000000, v4
.LBB4_4309:                             ;   in Loop: Header=BB4_3183 Depth=3
	s_and_not1_saveexec_b32 s72, s13
; %bb.4310:                             ;   in Loop: Header=BB4_3183 Depth=3
	v_bfe_i32 v4, v15, 0, 8
	v_cmp_eq_u32_e32 vcc_lo, 0, v8
	s_delay_alu instid0(VALU_DEP_2) | instskip(NEXT) | instid1(VALU_DEP_1)
	v_cmp_lt_i16_e64 s13, -1, v4
	v_cndmask_b32_e64 v4, 0xff800000, v112, s13
	s_delay_alu instid0(VALU_DEP_1)
	v_cndmask_b32_e32 v4, 0x7f800001, v4, vcc_lo
; %bb.4311:                             ;   in Loop: Header=BB4_3183 Depth=3
	s_or_b32 exec_lo, exec_lo, s72
.LBB4_4312:                             ;   in Loop: Header=BB4_3183 Depth=3
	s_delay_alu instid0(SALU_CYCLE_1)
	s_or_b32 exec_lo, exec_lo, s43
.LBB4_4313:                             ;   in Loop: Header=BB4_3183 Depth=3
	s_delay_alu instid0(SALU_CYCLE_1) | instskip(SKIP_2) | instid1(VALU_DEP_1)
	s_or_b32 exec_lo, exec_lo, s42
	v_and_b32_e32 v8, 0xff, v11
	s_mov_b32 s42, exec_lo
	v_cmpx_ne_u16_e32 0, v8
	s_cbranch_execz .LBB4_4323
; %bb.4314:                             ;   in Loop: Header=BB4_3183 Depth=3
	v_bfrev_b32_e32 v5, 1
	s_mov_b32 s43, exec_lo
	v_cmpx_ne_u16_e32 0x80, v8
	s_cbranch_execz .LBB4_4322
; %bb.4315:                             ;   in Loop: Header=BB4_3183 Depth=3
	v_and_b32_e32 v5, 0x7c, v11
	v_and_b32_e32 v8, 3, v11
	s_delay_alu instid0(VALU_DEP_2) | instskip(SKIP_1) | instid1(SALU_CYCLE_1)
	v_cmp_ne_u32_e32 vcc_lo, 0x7c, v5
                                        ; implicit-def: $vgpr5
	s_and_saveexec_b32 s13, vcc_lo
	s_xor_b32 s13, exec_lo, s13
	s_cbranch_execz .LBB4_4319
; %bb.4316:                             ;   in Loop: Header=BB4_3183 Depth=3
	v_bfe_u32 v5, v11, 2, 5
	s_mov_b32 s72, exec_lo
	s_delay_alu instid0(VALU_DEP_1)
	v_cmpx_eq_u32_e32 0, v5
; %bb.4317:                             ;   in Loop: Header=BB4_3183 Depth=3
	v_clz_i32_u32_e32 v5, v8
	v_dual_mov_b32 v8, v11 :: v_dual_mov_b32 v9, v3
	s_delay_alu instid0(VALU_DEP_2) | instskip(NEXT) | instid1(VALU_DEP_1)
	v_min_u32_e32 v5, 32, v5
	v_subrev_nc_u32_e32 v44, 29, v5
	s_delay_alu instid0(VALU_DEP_1) | instskip(NEXT) | instid1(VALU_DEP_1)
	v_lshlrev_b64_e32 v[8:9], v44, v[8:9]
	v_dual_sub_nc_u32 v5, 30, v5 :: v_dual_bitop2_b32 v8, 3, v8 bitop3:0x40
; %bb.4318:                             ;   in Loop: Header=BB4_3183 Depth=3
	s_or_b32 exec_lo, exec_lo, s72
	v_lshlrev_b32_e32 v9, 24, v11
	s_delay_alu instid0(VALU_DEP_1) | instskip(NEXT) | instid1(VALU_DEP_1)
	v_and_b32_e32 v9, 0x80000000, v9
	v_lshl_add_u32 v5, v5, 23, v9
	s_delay_alu instid0(VALU_DEP_1) | instskip(NEXT) | instid1(VALU_DEP_1)
	v_lshl_or_b32 v5, v8, 21, v5
                                        ; implicit-def: $vgpr8
	v_add_nc_u32_e32 v5, 0x38000000, v5
.LBB4_4319:                             ;   in Loop: Header=BB4_3183 Depth=3
	s_and_not1_saveexec_b32 s72, s13
; %bb.4320:                             ;   in Loop: Header=BB4_3183 Depth=3
	v_bfe_i32 v5, v11, 0, 8
	v_cmp_eq_u32_e32 vcc_lo, 0, v8
	s_delay_alu instid0(VALU_DEP_2) | instskip(NEXT) | instid1(VALU_DEP_1)
	v_cmp_lt_i16_e64 s13, -1, v5
	v_cndmask_b32_e64 v5, 0xff800000, v112, s13
	s_delay_alu instid0(VALU_DEP_1)
	v_cndmask_b32_e32 v5, 0x7f800001, v5, vcc_lo
; %bb.4321:                             ;   in Loop: Header=BB4_3183 Depth=3
	s_or_b32 exec_lo, exec_lo, s72
.LBB4_4322:                             ;   in Loop: Header=BB4_3183 Depth=3
	s_delay_alu instid0(SALU_CYCLE_1)
	s_or_b32 exec_lo, exec_lo, s43
.LBB4_4323:                             ;   in Loop: Header=BB4_3183 Depth=3
	s_delay_alu instid0(SALU_CYCLE_1) | instskip(NEXT) | instid1(VALU_DEP_1)
	s_or_b32 exec_lo, exec_lo, s42
	v_dual_mul_f32 v8, v4, v5 :: v_dual_mov_b32 v45, v3
	s_delay_alu instid0(VALU_DEP_1) | instskip(SKIP_2) | instid1(VALU_DEP_2)
	v_dual_mov_b32 v5, v3 :: v_dual_lshrrev_b32 v9, 24, v8
	v_and_b32_e32 v44, 0x7f800000, v8
	v_and_b32_e32 v4, 0x7fffff, v8
	v_cmp_ne_u64_e32 vcc_lo, 0x7f800000, v[44:45]
                                        ; implicit-def: $vgpr44
	s_and_saveexec_b32 s13, vcc_lo
	s_delay_alu instid0(SALU_CYCLE_1)
	s_xor_b32 s42, exec_lo, s13
	s_cbranch_execz .LBB4_4337
; %bb.4324:                             ;   in Loop: Header=BB4_3183 Depth=3
	v_and_b32_e32 v44, 0x7fffffff, v8
	v_mov_b32_e32 v45, v3
	s_delay_alu instid0(VALU_DEP_1) | instskip(SKIP_2) | instid1(SALU_CYCLE_1)
	v_cmp_gt_u64_e32 vcc_lo, 0x47600001, v[44:45]
	v_and_b32_e32 v45, 0x80, v9
                                        ; implicit-def: $vgpr44
	s_and_saveexec_b32 s13, vcc_lo
	s_xor_b32 s43, exec_lo, s13
	s_cbranch_execz .LBB4_4334
; %bb.4325:                             ;   in Loop: Header=BB4_3183 Depth=3
	v_mov_b32_e32 v44, 0
	s_mov_b32 s72, exec_lo
	v_cmpx_ne_u32_e32 0, v8
	s_cbranch_execz .LBB4_4333
; %bb.4326:                             ;   in Loop: Header=BB4_3183 Depth=3
	v_bfe_u32 v44, v8, 23, 8
	v_or_b32_e32 v9, 0x800000, v4
	s_delay_alu instid0(VALU_DEP_2) | instskip(SKIP_2) | instid1(VALU_DEP_2)
	v_cmp_gt_u32_e64 s13, 0x72, v44
	v_sub_nc_u32_e32 v8, 0x71, v44
	v_cmp_eq_u32_e32 vcc_lo, 0, v44
	v_cndmask_b32_e64 v8, 0, v8, s13
	s_delay_alu instid0(VALU_DEP_1) | instskip(NEXT) | instid1(VALU_DEP_1)
	v_cndmask_b32_e64 v46, v8, 0x70, vcc_lo
	v_dual_cndmask_b32 v4, v9, v4, vcc_lo :: v_dual_add_nc_u32 v8, 21, v46
	v_add_nc_u32_e32 v47, 20, v46
	s_delay_alu instid0(VALU_DEP_2) | instskip(NEXT) | instid1(VALU_DEP_2)
	v_lshlrev_b64_e64 v[8:9], v8, -1
	v_lshlrev_b64_e64 v[56:57], v47, 1
	s_delay_alu instid0(VALU_DEP_2) | instskip(SKIP_1) | instid1(VALU_DEP_4)
	v_bfi_b32 v8, v8, 0, v4
	v_lshrrev_b64 v[4:5], v46, v[4:5]
	v_bfi_b32 v9, v9, 0, 0
	s_delay_alu instid0(VALU_DEP_1) | instskip(NEXT) | instid1(VALU_DEP_3)
	v_cmp_eq_u64_e64 s13, v[8:9], v[56:57]
	v_mov_b64_e32 v[8:9], v[4:5]
	s_and_saveexec_b32 s73, s13
; %bb.4327:                             ;   in Loop: Header=BB4_3183 Depth=3
	v_bfe_u32 v8, v4, 21, 1
	v_mov_b32_e32 v9, v3
	s_delay_alu instid0(VALU_DEP_1) | instskip(NEXT) | instid1(VALU_DEP_1)
	v_add_nc_u64_e32 v[8:9], v[4:5], v[8:9]
	v_add_nc_u64_e32 v[8:9], -1, v[8:9]
; %bb.4328:                             ;   in Loop: Header=BB4_3183 Depth=3
	s_or_b32 exec_lo, exec_lo, s73
	v_add_nc_u32_e32 v5, 0xffffff81, v44
	v_lshrrev_b32_e32 v9, 23, v4
	s_mov_b32 s13, exec_lo
	s_delay_alu instid0(VALU_DEP_2) | instskip(NEXT) | instid1(VALU_DEP_1)
	v_cndmask_b32_e64 v5, v5, 0xffffff82, vcc_lo
	v_add3_u32 v44, v46, v5, v9
	v_and_b32_e32 v5, 0x1fffff, v8
                                        ; implicit-def: $vgpr8
	s_delay_alu instid0(VALU_DEP_2) | instskip(NEXT) | instid1(VALU_DEP_2)
	v_add_nc_u32_e32 v9, 14, v44
	v_dual_mov_b32 v5, v3 :: v_dual_add_nc_u32 v4, v5, v4
	s_delay_alu instid0(VALU_DEP_2)
	v_cmpx_ne_u32_e32 0, v9
	s_xor_b32 s13, exec_lo, s13
; %bb.4329:                             ;   in Loop: Header=BB4_3183 Depth=3
	s_delay_alu instid0(VALU_DEP_2) | instskip(SKIP_1) | instid1(VALU_DEP_1)
	v_cmp_lt_u64_e32 vcc_lo, 0xffffff, v[4:5]
	v_add_nc_u32_e32 v8, 15, v44
	v_cndmask_b32_e32 v8, v9, v8, vcc_lo
	v_cndmask_b32_e64 v9, 0, 1, vcc_lo
	s_delay_alu instid0(VALU_DEP_1)
	v_lshrrev_b64 v[4:5], v9, v[4:5]
; %bb.4330:                             ;   in Loop: Header=BB4_3183 Depth=3
	s_and_not1_saveexec_b32 s13, s13
; %bb.4331:                             ;   in Loop: Header=BB4_3183 Depth=3
	s_delay_alu instid0(VALU_DEP_1)
	v_bfe_u32 v8, v4, 23, 1
; %bb.4332:                             ;   in Loop: Header=BB4_3183 Depth=3
	s_or_b32 exec_lo, exec_lo, s13
	s_delay_alu instid0(VALU_DEP_2) | instskip(NEXT) | instid1(VALU_DEP_2)
	v_lshrrev_b64 v[4:5], 21, v[4:5]
	v_cmp_gt_i32_e32 vcc_lo, 32, v8
	v_min_i32_e32 v9, 31, v8
	v_cmp_eq_u32_e64 s13, 0, v8
	s_delay_alu instid0(VALU_DEP_4) | instskip(NEXT) | instid1(VALU_DEP_3)
	v_cndmask_b32_e32 v5, 0, v5, vcc_lo
	v_dual_cndmask_b32 v4, 3, v4 :: v_dual_lshlrev_b32 v9, 2, v9
	s_delay_alu instid0(VALU_DEP_1) | instskip(NEXT) | instid1(VALU_DEP_2)
	v_and_b32_e32 v9, 0xfc, v9
	v_cmp_eq_u64_e32 vcc_lo, 0, v[4:5]
	s_delay_alu instid0(VALU_DEP_2)
	v_and_or_b32 v4, v4, 3, v9
	s_and_b32 s13, s13, vcc_lo
	s_delay_alu instid0(VALU_DEP_1) | instid1(SALU_CYCLE_1)
	v_cndmask_b32_e64 v4, v4, 0, s13
	s_delay_alu instid0(VALU_DEP_1)
	v_or_b32_e32 v44, v4, v45
.LBB4_4333:                             ;   in Loop: Header=BB4_3183 Depth=3
	s_or_b32 exec_lo, exec_lo, s72
                                        ; implicit-def: $vgpr45
.LBB4_4334:                             ;   in Loop: Header=BB4_3183 Depth=3
	s_and_not1_saveexec_b32 s13, s43
; %bb.4335:                             ;   in Loop: Header=BB4_3183 Depth=3
	v_or_b32_e32 v44, 0x7b, v45
; %bb.4336:                             ;   in Loop: Header=BB4_3183 Depth=3
	s_or_b32 exec_lo, exec_lo, s13
                                        ; implicit-def: $vgpr8
                                        ; implicit-def: $vgpr4_vgpr5
                                        ; implicit-def: $vgpr9
.LBB4_4337:                             ;   in Loop: Header=BB4_3183 Depth=3
	s_and_not1_saveexec_b32 s13, s42
	s_cbranch_execz .LBB4_4343
; %bb.4338:                             ;   in Loop: Header=BB4_3183 Depth=3
	s_mov_b32 s42, exec_lo
                                        ; implicit-def: $vgpr44
	v_cmpx_ne_u64_e32 0, v[4:5]
	s_xor_b32 s42, exec_lo, s42
; %bb.4339:                             ;   in Loop: Header=BB4_3183 Depth=3
	v_or_b32_e32 v44, 0x7f, v9
                                        ; implicit-def: $vgpr8
; %bb.4340:                             ;   in Loop: Header=BB4_3183 Depth=3
	s_and_not1_saveexec_b32 s42, s42
; %bb.4341:                             ;   in Loop: Header=BB4_3183 Depth=3
	v_cmp_lt_i32_e32 vcc_lo, -1, v8
	v_cndmask_b32_e32 v44, 0xfc, v113, vcc_lo
; %bb.4342:                             ;   in Loop: Header=BB4_3183 Depth=3
	s_or_b32 exec_lo, exec_lo, s42
.LBB4_4343:                             ;   in Loop: Header=BB4_3183 Depth=3
	s_delay_alu instid0(SALU_CYCLE_1) | instskip(SKIP_3) | instid1(VALU_DEP_2)
	s_or_b32 exec_lo, exec_lo, s13
	v_lshrrev_b16 v4, 8, v2
	v_dual_mov_b32 v8, 0 :: v_dual_mov_b32 v9, 0
	s_mov_b32 s42, exec_lo
	v_cmpx_ne_u16_e32 0, v4
	s_cbranch_execz .LBB4_4353
; %bb.4344:                             ;   in Loop: Header=BB4_3183 Depth=3
	v_bfrev_b32_e32 v9, 1
	s_mov_b32 s43, exec_lo
	v_cmpx_ne_u16_e32 0x80, v4
	s_cbranch_execz .LBB4_4352
; %bb.4345:                             ;   in Loop: Header=BB4_3183 Depth=3
	v_and_b32_e32 v45, 0xffff, v4
	s_delay_alu instid0(VALU_DEP_1) | instskip(SKIP_1) | instid1(VALU_DEP_2)
	v_and_b32_e32 v9, 0x7c, v45
	v_and_b32_e32 v5, 3, v45
	v_cmp_ne_u32_e32 vcc_lo, 0x7c, v9
                                        ; implicit-def: $vgpr9
	s_and_saveexec_b32 s13, vcc_lo
	s_delay_alu instid0(SALU_CYCLE_1)
	s_xor_b32 s13, exec_lo, s13
	s_cbranch_execz .LBB4_4349
; %bb.4346:                             ;   in Loop: Header=BB4_3183 Depth=3
	v_bfe_u32 v9, v45, 2, 5
	s_mov_b32 s72, exec_lo
	s_delay_alu instid0(VALU_DEP_1)
	v_cmpx_eq_u32_e32 0, v9
	s_cbranch_execz .LBB4_4348
; %bb.4347:                             ;   in Loop: Header=BB4_3183 Depth=3
	v_clz_i32_u32_e32 v5, v5
	s_delay_alu instid0(VALU_DEP_1) | instskip(SKIP_1) | instid1(VALU_DEP_2)
	v_min_u32_e32 v9, 32, v5
	v_mov_b32_e32 v5, v3
	v_subrev_nc_u32_e32 v45, 29, v9
	v_sub_nc_u32_e32 v9, 30, v9
	s_delay_alu instid0(VALU_DEP_2) | instskip(NEXT) | instid1(VALU_DEP_1)
	v_lshlrev_b64_e32 v[4:5], v45, v[4:5]
	v_and_b32_e32 v5, 3, v4
.LBB4_4348:                             ;   in Loop: Header=BB4_3183 Depth=3
	s_or_b32 exec_lo, exec_lo, s72
	v_lshlrev_b32_e32 v2, 16, v2
	s_delay_alu instid0(VALU_DEP_1) | instskip(NEXT) | instid1(VALU_DEP_1)
	v_and_b32_e32 v2, 0x80000000, v2
	v_lshl_add_u32 v2, v9, 23, v2
	s_delay_alu instid0(VALU_DEP_1) | instskip(NEXT) | instid1(VALU_DEP_1)
	v_lshl_or_b32 v2, v5, 21, v2
                                        ; implicit-def: $vgpr5
	v_add_nc_u32_e32 v9, 0x38000000, v2
.LBB4_4349:                             ;   in Loop: Header=BB4_3183 Depth=3
	s_and_not1_saveexec_b32 s72, s13
; %bb.4350:                             ;   in Loop: Header=BB4_3183 Depth=3
	v_cmp_lt_i16_e64 s13, -1, v2
	v_cmp_eq_u32_e32 vcc_lo, 0, v5
	s_delay_alu instid0(VALU_DEP_2) | instskip(NEXT) | instid1(VALU_DEP_1)
	v_cndmask_b32_e64 v2, 0xff800000, v112, s13
	v_cndmask_b32_e32 v9, 0x7f800001, v2, vcc_lo
; %bb.4351:                             ;   in Loop: Header=BB4_3183 Depth=3
	s_or_b32 exec_lo, exec_lo, s72
.LBB4_4352:                             ;   in Loop: Header=BB4_3183 Depth=3
	s_delay_alu instid0(SALU_CYCLE_1)
	s_or_b32 exec_lo, exec_lo, s43
.LBB4_4353:                             ;   in Loop: Header=BB4_3183 Depth=3
	s_delay_alu instid0(SALU_CYCLE_1) | instskip(SKIP_2) | instid1(VALU_DEP_1)
	s_or_b32 exec_lo, exec_lo, s42
	v_lshrrev_b16 v4, 8, v11
	s_mov_b32 s42, exec_lo
	v_cmpx_ne_u16_e32 0, v4
	s_cbranch_execz .LBB4_4363
; %bb.4354:                             ;   in Loop: Header=BB4_3183 Depth=3
	v_bfrev_b32_e32 v8, 1
	s_mov_b32 s43, exec_lo
	v_cmpx_ne_u16_e32 0x80, v4
	s_cbranch_execz .LBB4_4362
; %bb.4355:                             ;   in Loop: Header=BB4_3183 Depth=3
	v_and_b32_e32 v5, 0xffff, v4
	s_delay_alu instid0(VALU_DEP_1) | instskip(SKIP_1) | instid1(VALU_DEP_2)
	v_and_b32_e32 v8, 0x7c, v5
	v_and_b32_e32 v2, 3, v5
	v_cmp_ne_u32_e32 vcc_lo, 0x7c, v8
                                        ; implicit-def: $vgpr8
	s_and_saveexec_b32 s13, vcc_lo
	s_delay_alu instid0(SALU_CYCLE_1)
	s_xor_b32 s13, exec_lo, s13
	s_cbranch_execz .LBB4_4359
; %bb.4356:                             ;   in Loop: Header=BB4_3183 Depth=3
	v_bfe_u32 v5, v5, 2, 5
	s_mov_b32 s72, exec_lo
	s_delay_alu instid0(VALU_DEP_1)
	v_cmpx_eq_u32_e32 0, v5
; %bb.4357:                             ;   in Loop: Header=BB4_3183 Depth=3
	v_clz_i32_u32_e32 v2, v2
	v_mov_b32_e32 v5, v3
	s_delay_alu instid0(VALU_DEP_2) | instskip(NEXT) | instid1(VALU_DEP_1)
	v_min_u32_e32 v2, 32, v2
	v_subrev_nc_u32_e32 v8, 29, v2
	s_delay_alu instid0(VALU_DEP_1) | instskip(NEXT) | instid1(VALU_DEP_1)
	v_lshlrev_b64_e32 v[4:5], v8, v[4:5]
	v_dual_sub_nc_u32 v5, 30, v2 :: v_dual_bitop2_b32 v2, 3, v4 bitop3:0x40
; %bb.4358:                             ;   in Loop: Header=BB4_3183 Depth=3
	s_or_b32 exec_lo, exec_lo, s72
	v_lshlrev_b32_e32 v4, 16, v11
	s_delay_alu instid0(VALU_DEP_1) | instskip(NEXT) | instid1(VALU_DEP_1)
	v_and_b32_e32 v4, 0x80000000, v4
	v_lshl_add_u32 v4, v5, 23, v4
	s_delay_alu instid0(VALU_DEP_1) | instskip(NEXT) | instid1(VALU_DEP_1)
	v_lshl_or_b32 v2, v2, 21, v4
	v_add_nc_u32_e32 v8, 0x38000000, v2
                                        ; implicit-def: $vgpr2
.LBB4_4359:                             ;   in Loop: Header=BB4_3183 Depth=3
	s_and_not1_saveexec_b32 s72, s13
; %bb.4360:                             ;   in Loop: Header=BB4_3183 Depth=3
	v_cmp_lt_i16_e64 s13, -1, v11
	v_cmp_eq_u32_e32 vcc_lo, 0, v2
	s_delay_alu instid0(VALU_DEP_2) | instskip(NEXT) | instid1(VALU_DEP_1)
	v_cndmask_b32_e64 v2, 0xff800000, v112, s13
	v_cndmask_b32_e32 v8, 0x7f800001, v2, vcc_lo
; %bb.4361:                             ;   in Loop: Header=BB4_3183 Depth=3
	s_or_b32 exec_lo, exec_lo, s72
.LBB4_4362:                             ;   in Loop: Header=BB4_3183 Depth=3
	s_delay_alu instid0(SALU_CYCLE_1)
	s_or_b32 exec_lo, exec_lo, s43
.LBB4_4363:                             ;   in Loop: Header=BB4_3183 Depth=3
	s_delay_alu instid0(SALU_CYCLE_1) | instskip(NEXT) | instid1(VALU_DEP_1)
	s_or_b32 exec_lo, exec_lo, s42
	v_dual_mul_f32 v4, v9, v8 :: v_dual_mov_b32 v9, v3
                                        ; implicit-def: $vgpr45
	s_mov_b32 s13, exec_lo
	s_delay_alu instid0(VALU_DEP_1) | instskip(SKIP_2) | instid1(VALU_DEP_3)
	v_and_b32_e32 v8, 0x7f800000, v4
	v_and_b32_e32 v2, 0x7fffff, v4
	v_lshrrev_b32_e32 v5, 24, v4
	v_cmpx_ne_u64_e32 0x7f800000, v[8:9]
	s_xor_b32 s42, exec_lo, s13
	s_cbranch_execz .LBB4_4377
; %bb.4364:                             ;   in Loop: Header=BB4_3183 Depth=3
	v_and_b32_e32 v8, 0x7fffffff, v4
	v_mov_b32_e32 v9, v3
	v_and_b32_e32 v46, 0x80, v5
                                        ; implicit-def: $vgpr45
	s_mov_b32 s13, exec_lo
	s_delay_alu instid0(VALU_DEP_2)
	v_cmpx_gt_u64_e32 0x47600001, v[8:9]
	s_xor_b32 s43, exec_lo, s13
	s_cbranch_execz .LBB4_4374
; %bb.4365:                             ;   in Loop: Header=BB4_3183 Depth=3
	v_mov_b32_e32 v45, 0
	s_mov_b32 s72, exec_lo
	v_cmpx_ne_u32_e32 0, v4
	s_cbranch_execz .LBB4_4373
; %bb.4366:                             ;   in Loop: Header=BB4_3183 Depth=3
	v_bfe_u32 v45, v4, 23, 8
	v_or_b32_e32 v5, 0x800000, v2
	s_delay_alu instid0(VALU_DEP_2) | instskip(SKIP_2) | instid1(VALU_DEP_2)
	v_cmp_gt_u32_e64 s13, 0x72, v45
	v_sub_nc_u32_e32 v4, 0x71, v45
	v_cmp_eq_u32_e32 vcc_lo, 0, v45
	v_cndmask_b32_e64 v4, 0, v4, s13
	s_delay_alu instid0(VALU_DEP_1) | instskip(SKIP_1) | instid1(VALU_DEP_2)
	v_cndmask_b32_e64 v47, v4, 0x70, vcc_lo
	v_dual_cndmask_b32 v4, v5, v2 :: v_dual_mov_b32 v5, v3
	v_add_nc_u32_e32 v2, 21, v47
	s_delay_alu instid0(VALU_DEP_1) | instskip(SKIP_1) | instid1(VALU_DEP_1)
	v_lshlrev_b64_e64 v[8:9], v2, -1
	v_add_nc_u32_e32 v2, 20, v47
	v_lshlrev_b64_e64 v[56:57], v2, 1
	s_delay_alu instid0(VALU_DEP_3) | instskip(SKIP_2) | instid1(VALU_DEP_1)
	v_bfi_b32 v8, v8, 0, v4
	v_lshrrev_b64 v[4:5], v47, v[4:5]
	v_bfi_b32 v9, v9, 0, 0
	v_cmp_eq_u64_e64 s13, v[8:9], v[56:57]
	s_delay_alu instid0(VALU_DEP_3)
	v_mov_b64_e32 v[8:9], v[4:5]
	s_and_saveexec_b32 s73, s13
; %bb.4367:                             ;   in Loop: Header=BB4_3183 Depth=3
	v_bfe_u32 v8, v4, 21, 1
	v_mov_b32_e32 v9, v3
	s_delay_alu instid0(VALU_DEP_1) | instskip(NEXT) | instid1(VALU_DEP_1)
	v_add_nc_u64_e32 v[8:9], v[4:5], v[8:9]
	v_add_nc_u64_e32 v[8:9], -1, v[8:9]
; %bb.4368:                             ;   in Loop: Header=BB4_3183 Depth=3
	s_or_b32 exec_lo, exec_lo, s73
	v_add_nc_u32_e32 v2, 0xffffff81, v45
	s_delay_alu instid0(VALU_DEP_2) | instskip(SKIP_2) | instid1(VALU_DEP_3)
	v_and_b32_e32 v8, 0x1fffff, v8
	v_lshrrev_b32_e32 v5, 23, v4
	s_mov_b32 s13, exec_lo
	v_cndmask_b32_e64 v2, v2, 0xffffff82, vcc_lo
	s_delay_alu instid0(VALU_DEP_1) | instskip(SKIP_1) | instid1(VALU_DEP_2)
	v_add3_u32 v45, v47, v2, v5
	v_add_nc_u32_e32 v2, v8, v4
                                        ; implicit-def: $vgpr4_vgpr5
                                        ; implicit-def: $vgpr8
	v_add_nc_u32_e32 v9, 14, v45
	s_delay_alu instid0(VALU_DEP_1)
	v_cmpx_ne_u32_e32 0, v9
	s_xor_b32 s13, exec_lo, s13
; %bb.4369:                             ;   in Loop: Header=BB4_3183 Depth=3
	s_delay_alu instid0(VALU_DEP_3) | instskip(SKIP_1) | instid1(VALU_DEP_1)
	v_cmp_lt_u64_e32 vcc_lo, 0xffffff, v[2:3]
	v_add_nc_u32_e32 v4, 15, v45
	v_cndmask_b32_e32 v8, v9, v4, vcc_lo
	v_cndmask_b32_e64 v4, 0, 1, vcc_lo
	s_delay_alu instid0(VALU_DEP_1)
	v_lshrrev_b64 v[4:5], v4, v[2:3]
; %bb.4370:                             ;   in Loop: Header=BB4_3183 Depth=3
	s_and_not1_saveexec_b32 s13, s13
; %bb.4371:                             ;   in Loop: Header=BB4_3183 Depth=3
	v_mov_b64_e32 v[4:5], v[2:3]
	v_bfe_u32 v8, v2, 23, 1
; %bb.4372:                             ;   in Loop: Header=BB4_3183 Depth=3
	s_or_b32 exec_lo, exec_lo, s13
	s_delay_alu instid0(VALU_DEP_2) | instskip(NEXT) | instid1(VALU_DEP_2)
	v_lshrrev_b64 v[4:5], 21, v[4:5]
	v_cmp_gt_i32_e32 vcc_lo, 32, v8
	v_min_i32_e32 v2, 31, v8
	v_cmp_eq_u32_e64 s13, 0, v8
	s_delay_alu instid0(VALU_DEP_2) | instskip(SKIP_1) | instid1(VALU_DEP_2)
	v_dual_cndmask_b32 v5, 0, v5 :: v_dual_lshlrev_b32 v2, 2, v2
	v_cndmask_b32_e32 v4, 3, v4, vcc_lo
	v_and_b32_e32 v2, 0xfc, v2
	s_delay_alu instid0(VALU_DEP_2) | instskip(NEXT) | instid1(VALU_DEP_2)
	v_cmp_eq_u64_e32 vcc_lo, 0, v[4:5]
	v_and_or_b32 v2, v4, 3, v2
	s_and_b32 s13, s13, vcc_lo
	s_delay_alu instid0(VALU_DEP_1) | instid1(SALU_CYCLE_1)
	v_cndmask_b32_e64 v2, v2, 0, s13
	s_delay_alu instid0(VALU_DEP_1)
	v_or_b32_e32 v45, v2, v46
.LBB4_4373:                             ;   in Loop: Header=BB4_3183 Depth=3
	s_or_b32 exec_lo, exec_lo, s72
                                        ; implicit-def: $vgpr46
.LBB4_4374:                             ;   in Loop: Header=BB4_3183 Depth=3
	s_and_not1_saveexec_b32 s13, s43
; %bb.4375:                             ;   in Loop: Header=BB4_3183 Depth=3
	v_or_b32_e32 v45, 0x7b, v46
; %bb.4376:                             ;   in Loop: Header=BB4_3183 Depth=3
	s_or_b32 exec_lo, exec_lo, s13
                                        ; implicit-def: $vgpr4
                                        ; implicit-def: $vgpr5
.LBB4_4377:                             ;   in Loop: Header=BB4_3183 Depth=3
	s_and_not1_saveexec_b32 s13, s42
	s_cbranch_execz .LBB4_4383
; %bb.4378:                             ;   in Loop: Header=BB4_3183 Depth=3
	s_mov_b32 s42, exec_lo
                                        ; implicit-def: $vgpr45
	v_cmpx_ne_u64_e32 0, v[2:3]
	s_xor_b32 s42, exec_lo, s42
; %bb.4379:                             ;   in Loop: Header=BB4_3183 Depth=3
	v_or_b32_e32 v45, 0x7f, v5
                                        ; implicit-def: $vgpr4
; %bb.4380:                             ;   in Loop: Header=BB4_3183 Depth=3
	s_and_not1_saveexec_b32 s42, s42
; %bb.4381:                             ;   in Loop: Header=BB4_3183 Depth=3
	v_cmp_lt_i32_e32 vcc_lo, -1, v4
	v_cndmask_b32_e32 v45, 0xfc, v113, vcc_lo
; %bb.4382:                             ;   in Loop: Header=BB4_3183 Depth=3
	s_or_b32 exec_lo, exec_lo, s42
.LBB4_4383:                             ;   in Loop: Header=BB4_3183 Depth=3
	s_delay_alu instid0(SALU_CYCLE_1) | instskip(SKIP_3) | instid1(VALU_DEP_2)
	s_or_b32 exec_lo, exec_lo, s13
	v_dual_lshrrev_b32 v2, 16, v15 :: v_dual_mov_b32 v4, 0
	v_mov_b32_e32 v5, 0
	s_mov_b32 s42, exec_lo
	v_and_b32_e32 v8, 0xff, v2
	s_delay_alu instid0(VALU_DEP_1)
	v_cmpx_ne_u16_e32 0, v8
	s_cbranch_execz .LBB4_4393
; %bb.4384:                             ;   in Loop: Header=BB4_3183 Depth=3
	v_bfrev_b32_e32 v5, 1
	s_mov_b32 s43, exec_lo
	v_cmpx_ne_u16_e32 0x80, v8
	s_cbranch_execz .LBB4_4392
; %bb.4385:                             ;   in Loop: Header=BB4_3183 Depth=3
	v_and_b32_e32 v5, 0x7c0000, v15
	v_bfe_u32 v8, v15, 16, 2
	s_delay_alu instid0(VALU_DEP_2) | instskip(SKIP_1) | instid1(SALU_CYCLE_1)
	v_cmp_ne_u32_e32 vcc_lo, 0x7c0000, v5
                                        ; implicit-def: $vgpr5
	s_and_saveexec_b32 s13, vcc_lo
	s_xor_b32 s13, exec_lo, s13
	s_cbranch_execz .LBB4_4389
; %bb.4386:                             ;   in Loop: Header=BB4_3183 Depth=3
	v_bfe_u32 v5, v15, 18, 5
	s_mov_b32 s72, exec_lo
	s_delay_alu instid0(VALU_DEP_1)
	v_cmpx_eq_u32_e32 0, v5
; %bb.4387:                             ;   in Loop: Header=BB4_3183 Depth=3
	v_clz_i32_u32_e32 v5, v8
	s_delay_alu instid0(VALU_DEP_1) | instskip(NEXT) | instid1(VALU_DEP_1)
	v_min_u32_e32 v5, 32, v5
	v_subrev_nc_u32_e32 v8, 29, v5
	s_delay_alu instid0(VALU_DEP_1) | instskip(NEXT) | instid1(VALU_DEP_1)
	v_lshlrev_b64_e32 v[8:9], v8, v[2:3]
	v_dual_sub_nc_u32 v5, 30, v5 :: v_dual_bitop2_b32 v8, 3, v8 bitop3:0x40
; %bb.4388:                             ;   in Loop: Header=BB4_3183 Depth=3
	s_or_b32 exec_lo, exec_lo, s72
	v_lshlrev_b32_e32 v2, 24, v2
	s_delay_alu instid0(VALU_DEP_1) | instskip(NEXT) | instid1(VALU_DEP_1)
	v_and_b32_e32 v2, 0x80000000, v2
	v_lshl_add_u32 v2, v5, 23, v2
	s_delay_alu instid0(VALU_DEP_1) | instskip(NEXT) | instid1(VALU_DEP_1)
	v_lshl_or_b32 v2, v8, 21, v2
                                        ; implicit-def: $vgpr8
	v_add_nc_u32_e32 v5, 0x38000000, v2
                                        ; implicit-def: $vgpr2
.LBB4_4389:                             ;   in Loop: Header=BB4_3183 Depth=3
	s_and_not1_saveexec_b32 s72, s13
; %bb.4390:                             ;   in Loop: Header=BB4_3183 Depth=3
	v_bfe_i32 v2, v2, 0, 8
	v_cmp_eq_u32_e32 vcc_lo, 0, v8
	s_delay_alu instid0(VALU_DEP_2) | instskip(NEXT) | instid1(VALU_DEP_1)
	v_cmp_lt_i16_e64 s13, -1, v2
	v_cndmask_b32_e64 v2, 0xff800000, v112, s13
	s_delay_alu instid0(VALU_DEP_1)
	v_cndmask_b32_e32 v5, 0x7f800001, v2, vcc_lo
; %bb.4391:                             ;   in Loop: Header=BB4_3183 Depth=3
	s_or_b32 exec_lo, exec_lo, s72
.LBB4_4392:                             ;   in Loop: Header=BB4_3183 Depth=3
	s_delay_alu instid0(SALU_CYCLE_1)
	s_or_b32 exec_lo, exec_lo, s43
.LBB4_4393:                             ;   in Loop: Header=BB4_3183 Depth=3
	s_delay_alu instid0(SALU_CYCLE_1) | instskip(SKIP_2) | instid1(VALU_DEP_1)
	s_or_b32 exec_lo, exec_lo, s42
	v_lshrrev_b32_e32 v2, 16, v11
	s_mov_b32 s42, exec_lo
	v_and_b32_e32 v8, 0xff, v2
	s_delay_alu instid0(VALU_DEP_1)
	v_cmpx_ne_u16_e32 0, v8
	s_cbranch_execz .LBB4_4403
; %bb.4394:                             ;   in Loop: Header=BB4_3183 Depth=3
	v_bfrev_b32_e32 v4, 1
	s_mov_b32 s43, exec_lo
	v_cmpx_ne_u16_e32 0x80, v8
	s_cbranch_execz .LBB4_4402
; %bb.4395:                             ;   in Loop: Header=BB4_3183 Depth=3
	v_and_b32_e32 v4, 0x7c0000, v11
	v_bfe_u32 v8, v11, 16, 2
	s_delay_alu instid0(VALU_DEP_2) | instskip(SKIP_1) | instid1(SALU_CYCLE_1)
	v_cmp_ne_u32_e32 vcc_lo, 0x7c0000, v4
                                        ; implicit-def: $vgpr4
	s_and_saveexec_b32 s13, vcc_lo
	s_xor_b32 s13, exec_lo, s13
	s_cbranch_execz .LBB4_4399
; %bb.4396:                             ;   in Loop: Header=BB4_3183 Depth=3
	v_bfe_u32 v4, v11, 18, 5
	s_mov_b32 s72, exec_lo
	s_delay_alu instid0(VALU_DEP_1)
	v_cmpx_eq_u32_e32 0, v4
; %bb.4397:                             ;   in Loop: Header=BB4_3183 Depth=3
	v_clz_i32_u32_e32 v4, v8
	s_delay_alu instid0(VALU_DEP_1) | instskip(NEXT) | instid1(VALU_DEP_1)
	v_min_u32_e32 v4, 32, v4
	v_subrev_nc_u32_e32 v8, 29, v4
	v_sub_nc_u32_e32 v4, 30, v4
	s_delay_alu instid0(VALU_DEP_2) | instskip(NEXT) | instid1(VALU_DEP_1)
	v_lshlrev_b64_e32 v[8:9], v8, v[2:3]
	v_and_b32_e32 v8, 3, v8
; %bb.4398:                             ;   in Loop: Header=BB4_3183 Depth=3
	s_or_b32 exec_lo, exec_lo, s72
	v_lshlrev_b32_e32 v2, 24, v2
	s_delay_alu instid0(VALU_DEP_1) | instskip(NEXT) | instid1(VALU_DEP_1)
	v_and_b32_e32 v2, 0x80000000, v2
	v_lshl_add_u32 v2, v4, 23, v2
	s_delay_alu instid0(VALU_DEP_1) | instskip(NEXT) | instid1(VALU_DEP_1)
	v_lshl_or_b32 v2, v8, 21, v2
                                        ; implicit-def: $vgpr8
	v_add_nc_u32_e32 v4, 0x38000000, v2
                                        ; implicit-def: $vgpr2
.LBB4_4399:                             ;   in Loop: Header=BB4_3183 Depth=3
	s_and_not1_saveexec_b32 s72, s13
; %bb.4400:                             ;   in Loop: Header=BB4_3183 Depth=3
	v_bfe_i32 v2, v2, 0, 8
	v_cmp_eq_u32_e32 vcc_lo, 0, v8
	s_delay_alu instid0(VALU_DEP_2) | instskip(NEXT) | instid1(VALU_DEP_1)
	v_cmp_lt_i16_e64 s13, -1, v2
	v_cndmask_b32_e64 v2, 0xff800000, v112, s13
	s_delay_alu instid0(VALU_DEP_1)
	v_cndmask_b32_e32 v4, 0x7f800001, v2, vcc_lo
; %bb.4401:                             ;   in Loop: Header=BB4_3183 Depth=3
	s_or_b32 exec_lo, exec_lo, s72
.LBB4_4402:                             ;   in Loop: Header=BB4_3183 Depth=3
	s_delay_alu instid0(SALU_CYCLE_1)
	s_or_b32 exec_lo, exec_lo, s43
.LBB4_4403:                             ;   in Loop: Header=BB4_3183 Depth=3
	s_delay_alu instid0(SALU_CYCLE_1) | instskip(NEXT) | instid1(VALU_DEP_1)
	s_or_b32 exec_lo, exec_lo, s42
	v_dual_mul_f32 v4, v5, v4 :: v_dual_mov_b32 v9, v3
                                        ; implicit-def: $vgpr46
	s_mov_b32 s13, exec_lo
	s_delay_alu instid0(VALU_DEP_1) | instskip(SKIP_2) | instid1(VALU_DEP_3)
	v_and_b32_e32 v8, 0x7f800000, v4
	v_and_b32_e32 v2, 0x7fffff, v4
	v_lshrrev_b32_e32 v5, 24, v4
	v_cmpx_ne_u64_e32 0x7f800000, v[8:9]
	s_xor_b32 s42, exec_lo, s13
	s_cbranch_execz .LBB4_4417
; %bb.4404:                             ;   in Loop: Header=BB4_3183 Depth=3
	v_and_b32_e32 v8, 0x7fffffff, v4
	v_mov_b32_e32 v9, v3
	v_and_b32_e32 v47, 0x80, v5
                                        ; implicit-def: $vgpr46
	s_mov_b32 s13, exec_lo
	s_delay_alu instid0(VALU_DEP_2)
	v_cmpx_gt_u64_e32 0x47600001, v[8:9]
	s_xor_b32 s43, exec_lo, s13
	s_cbranch_execz .LBB4_4414
; %bb.4405:                             ;   in Loop: Header=BB4_3183 Depth=3
	v_mov_b32_e32 v46, 0
	s_mov_b32 s72, exec_lo
	v_cmpx_ne_u32_e32 0, v4
	s_cbranch_execz .LBB4_4413
; %bb.4406:                             ;   in Loop: Header=BB4_3183 Depth=3
	v_bfe_u32 v46, v4, 23, 8
	v_or_b32_e32 v5, 0x800000, v2
	s_delay_alu instid0(VALU_DEP_2) | instskip(SKIP_2) | instid1(VALU_DEP_2)
	v_cmp_gt_u32_e64 s13, 0x72, v46
	v_sub_nc_u32_e32 v4, 0x71, v46
	v_cmp_eq_u32_e32 vcc_lo, 0, v46
	v_cndmask_b32_e64 v4, 0, v4, s13
	s_delay_alu instid0(VALU_DEP_1) | instskip(SKIP_1) | instid1(VALU_DEP_2)
	v_cndmask_b32_e64 v56, v4, 0x70, vcc_lo
	v_dual_cndmask_b32 v4, v5, v2 :: v_dual_mov_b32 v5, v3
	v_add_nc_u32_e32 v2, 21, v56
	s_delay_alu instid0(VALU_DEP_1) | instskip(SKIP_1) | instid1(VALU_DEP_1)
	v_lshlrev_b64_e64 v[8:9], v2, -1
	v_add_nc_u32_e32 v2, 20, v56
	v_lshlrev_b64_e64 v[76:77], v2, 1
	s_delay_alu instid0(VALU_DEP_3) | instskip(SKIP_2) | instid1(VALU_DEP_1)
	v_bfi_b32 v8, v8, 0, v4
	v_lshrrev_b64 v[4:5], v56, v[4:5]
	v_bfi_b32 v9, v9, 0, 0
	v_cmp_eq_u64_e64 s13, v[8:9], v[76:77]
	s_delay_alu instid0(VALU_DEP_3)
	v_mov_b64_e32 v[8:9], v[4:5]
	s_and_saveexec_b32 s73, s13
; %bb.4407:                             ;   in Loop: Header=BB4_3183 Depth=3
	v_bfe_u32 v8, v4, 21, 1
	v_mov_b32_e32 v9, v3
	s_delay_alu instid0(VALU_DEP_1) | instskip(NEXT) | instid1(VALU_DEP_1)
	v_add_nc_u64_e32 v[8:9], v[4:5], v[8:9]
	v_add_nc_u64_e32 v[8:9], -1, v[8:9]
; %bb.4408:                             ;   in Loop: Header=BB4_3183 Depth=3
	s_or_b32 exec_lo, exec_lo, s73
	v_add_nc_u32_e32 v2, 0xffffff81, v46
	s_delay_alu instid0(VALU_DEP_2) | instskip(SKIP_2) | instid1(VALU_DEP_3)
	v_and_b32_e32 v8, 0x1fffff, v8
	v_lshrrev_b32_e32 v5, 23, v4
	s_mov_b32 s13, exec_lo
	v_cndmask_b32_e64 v2, v2, 0xffffff82, vcc_lo
	s_delay_alu instid0(VALU_DEP_1) | instskip(SKIP_1) | instid1(VALU_DEP_2)
	v_add3_u32 v46, v56, v2, v5
	v_add_nc_u32_e32 v2, v8, v4
                                        ; implicit-def: $vgpr4_vgpr5
                                        ; implicit-def: $vgpr8
	v_add_nc_u32_e32 v9, 14, v46
	s_delay_alu instid0(VALU_DEP_1)
	v_cmpx_ne_u32_e32 0, v9
	s_xor_b32 s13, exec_lo, s13
; %bb.4409:                             ;   in Loop: Header=BB4_3183 Depth=3
	s_delay_alu instid0(VALU_DEP_3) | instskip(SKIP_1) | instid1(VALU_DEP_1)
	v_cmp_lt_u64_e32 vcc_lo, 0xffffff, v[2:3]
	v_add_nc_u32_e32 v4, 15, v46
	v_cndmask_b32_e32 v8, v9, v4, vcc_lo
	v_cndmask_b32_e64 v4, 0, 1, vcc_lo
	s_delay_alu instid0(VALU_DEP_1)
	v_lshrrev_b64 v[4:5], v4, v[2:3]
; %bb.4410:                             ;   in Loop: Header=BB4_3183 Depth=3
	s_and_not1_saveexec_b32 s13, s13
; %bb.4411:                             ;   in Loop: Header=BB4_3183 Depth=3
	v_mov_b64_e32 v[4:5], v[2:3]
	v_bfe_u32 v8, v2, 23, 1
; %bb.4412:                             ;   in Loop: Header=BB4_3183 Depth=3
	s_or_b32 exec_lo, exec_lo, s13
	s_delay_alu instid0(VALU_DEP_2) | instskip(NEXT) | instid1(VALU_DEP_2)
	v_lshrrev_b64 v[4:5], 21, v[4:5]
	v_cmp_gt_i32_e32 vcc_lo, 32, v8
	v_min_i32_e32 v2, 31, v8
	v_cmp_eq_u32_e64 s13, 0, v8
	s_delay_alu instid0(VALU_DEP_2) | instskip(SKIP_1) | instid1(VALU_DEP_2)
	v_dual_cndmask_b32 v5, 0, v5 :: v_dual_lshlrev_b32 v2, 2, v2
	v_cndmask_b32_e32 v4, 3, v4, vcc_lo
	v_and_b32_e32 v2, 0xfc, v2
	s_delay_alu instid0(VALU_DEP_2) | instskip(NEXT) | instid1(VALU_DEP_2)
	v_cmp_eq_u64_e32 vcc_lo, 0, v[4:5]
	v_and_or_b32 v2, v4, 3, v2
	s_and_b32 s13, s13, vcc_lo
	s_delay_alu instid0(VALU_DEP_1) | instid1(SALU_CYCLE_1)
	v_cndmask_b32_e64 v2, v2, 0, s13
	s_delay_alu instid0(VALU_DEP_1)
	v_or_b32_e32 v46, v2, v47
.LBB4_4413:                             ;   in Loop: Header=BB4_3183 Depth=3
	s_or_b32 exec_lo, exec_lo, s72
                                        ; implicit-def: $vgpr47
.LBB4_4414:                             ;   in Loop: Header=BB4_3183 Depth=3
	s_and_not1_saveexec_b32 s13, s43
; %bb.4415:                             ;   in Loop: Header=BB4_3183 Depth=3
	v_or_b32_e32 v46, 0x7b, v47
; %bb.4416:                             ;   in Loop: Header=BB4_3183 Depth=3
	s_or_b32 exec_lo, exec_lo, s13
                                        ; implicit-def: $vgpr4
                                        ; implicit-def: $vgpr5
.LBB4_4417:                             ;   in Loop: Header=BB4_3183 Depth=3
	s_and_not1_saveexec_b32 s13, s42
	s_cbranch_execz .LBB4_4423
; %bb.4418:                             ;   in Loop: Header=BB4_3183 Depth=3
	s_mov_b32 s42, exec_lo
                                        ; implicit-def: $vgpr46
	v_cmpx_ne_u64_e32 0, v[2:3]
	s_xor_b32 s42, exec_lo, s42
; %bb.4419:                             ;   in Loop: Header=BB4_3183 Depth=3
	v_or_b32_e32 v46, 0x7f, v5
                                        ; implicit-def: $vgpr4
; %bb.4420:                             ;   in Loop: Header=BB4_3183 Depth=3
	s_and_not1_saveexec_b32 s42, s42
; %bb.4421:                             ;   in Loop: Header=BB4_3183 Depth=3
	v_cmp_lt_i32_e32 vcc_lo, -1, v4
	v_cndmask_b32_e32 v46, 0xfc, v113, vcc_lo
; %bb.4422:                             ;   in Loop: Header=BB4_3183 Depth=3
	s_or_b32 exec_lo, exec_lo, s42
.LBB4_4423:                             ;   in Loop: Header=BB4_3183 Depth=3
	s_delay_alu instid0(SALU_CYCLE_1)
	s_or_b32 exec_lo, exec_lo, s13
	v_dual_mov_b32 v4, 0 :: v_dual_mov_b32 v5, 0
	s_mov_b32 s42, exec_lo
	v_cmpx_lt_u64_e64 s[22:23], v[14:15]
	s_cbranch_execz .LBB4_4433
; %bb.4424:                             ;   in Loop: Header=BB4_3183 Depth=3
	v_lshrrev_b32_e32 v2, 24, v15
	v_bfrev_b32_e32 v5, 1
	s_mov_b32 s43, exec_lo
	s_delay_alu instid0(VALU_DEP_2)
	v_cmpx_ne_u32_e32 0x80, v2
	s_cbranch_execz .LBB4_4432
; %bb.4425:                             ;   in Loop: Header=BB4_3183 Depth=3
	v_and_b32_e32 v5, 0x7c000000, v15
	v_bfe_u32 v8, v15, 24, 2
	s_delay_alu instid0(VALU_DEP_2) | instskip(SKIP_1) | instid1(SALU_CYCLE_1)
	v_cmp_ne_u32_e32 vcc_lo, 0x7c000000, v5
                                        ; implicit-def: $vgpr5
	s_and_saveexec_b32 s13, vcc_lo
	s_xor_b32 s13, exec_lo, s13
	s_cbranch_execz .LBB4_4429
; %bb.4426:                             ;   in Loop: Header=BB4_3183 Depth=3
	v_bfe_u32 v5, v15, 26, 5
	s_mov_b32 s72, exec_lo
	s_delay_alu instid0(VALU_DEP_1)
	v_cmpx_eq_u32_e32 0, v5
; %bb.4427:                             ;   in Loop: Header=BB4_3183 Depth=3
	v_clz_i32_u32_e32 v5, v8
	s_delay_alu instid0(VALU_DEP_1) | instskip(NEXT) | instid1(VALU_DEP_1)
	v_min_u32_e32 v5, 32, v5
	v_subrev_nc_u32_e32 v8, 29, v5
	s_delay_alu instid0(VALU_DEP_1) | instskip(NEXT) | instid1(VALU_DEP_1)
	v_lshlrev_b64_e32 v[8:9], v8, v[2:3]
	v_dual_sub_nc_u32 v5, 30, v5 :: v_dual_bitop2_b32 v8, 3, v8 bitop3:0x40
; %bb.4428:                             ;   in Loop: Header=BB4_3183 Depth=3
	s_or_b32 exec_lo, exec_lo, s72
	v_and_b32_e32 v2, 0x80000000, v15
                                        ; implicit-def: $vgpr14_vgpr15
	s_delay_alu instid0(VALU_DEP_1) | instskip(NEXT) | instid1(VALU_DEP_1)
	v_lshl_add_u32 v2, v5, 23, v2
	v_lshl_or_b32 v2, v8, 21, v2
                                        ; implicit-def: $vgpr8
	s_delay_alu instid0(VALU_DEP_1)
	v_add_nc_u32_e32 v5, 0x38000000, v2
.LBB4_4429:                             ;   in Loop: Header=BB4_3183 Depth=3
	s_and_not1_saveexec_b32 s72, s13
; %bb.4430:                             ;   in Loop: Header=BB4_3183 Depth=3
	v_cmp_lt_i64_e64 s13, -1, v[14:15]
	v_cmp_eq_u32_e32 vcc_lo, 0, v8
	s_delay_alu instid0(VALU_DEP_2) | instskip(NEXT) | instid1(VALU_DEP_1)
	v_cndmask_b32_e64 v2, 0xff800000, v112, s13
	v_cndmask_b32_e32 v5, 0x7f800001, v2, vcc_lo
; %bb.4431:                             ;   in Loop: Header=BB4_3183 Depth=3
	s_or_b32 exec_lo, exec_lo, s72
.LBB4_4432:                             ;   in Loop: Header=BB4_3183 Depth=3
	s_delay_alu instid0(SALU_CYCLE_1)
	s_or_b32 exec_lo, exec_lo, s43
.LBB4_4433:                             ;   in Loop: Header=BB4_3183 Depth=3
	s_delay_alu instid0(SALU_CYCLE_1) | instskip(NEXT) | instid1(SALU_CYCLE_1)
	s_or_b32 exec_lo, exec_lo, s42
	s_mov_b32 s42, exec_lo
	v_cmpx_lt_u64_e64 s[22:23], v[10:11]
	s_cbranch_execz .LBB4_4443
; %bb.4434:                             ;   in Loop: Header=BB4_3183 Depth=3
	v_lshrrev_b32_e32 v2, 24, v11
	v_bfrev_b32_e32 v4, 1
	s_mov_b32 s43, exec_lo
	s_delay_alu instid0(VALU_DEP_2)
	v_cmpx_ne_u32_e32 0x80, v2
	s_cbranch_execz .LBB4_4442
; %bb.4435:                             ;   in Loop: Header=BB4_3183 Depth=3
	v_and_b32_e32 v4, 0x7c000000, v11
	v_bfe_u32 v8, v11, 24, 2
	s_delay_alu instid0(VALU_DEP_2) | instskip(SKIP_1) | instid1(SALU_CYCLE_1)
	v_cmp_ne_u32_e32 vcc_lo, 0x7c000000, v4
                                        ; implicit-def: $vgpr4
	s_and_saveexec_b32 s13, vcc_lo
	s_xor_b32 s13, exec_lo, s13
	s_cbranch_execz .LBB4_4439
; %bb.4436:                             ;   in Loop: Header=BB4_3183 Depth=3
	v_bfe_u32 v4, v11, 26, 5
	s_mov_b32 s72, exec_lo
	s_delay_alu instid0(VALU_DEP_1)
	v_cmpx_eq_u32_e32 0, v4
; %bb.4437:                             ;   in Loop: Header=BB4_3183 Depth=3
	v_clz_i32_u32_e32 v4, v8
	s_delay_alu instid0(VALU_DEP_1) | instskip(NEXT) | instid1(VALU_DEP_1)
	v_min_u32_e32 v4, 32, v4
	v_subrev_nc_u32_e32 v8, 29, v4
	v_sub_nc_u32_e32 v4, 30, v4
	s_delay_alu instid0(VALU_DEP_2) | instskip(NEXT) | instid1(VALU_DEP_1)
	v_lshlrev_b64_e32 v[8:9], v8, v[2:3]
	v_and_b32_e32 v8, 3, v8
; %bb.4438:                             ;   in Loop: Header=BB4_3183 Depth=3
	s_or_b32 exec_lo, exec_lo, s72
	v_and_b32_e32 v2, 0x80000000, v11
                                        ; implicit-def: $vgpr10_vgpr11
	s_delay_alu instid0(VALU_DEP_1) | instskip(NEXT) | instid1(VALU_DEP_1)
	v_lshl_add_u32 v2, v4, 23, v2
	v_lshl_or_b32 v2, v8, 21, v2
                                        ; implicit-def: $vgpr8
	s_delay_alu instid0(VALU_DEP_1)
	v_add_nc_u32_e32 v4, 0x38000000, v2
.LBB4_4439:                             ;   in Loop: Header=BB4_3183 Depth=3
	s_and_not1_saveexec_b32 s72, s13
; %bb.4440:                             ;   in Loop: Header=BB4_3183 Depth=3
	v_cmp_lt_i64_e64 s13, -1, v[10:11]
	v_cmp_eq_u32_e32 vcc_lo, 0, v8
	s_delay_alu instid0(VALU_DEP_2) | instskip(NEXT) | instid1(VALU_DEP_1)
	v_cndmask_b32_e64 v2, 0xff800000, v112, s13
	v_cndmask_b32_e32 v4, 0x7f800001, v2, vcc_lo
; %bb.4441:                             ;   in Loop: Header=BB4_3183 Depth=3
	s_or_b32 exec_lo, exec_lo, s72
.LBB4_4442:                             ;   in Loop: Header=BB4_3183 Depth=3
	s_delay_alu instid0(SALU_CYCLE_1)
	s_or_b32 exec_lo, exec_lo, s43
.LBB4_4443:                             ;   in Loop: Header=BB4_3183 Depth=3
	s_delay_alu instid0(SALU_CYCLE_1) | instskip(NEXT) | instid1(VALU_DEP_1)
	s_or_b32 exec_lo, exec_lo, s42
	v_dual_mul_f32 v5, v5, v4 :: v_dual_mov_b32 v9, v3
                                        ; implicit-def: $vgpr4
	s_delay_alu instid0(VALU_DEP_1) | instskip(SKIP_1) | instid1(VALU_DEP_2)
	v_and_b32_e32 v8, 0x7f800000, v5
	v_and_b32_e32 v2, 0x7fffff, v5
	v_cmp_ne_u64_e32 vcc_lo, 0x7f800000, v[8:9]
	v_lshrrev_b32_e32 v8, 24, v5
	s_and_saveexec_b32 s13, vcc_lo
	s_delay_alu instid0(SALU_CYCLE_1)
	s_xor_b32 s42, exec_lo, s13
	s_cbranch_execz .LBB4_4457
; %bb.4444:                             ;   in Loop: Header=BB4_3183 Depth=3
	v_and_b32_e32 v10, 0x7fffffff, v5
	v_mov_b32_e32 v11, v3
                                        ; implicit-def: $vgpr4
	s_delay_alu instid0(VALU_DEP_1) | instskip(SKIP_2) | instid1(SALU_CYCLE_1)
	v_cmp_gt_u64_e32 vcc_lo, 0x47600001, v[10:11]
	v_and_b32_e32 v10, 0x80, v8
	s_and_saveexec_b32 s13, vcc_lo
	s_xor_b32 s43, exec_lo, s13
	s_cbranch_execz .LBB4_4454
; %bb.4445:                             ;   in Loop: Header=BB4_3183 Depth=3
	v_mov_b32_e32 v4, 0
	s_mov_b32 s72, exec_lo
	v_cmpx_ne_u32_e32 0, v5
	s_cbranch_execz .LBB4_4453
; %bb.4446:                             ;   in Loop: Header=BB4_3183 Depth=3
	v_bfe_u32 v11, v5, 23, 8
	v_or_b32_e32 v5, 0x800000, v2
	s_delay_alu instid0(VALU_DEP_2) | instskip(SKIP_2) | instid1(VALU_DEP_2)
	v_cmp_gt_u32_e64 s13, 0x72, v11
	v_sub_nc_u32_e32 v4, 0x71, v11
	v_cmp_eq_u32_e32 vcc_lo, 0, v11
	v_cndmask_b32_e64 v4, 0, v4, s13
	s_delay_alu instid0(VALU_DEP_1) | instskip(SKIP_1) | instid1(VALU_DEP_2)
	v_cndmask_b32_e64 v14, v4, 0x70, vcc_lo
	v_dual_cndmask_b32 v4, v5, v2 :: v_dual_mov_b32 v5, v3
	v_add_nc_u32_e32 v2, 21, v14
	s_delay_alu instid0(VALU_DEP_1) | instskip(SKIP_1) | instid1(VALU_DEP_1)
	v_lshlrev_b64_e64 v[8:9], v2, -1
	v_add_nc_u32_e32 v2, 20, v14
	v_lshlrev_b64_e64 v[56:57], v2, 1
	s_delay_alu instid0(VALU_DEP_3) | instskip(SKIP_2) | instid1(VALU_DEP_1)
	v_bfi_b32 v8, v8, 0, v4
	v_lshrrev_b64 v[4:5], v14, v[4:5]
	v_bfi_b32 v9, v9, 0, 0
	v_cmp_eq_u64_e64 s13, v[8:9], v[56:57]
	s_delay_alu instid0(VALU_DEP_3)
	v_mov_b64_e32 v[8:9], v[4:5]
	s_and_saveexec_b32 s73, s13
; %bb.4447:                             ;   in Loop: Header=BB4_3183 Depth=3
	v_bfe_u32 v8, v4, 21, 1
	v_mov_b32_e32 v9, v3
	s_delay_alu instid0(VALU_DEP_1) | instskip(NEXT) | instid1(VALU_DEP_1)
	v_add_nc_u64_e32 v[8:9], v[4:5], v[8:9]
	v_add_nc_u64_e32 v[8:9], -1, v[8:9]
; %bb.4448:                             ;   in Loop: Header=BB4_3183 Depth=3
	s_or_b32 exec_lo, exec_lo, s73
	v_add_nc_u32_e32 v2, 0xffffff81, v11
	s_delay_alu instid0(VALU_DEP_2) | instskip(SKIP_2) | instid1(VALU_DEP_3)
	v_and_b32_e32 v8, 0x1fffff, v8
	v_lshrrev_b32_e32 v5, 23, v4
	s_mov_b32 s13, exec_lo
	v_cndmask_b32_e64 v2, v2, 0xffffff82, vcc_lo
	s_delay_alu instid0(VALU_DEP_1) | instskip(SKIP_1) | instid1(VALU_DEP_2)
	v_add3_u32 v11, v14, v2, v5
	v_add_nc_u32_e32 v2, v8, v4
                                        ; implicit-def: $vgpr4_vgpr5
                                        ; implicit-def: $vgpr8
	v_add_nc_u32_e32 v9, 14, v11
	s_delay_alu instid0(VALU_DEP_1)
	v_cmpx_ne_u32_e32 0, v9
	s_xor_b32 s13, exec_lo, s13
; %bb.4449:                             ;   in Loop: Header=BB4_3183 Depth=3
	s_delay_alu instid0(VALU_DEP_3) | instskip(SKIP_1) | instid1(VALU_DEP_1)
	v_cmp_lt_u64_e32 vcc_lo, 0xffffff, v[2:3]
	v_add_nc_u32_e32 v4, 15, v11
	v_cndmask_b32_e32 v8, v9, v4, vcc_lo
	v_cndmask_b32_e64 v4, 0, 1, vcc_lo
	s_delay_alu instid0(VALU_DEP_1)
	v_lshrrev_b64 v[4:5], v4, v[2:3]
; %bb.4450:                             ;   in Loop: Header=BB4_3183 Depth=3
	s_and_not1_saveexec_b32 s13, s13
; %bb.4451:                             ;   in Loop: Header=BB4_3183 Depth=3
	v_mov_b64_e32 v[4:5], v[2:3]
	v_bfe_u32 v8, v2, 23, 1
; %bb.4452:                             ;   in Loop: Header=BB4_3183 Depth=3
	s_or_b32 exec_lo, exec_lo, s13
	s_delay_alu instid0(VALU_DEP_2) | instskip(NEXT) | instid1(VALU_DEP_2)
	v_lshrrev_b64 v[4:5], 21, v[4:5]
	v_cmp_gt_i32_e32 vcc_lo, 32, v8
	v_min_i32_e32 v2, 31, v8
	v_cmp_eq_u32_e64 s13, 0, v8
	s_delay_alu instid0(VALU_DEP_2) | instskip(SKIP_1) | instid1(VALU_DEP_2)
	v_dual_cndmask_b32 v5, 0, v5 :: v_dual_lshlrev_b32 v2, 2, v2
	v_cndmask_b32_e32 v4, 3, v4, vcc_lo
	v_and_b32_e32 v2, 0xfc, v2
	s_delay_alu instid0(VALU_DEP_2) | instskip(NEXT) | instid1(VALU_DEP_2)
	v_cmp_eq_u64_e32 vcc_lo, 0, v[4:5]
	v_and_or_b32 v2, v4, 3, v2
	s_and_b32 s13, s13, vcc_lo
	s_delay_alu instid0(VALU_DEP_1) | instid1(SALU_CYCLE_1)
	v_cndmask_b32_e64 v2, v2, 0, s13
	s_delay_alu instid0(VALU_DEP_1)
	v_or_b32_e32 v4, v2, v10
.LBB4_4453:                             ;   in Loop: Header=BB4_3183 Depth=3
	s_or_b32 exec_lo, exec_lo, s72
                                        ; implicit-def: $vgpr10
.LBB4_4454:                             ;   in Loop: Header=BB4_3183 Depth=3
	s_and_not1_saveexec_b32 s13, s43
; %bb.4455:                             ;   in Loop: Header=BB4_3183 Depth=3
	v_or_b32_e32 v4, 0x7b, v10
; %bb.4456:                             ;   in Loop: Header=BB4_3183 Depth=3
	s_or_b32 exec_lo, exec_lo, s13
                                        ; implicit-def: $vgpr5
                                        ; implicit-def: $vgpr8
.LBB4_4457:                             ;   in Loop: Header=BB4_3183 Depth=3
	s_and_not1_saveexec_b32 s13, s42
	s_cbranch_execz .LBB4_3182
; %bb.4458:                             ;   in Loop: Header=BB4_3183 Depth=3
	s_mov_b32 s42, exec_lo
                                        ; implicit-def: $vgpr4
	v_cmpx_ne_u64_e32 0, v[2:3]
	s_xor_b32 s42, exec_lo, s42
; %bb.4459:                             ;   in Loop: Header=BB4_3183 Depth=3
	v_or_b32_e32 v4, 0x7f, v8
                                        ; implicit-def: $vgpr5
; %bb.4460:                             ;   in Loop: Header=BB4_3183 Depth=3
	s_and_not1_saveexec_b32 s42, s42
	s_cbranch_execz .LBB4_3181
; %bb.4461:                             ;   in Loop: Header=BB4_3183 Depth=3
	v_cmp_lt_i32_e32 vcc_lo, -1, v5
	v_cndmask_b32_e32 v4, 0xfc, v113, vcc_lo
	s_branch .LBB4_3181
.LBB4_4462:                             ;   in Loop: Header=BB4_3099 Depth=2
	s_or_b32 exec_lo, exec_lo, s15
	v_mov_b64_e32 v[60:61], 0
	v_add_nc_u64_e32 v[62:63], 0x200, v[86:87]
.LBB4_4463:                             ;   in Loop: Header=BB4_3099 Depth=2
	s_or_b32 exec_lo, exec_lo, s14
	v_dual_mov_b32 v43, 0 :: v_dual_lshlrev_b32 v28, 10, v27
	s_mov_b32 s13, 0
	s_mov_b32 s72, exec_lo
                                        ; implicit-def: $vgpr41
                                        ; implicit-def: $vgpr46
                                        ; implicit-def: $vgpr2
	s_delay_alu instid0(VALU_DEP_1)
	v_cmpx_ne_u32_e64 v88, v28
	s_cbranch_execz .LBB4_5049
; %bb.4464:                             ;   in Loop: Header=BB4_3099 Depth=2
	scratch_load_b32 v4, off, s33 offset:196 ; 4-byte Folded Reload
	v_dual_lshlrev_b32 v2, 5, v26 :: v_dual_sub_nc_u32 v5, v88, v28
	s_mov_b32 s73, exec_lo
	s_wait_loadcnt 0x0
	s_delay_alu instid0(VALU_DEP_1) | instskip(NEXT) | instid1(VALU_DEP_1)
	v_dual_ashrrev_i32 v8, 31, v5 :: v_dual_sub_nc_u32 v2, v4, v2
	v_ashrrev_i32_e32 v4, 31, v2
	s_delay_alu instid0(VALU_DEP_1) | instskip(NEXT) | instid1(VALU_DEP_1)
	v_lshrrev_b32_e32 v4, 27, v4
	v_add_nc_u32_e32 v4, v2, v4
	s_delay_alu instid0(VALU_DEP_1) | instskip(NEXT) | instid1(VALU_DEP_1)
	v_and_b32_e32 v9, 0xffffffe0, v4
	v_dual_sub_nc_u32 v30, v2, v9 :: v_dual_lshrrev_b32 v8, 23, v8
	s_delay_alu instid0(VALU_DEP_1) | instskip(NEXT) | instid1(VALU_DEP_2)
	v_dual_ashrrev_i32 v4, 5, v4 :: v_dual_lshlrev_b32 v2, 4, v30
	v_add_nc_u32_e32 v8, v5, v8
	s_delay_alu instid0(VALU_DEP_2) | instskip(NEXT) | instid1(VALU_DEP_2)
	v_lshl_add_u32 v2, v4, 9, v2
	v_and_b32_e32 v29, 0xfffffe00, v8
	s_delay_alu instid0(VALU_DEP_1) | instskip(SKIP_1) | instid1(VALU_DEP_2)
	v_dual_sub_nc_u32 v67, v5, v2 :: v_dual_sub_nc_u32 v31, v5, v29
	v_ashrrev_i32_e32 v8, 9, v8
	v_cmp_lt_i32_e64 s13, 15, v31
	s_delay_alu instid0(VALU_DEP_1) | instskip(NEXT) | instid1(VALU_DEP_1)
	v_add_co_ci_u32_e64 v8, null, 0, v8, s13
	v_sub_nc_u32_e32 v66, v8, v4
	s_wait_xcnt 0x0
	v_cmpx_lt_i32_e32 15, v67
	s_cbranch_execz .LBB4_5046
; %bb.4465:                             ;   in Loop: Header=BB4_3099 Depth=2
	s_trap 2
	scratch_load_b64 v[10:11], off, s33 offset:224 ; 8-byte Folded Reload
	v_add_nc_u32_e32 v8, v2, v28
	ds_load_b64 v[4:5], v0
	s_mov_b32 s74, 0
	v_ashrrev_i32_e32 v9, 31, v8
	s_delay_alu instid0(VALU_DEP_1)
	v_add_nc_u64_e32 v[18:19], v[8:9], v[58:59]
	s_wait_dscnt 0x0
	v_add_nc_u64_e32 v[22:23], v[4:5], v[8:9]
	s_wait_loadcnt 0x0
	v_add_nc_u64_e32 v[16:17], v[8:9], v[10:11]
	scratch_load_b64 v[10:11], off, s33 offset:248 ; 8-byte Folded Reload
	s_wait_loadcnt 0x0
	v_add_nc_u64_e32 v[20:21], v[8:9], v[10:11]
.LBB4_4466:                             ;   Parent Loop BB4_47 Depth=1
                                        ;     Parent Loop BB4_3099 Depth=2
                                        ; =>    This Loop Header: Depth=3
                                        ;         Child Loop BB4_5019 Depth 4
	global_load_b128 v[12:15], v[20:21], off th:TH_LOAD_NT
	global_load_b128 v[8:11], v[22:23], off th:TH_LOAD_NT
	s_wait_loadcnt 0x1
	v_and_b32_e32 v2, 0xff, v12
	s_delay_alu instid0(VALU_DEP_1)
	v_cmp_ne_u16_e32 vcc_lo, 0, v2
	v_mov_b32_e32 v2, 0
	s_wait_xcnt 0x0
	s_and_saveexec_b32 s14, vcc_lo
	s_cbranch_execz .LBB4_4476
; %bb.4467:                             ;   in Loop: Header=BB4_4466 Depth=3
	v_bfe_i32 v5, v12, 0, 8
	v_bfrev_b32_e32 v2, 1
	s_mov_b32 s15, exec_lo
	s_delay_alu instid0(VALU_DEP_2)
	v_cmpx_ne_u16_e32 0xff80, v5
	s_cbranch_execz .LBB4_4475
; %bb.4468:                             ;   in Loop: Header=BB4_4466 Depth=3
	v_and_b32_e32 v2, 0x7c, v12
	v_and_b32_e32 v4, 3, v12
	s_delay_alu instid0(VALU_DEP_2) | instskip(SKIP_1) | instid1(SALU_CYCLE_1)
	v_cmp_ne_u32_e32 vcc_lo, 0x7c, v2
                                        ; implicit-def: $vgpr2
	s_and_saveexec_b32 s42, vcc_lo
	s_xor_b32 s42, exec_lo, s42
	s_cbranch_execz .LBB4_4472
; %bb.4469:                             ;   in Loop: Header=BB4_4466 Depth=3
	v_bfe_u32 v2, v12, 2, 5
	s_mov_b32 s43, exec_lo
	s_delay_alu instid0(VALU_DEP_1)
	v_cmpx_eq_u32_e32 0, v2
; %bb.4470:                             ;   in Loop: Header=BB4_4466 Depth=3
	v_clz_i32_u32_e32 v2, v4
	s_delay_alu instid0(VALU_DEP_1) | instskip(NEXT) | instid1(VALU_DEP_1)
	v_min_u32_e32 v2, 32, v2
	v_subrev_nc_u32_e32 v4, 29, v2
	s_delay_alu instid0(VALU_DEP_1) | instskip(NEXT) | instid1(VALU_DEP_1)
	v_lshlrev_b64_e32 v[4:5], v4, v[12:13]
	v_dual_sub_nc_u32 v2, 30, v2 :: v_dual_bitop2_b32 v4, 3, v4 bitop3:0x40
; %bb.4471:                             ;   in Loop: Header=BB4_4466 Depth=3
	s_or_b32 exec_lo, exec_lo, s43
	v_lshlrev_b32_e32 v5, 24, v12
	s_delay_alu instid0(VALU_DEP_1) | instskip(NEXT) | instid1(VALU_DEP_1)
	v_and_b32_e32 v5, 0x80000000, v5
	v_lshl_add_u32 v2, v2, 23, v5
                                        ; implicit-def: $vgpr5
	s_delay_alu instid0(VALU_DEP_1) | instskip(NEXT) | instid1(VALU_DEP_1)
	v_lshl_or_b32 v2, v4, 21, v2
                                        ; implicit-def: $vgpr4
	v_add_nc_u32_e32 v2, 0x38000000, v2
.LBB4_4472:                             ;   in Loop: Header=BB4_4466 Depth=3
	s_and_not1_saveexec_b32 s42, s42
; %bb.4473:                             ;   in Loop: Header=BB4_4466 Depth=3
	v_cmp_lt_i16_e32 vcc_lo, -1, v5
	v_cndmask_b32_e32 v2, 0xff800000, v112, vcc_lo
	v_cmp_eq_u32_e32 vcc_lo, 0, v4
	s_delay_alu instid0(VALU_DEP_2)
	v_cndmask_b32_e32 v2, 0x7f800001, v2, vcc_lo
; %bb.4474:                             ;   in Loop: Header=BB4_4466 Depth=3
	s_or_b32 exec_lo, exec_lo, s42
.LBB4_4475:                             ;   in Loop: Header=BB4_4466 Depth=3
	s_delay_alu instid0(SALU_CYCLE_1)
	s_or_b32 exec_lo, exec_lo, s15
.LBB4_4476:                             ;   in Loop: Header=BB4_4466 Depth=3
	s_delay_alu instid0(SALU_CYCLE_1) | instskip(SKIP_4) | instid1(VALU_DEP_1)
	s_or_b32 exec_lo, exec_lo, s14
	s_wait_loadcnt 0x0
	v_and_b32_e32 v5, 0xff, v8
	s_mov_b32 s15, 0
	s_mov_b32 s14, exec_lo
	v_cmpx_lt_i16_e32 0x7f, v5
	s_xor_b32 s14, exec_lo, s14
	s_cbranch_execz .LBB4_5021
; %bb.4477:                             ;   in Loop: Header=BB4_4466 Depth=3
	s_mov_b32 s15, -1
	s_mov_b32 s42, exec_lo
	v_cmpx_eq_u16_e32 0x80, v5
; %bb.4478:                             ;   in Loop: Header=BB4_4466 Depth=3
	s_xor_b32 s15, exec_lo, -1
; %bb.4479:                             ;   in Loop: Header=BB4_4466 Depth=3
	s_or_b32 exec_lo, exec_lo, s42
	s_delay_alu instid0(SALU_CYCLE_1)
	s_and_b32 s15, s15, exec_lo
                                        ; implicit-def: $vgpr5
	s_or_saveexec_b32 s14, s14
	v_bfrev_b32_e32 v4, 1
	s_xor_b32 exec_lo, exec_lo, s14
	s_cbranch_execnz .LBB4_5022
.LBB4_4480:                             ;   in Loop: Header=BB4_4466 Depth=3
	s_or_b32 exec_lo, exec_lo, s14
	s_and_saveexec_b32 s14, s15
	s_cbranch_execz .LBB4_4482
.LBB4_4481:                             ;   in Loop: Header=BB4_4466 Depth=3
	v_and_b32_e32 v24, 3, v8
	v_bfe_u32 v26, v8, 2, 5
	s_delay_alu instid0(VALU_DEP_2) | instskip(NEXT) | instid1(VALU_DEP_2)
	v_clz_i32_u32_e32 v4, v24
	v_cmp_eq_u32_e32 vcc_lo, 0, v26
	s_delay_alu instid0(VALU_DEP_2) | instskip(NEXT) | instid1(VALU_DEP_1)
	v_min_u32_e32 v25, 32, v4
	v_subrev_nc_u32_e32 v4, 29, v25
	s_delay_alu instid0(VALU_DEP_1) | instskip(SKIP_1) | instid1(VALU_DEP_1)
	v_lshlrev_b64_e32 v[4:5], v4, v[8:9]
	v_dual_lshlrev_b32 v5, 24, v8 :: v_dual_sub_nc_u32 v25, 30, v25
	v_and_b32_e32 v5, 0x80000000, v5
	s_delay_alu instid0(VALU_DEP_2) | instskip(SKIP_1) | instid1(VALU_DEP_2)
	v_dual_cndmask_b32 v25, v26, v25, vcc_lo :: v_dual_bitop2_b32 v4, 3, v4 bitop3:0x40
	v_bfe_i32 v26, v8, 0, 8
	v_cndmask_b32_e32 v4, v24, v4, vcc_lo
	s_delay_alu instid0(VALU_DEP_3) | instskip(NEXT) | instid1(VALU_DEP_3)
	v_lshl_add_u32 v5, v25, 23, v5
	v_cmp_lt_i16_e32 vcc_lo, -1, v26
	s_delay_alu instid0(VALU_DEP_2) | instskip(SKIP_3) | instid1(VALU_DEP_4)
	v_lshl_or_b32 v4, v4, 21, v5
	v_cndmask_b32_e32 v25, 0xff800000, v112, vcc_lo
	v_and_b32_e32 v5, 0x7c, v8
	v_cmp_eq_u32_e32 vcc_lo, 0, v24
	v_add_nc_u32_e32 v4, 0x38000000, v4
	s_delay_alu instid0(VALU_DEP_4) | instskip(NEXT) | instid1(VALU_DEP_4)
	v_cndmask_b32_e32 v24, 0x7f800001, v25, vcc_lo
	v_cmp_eq_u32_e32 vcc_lo, 0x7c, v5
	s_delay_alu instid0(VALU_DEP_2)
	v_cndmask_b32_e32 v4, v4, v24, vcc_lo
.LBB4_4482:                             ;   in Loop: Header=BB4_4466 Depth=3
	s_or_b32 exec_lo, exec_lo, s14
	s_delay_alu instid0(VALU_DEP_1) | instskip(SKIP_1) | instid1(VALU_DEP_1)
	v_dual_mul_f32 v4, v2, v4 :: v_dual_mov_b32 v25, v3
                                        ; implicit-def: $vgpr84
	s_mov_b32 s14, exec_lo
	v_and_b32_e32 v24, 0x7f800000, v4
	v_and_b32_e32 v2, 0x7fffff, v4
	v_lshrrev_b32_e32 v5, 24, v4
	s_delay_alu instid0(VALU_DEP_3)
	v_cmpx_ne_u64_e32 0x7f800000, v[24:25]
	s_xor_b32 s15, exec_lo, s14
	s_cbranch_execz .LBB4_4496
; %bb.4483:                             ;   in Loop: Header=BB4_4466 Depth=3
	v_and_b32_e32 v24, 0x7fffffff, v4
	v_mov_b32_e32 v25, v3
	v_and_b32_e32 v26, 0x80, v5
                                        ; implicit-def: $vgpr84
	s_mov_b32 s14, exec_lo
	s_delay_alu instid0(VALU_DEP_2)
	v_cmpx_gt_u64_e32 0x47600001, v[24:25]
	s_xor_b32 s42, exec_lo, s14
	s_cbranch_execz .LBB4_4493
; %bb.4484:                             ;   in Loop: Header=BB4_4466 Depth=3
	v_mov_b32_e32 v84, 0
	s_mov_b32 s43, exec_lo
	v_cmpx_ne_u32_e32 0, v4
	s_cbranch_execz .LBB4_4492
; %bb.4485:                             ;   in Loop: Header=BB4_4466 Depth=3
	v_bfe_u32 v27, v4, 23, 8
	v_or_b32_e32 v24, 0x800000, v2
	s_mov_b32 s75, exec_lo
	s_delay_alu instid0(VALU_DEP_2) | instskip(SKIP_1) | instid1(VALU_DEP_2)
	v_dual_mov_b32 v25, v3 :: v_dual_sub_nc_u32 v4, 0x71, v27
	v_cmp_gt_u32_e32 vcc_lo, 0x72, v27
	v_cndmask_b32_e32 v4, 0, v4, vcc_lo
	v_cmp_eq_u32_e32 vcc_lo, 0, v27
	v_cndmask_b32_e32 v24, v24, v2, vcc_lo
	s_delay_alu instid0(VALU_DEP_3) | instskip(NEXT) | instid1(VALU_DEP_1)
	v_cndmask_b32_e64 v84, v4, 0x70, vcc_lo
	v_dual_add_nc_u32 v4, 21, v84 :: v_dual_add_nc_u32 v85, 20, v84
	s_delay_alu instid0(VALU_DEP_1) | instskip(NEXT) | instid1(VALU_DEP_2)
	v_lshlrev_b64_e64 v[4:5], v4, -1
	v_lshlrev_b64_e64 v[100:101], v85, 1
	s_delay_alu instid0(VALU_DEP_2) | instskip(NEXT) | instid1(VALU_DEP_3)
	v_bfi_b32 v103, v5, 0, 0
	v_bfi_b32 v102, v4, 0, v24
	v_lshrrev_b64 v[4:5], v84, v[24:25]
	s_delay_alu instid0(VALU_DEP_1) | instskip(NEXT) | instid1(VALU_DEP_3)
	v_mov_b64_e32 v[24:25], v[4:5]
	v_cmpx_eq_u64_e64 v[102:103], v[100:101]
; %bb.4486:                             ;   in Loop: Header=BB4_4466 Depth=3
	v_bfe_u32 v24, v4, 21, 1
	v_mov_b32_e32 v25, v3
	s_delay_alu instid0(VALU_DEP_1) | instskip(NEXT) | instid1(VALU_DEP_1)
	v_add_nc_u64_e32 v[24:25], v[4:5], v[24:25]
	v_add_nc_u64_e32 v[24:25], -1, v[24:25]
; %bb.4487:                             ;   in Loop: Header=BB4_4466 Depth=3
	s_or_b32 exec_lo, exec_lo, s75
	v_add_nc_u32_e32 v2, 0xffffff81, v27
	s_delay_alu instid0(VALU_DEP_2) | instskip(SKIP_2) | instid1(VALU_DEP_3)
	v_and_b32_e32 v24, 0x1fffff, v24
	v_lshrrev_b32_e32 v5, 23, v4
	s_mov_b32 s14, exec_lo
	v_cndmask_b32_e64 v2, v2, 0xffffff82, vcc_lo
	s_delay_alu instid0(VALU_DEP_1) | instskip(SKIP_1) | instid1(VALU_DEP_2)
	v_add3_u32 v25, v84, v2, v5
	v_add_nc_u32_e32 v2, v24, v4
                                        ; implicit-def: $vgpr4_vgpr5
                                        ; implicit-def: $vgpr24
	v_add_nc_u32_e32 v27, 14, v25
	s_delay_alu instid0(VALU_DEP_1)
	v_cmpx_ne_u32_e32 0, v27
	s_xor_b32 s14, exec_lo, s14
; %bb.4488:                             ;   in Loop: Header=BB4_4466 Depth=3
	s_delay_alu instid0(VALU_DEP_3) | instskip(SKIP_1) | instid1(VALU_DEP_1)
	v_cmp_lt_u64_e32 vcc_lo, 0xffffff, v[2:3]
	v_add_nc_u32_e32 v4, 15, v25
	v_cndmask_b32_e32 v24, v27, v4, vcc_lo
	v_cndmask_b32_e64 v4, 0, 1, vcc_lo
	s_delay_alu instid0(VALU_DEP_1)
	v_lshrrev_b64 v[4:5], v4, v[2:3]
; %bb.4489:                             ;   in Loop: Header=BB4_4466 Depth=3
	s_and_not1_saveexec_b32 s14, s14
; %bb.4490:                             ;   in Loop: Header=BB4_4466 Depth=3
	v_mov_b64_e32 v[4:5], v[2:3]
	v_bfe_u32 v24, v2, 23, 1
; %bb.4491:                             ;   in Loop: Header=BB4_4466 Depth=3
	s_or_b32 exec_lo, exec_lo, s14
	s_delay_alu instid0(VALU_DEP_2) | instskip(NEXT) | instid1(VALU_DEP_2)
	v_lshrrev_b64 v[4:5], 21, v[4:5]
	v_cmp_gt_i32_e32 vcc_lo, 32, v24
	v_min_i32_e32 v2, 31, v24
	v_cmp_eq_u32_e64 s14, 0, v24
	s_delay_alu instid0(VALU_DEP_2) | instskip(SKIP_1) | instid1(VALU_DEP_2)
	v_dual_cndmask_b32 v5, 0, v5 :: v_dual_lshlrev_b32 v2, 2, v2
	v_cndmask_b32_e32 v4, 3, v4, vcc_lo
	v_and_b32_e32 v2, 0xfc, v2
	s_delay_alu instid0(VALU_DEP_2) | instskip(NEXT) | instid1(VALU_DEP_2)
	v_cmp_eq_u64_e32 vcc_lo, 0, v[4:5]
	v_and_or_b32 v2, v4, 3, v2
	s_and_b32 s14, s14, vcc_lo
	s_delay_alu instid0(VALU_DEP_1) | instid1(SALU_CYCLE_1)
	v_cndmask_b32_e64 v2, v2, 0, s14
	s_delay_alu instid0(VALU_DEP_1)
	v_or_b32_e32 v84, v2, v26
.LBB4_4492:                             ;   in Loop: Header=BB4_4466 Depth=3
	s_or_b32 exec_lo, exec_lo, s43
                                        ; implicit-def: $vgpr26
.LBB4_4493:                             ;   in Loop: Header=BB4_4466 Depth=3
	s_and_not1_saveexec_b32 s14, s42
; %bb.4494:                             ;   in Loop: Header=BB4_4466 Depth=3
	v_or_b32_e32 v84, 0x7b, v26
; %bb.4495:                             ;   in Loop: Header=BB4_4466 Depth=3
	s_or_b32 exec_lo, exec_lo, s14
                                        ; implicit-def: $vgpr4
                                        ; implicit-def: $vgpr5
.LBB4_4496:                             ;   in Loop: Header=BB4_4466 Depth=3
	s_and_not1_saveexec_b32 s14, s15
	s_cbranch_execz .LBB4_4502
; %bb.4497:                             ;   in Loop: Header=BB4_4466 Depth=3
	s_mov_b32 s15, exec_lo
                                        ; implicit-def: $vgpr84
	v_cmpx_ne_u64_e32 0, v[2:3]
	s_xor_b32 s15, exec_lo, s15
; %bb.4498:                             ;   in Loop: Header=BB4_4466 Depth=3
	v_or_b32_e32 v84, 0x7f, v5
                                        ; implicit-def: $vgpr4
; %bb.4499:                             ;   in Loop: Header=BB4_4466 Depth=3
	s_and_not1_saveexec_b32 s15, s15
; %bb.4500:                             ;   in Loop: Header=BB4_4466 Depth=3
	v_cmp_lt_i32_e32 vcc_lo, -1, v4
	v_cndmask_b32_e32 v84, 0xfc, v113, vcc_lo
; %bb.4501:                             ;   in Loop: Header=BB4_4466 Depth=3
	s_or_b32 exec_lo, exec_lo, s15
.LBB4_4502:                             ;   in Loop: Header=BB4_4466 Depth=3
	s_delay_alu instid0(SALU_CYCLE_1) | instskip(SKIP_3) | instid1(VALU_DEP_2)
	s_or_b32 exec_lo, exec_lo, s14
	v_lshrrev_b16 v4, 8, v12
	v_mov_b32_e32 v2, 0
	s_mov_b32 s14, exec_lo
	v_cmpx_ne_u16_e32 0, v4
	s_cbranch_execz .LBB4_4512
; %bb.4503:                             ;   in Loop: Header=BB4_4466 Depth=3
	v_bfrev_b32_e32 v2, 1
	s_mov_b32 s15, exec_lo
	v_cmpx_ne_u16_e32 0x80, v4
	s_cbranch_execz .LBB4_4511
; %bb.4504:                             ;   in Loop: Header=BB4_4466 Depth=3
	v_and_b32_e32 v24, 0xffff, v4
	s_delay_alu instid0(VALU_DEP_1) | instskip(SKIP_1) | instid1(VALU_DEP_2)
	v_and_b32_e32 v2, 0x7c, v24
	v_and_b32_e32 v5, 3, v24
	v_cmp_ne_u32_e32 vcc_lo, 0x7c, v2
                                        ; implicit-def: $vgpr2
	s_and_saveexec_b32 s42, vcc_lo
	s_delay_alu instid0(SALU_CYCLE_1)
	s_xor_b32 s42, exec_lo, s42
	s_cbranch_execz .LBB4_4508
; %bb.4505:                             ;   in Loop: Header=BB4_4466 Depth=3
	v_bfe_u32 v2, v24, 2, 5
	s_mov_b32 s43, exec_lo
	s_delay_alu instid0(VALU_DEP_1)
	v_cmpx_eq_u32_e32 0, v2
	s_cbranch_execz .LBB4_4507
; %bb.4506:                             ;   in Loop: Header=BB4_4466 Depth=3
	v_clz_i32_u32_e32 v2, v5
	s_delay_alu instid0(VALU_DEP_1) | instskip(SKIP_1) | instid1(VALU_DEP_2)
	v_min_u32_e32 v2, 32, v2
	v_mov_b32_e32 v5, v3
	v_subrev_nc_u32_e32 v24, 29, v2
	v_sub_nc_u32_e32 v2, 30, v2
	s_delay_alu instid0(VALU_DEP_2) | instskip(NEXT) | instid1(VALU_DEP_1)
	v_lshlrev_b64_e32 v[4:5], v24, v[4:5]
	v_and_b32_e32 v5, 3, v4
.LBB4_4507:                             ;   in Loop: Header=BB4_4466 Depth=3
	s_or_b32 exec_lo, exec_lo, s43
	v_lshlrev_b32_e32 v4, 16, v12
	s_delay_alu instid0(VALU_DEP_1) | instskip(NEXT) | instid1(VALU_DEP_1)
	v_and_b32_e32 v4, 0x80000000, v4
	v_lshl_add_u32 v2, v2, 23, v4
	s_delay_alu instid0(VALU_DEP_1) | instskip(NEXT) | instid1(VALU_DEP_1)
	v_lshl_or_b32 v2, v5, 21, v2
                                        ; implicit-def: $vgpr5
	v_add_nc_u32_e32 v2, 0x38000000, v2
.LBB4_4508:                             ;   in Loop: Header=BB4_4466 Depth=3
	s_and_not1_saveexec_b32 s42, s42
; %bb.4509:                             ;   in Loop: Header=BB4_4466 Depth=3
	v_cmp_lt_i16_e32 vcc_lo, -1, v12
	v_cndmask_b32_e32 v2, 0xff800000, v112, vcc_lo
	v_cmp_eq_u32_e32 vcc_lo, 0, v5
	s_delay_alu instid0(VALU_DEP_2)
	v_cndmask_b32_e32 v2, 0x7f800001, v2, vcc_lo
; %bb.4510:                             ;   in Loop: Header=BB4_4466 Depth=3
	s_or_b32 exec_lo, exec_lo, s42
.LBB4_4511:                             ;   in Loop: Header=BB4_4466 Depth=3
	s_delay_alu instid0(SALU_CYCLE_1)
	s_or_b32 exec_lo, exec_lo, s15
.LBB4_4512:                             ;   in Loop: Header=BB4_4466 Depth=3
	s_delay_alu instid0(SALU_CYCLE_1) | instskip(SKIP_3) | instid1(VALU_DEP_1)
	s_or_b32 exec_lo, exec_lo, s14
	v_lshrrev_b16 v4, 8, v8
	s_mov_b32 s15, 0
	s_mov_b32 s14, exec_lo
	v_cmpx_lt_i16_e32 0x7f, v4
	s_xor_b32 s14, exec_lo, s14
	s_cbranch_execz .LBB4_5023
; %bb.4513:                             ;   in Loop: Header=BB4_4466 Depth=3
	s_mov_b32 s15, -1
	s_mov_b32 s42, exec_lo
	v_cmpx_eq_u16_e32 0x80, v4
; %bb.4514:                             ;   in Loop: Header=BB4_4466 Depth=3
	s_xor_b32 s15, exec_lo, -1
; %bb.4515:                             ;   in Loop: Header=BB4_4466 Depth=3
	s_or_b32 exec_lo, exec_lo, s42
	s_delay_alu instid0(SALU_CYCLE_1)
	s_and_b32 s15, s15, exec_lo
	s_or_saveexec_b32 s14, s14
	v_bfrev_b32_e32 v5, 1
	s_xor_b32 exec_lo, exec_lo, s14
	s_cbranch_execnz .LBB4_5024
.LBB4_4516:                             ;   in Loop: Header=BB4_4466 Depth=3
	s_or_b32 exec_lo, exec_lo, s14
	s_and_saveexec_b32 s14, s15
	s_cbranch_execz .LBB4_4518
.LBB4_4517:                             ;   in Loop: Header=BB4_4466 Depth=3
	v_and_b32_e32 v26, 0xffff, v4
	s_delay_alu instid0(VALU_DEP_1) | instskip(NEXT) | instid1(VALU_DEP_1)
	v_and_b32_e32 v27, 3, v26
	v_clz_i32_u32_e32 v5, v27
	s_delay_alu instid0(VALU_DEP_1) | instskip(SKIP_1) | instid1(VALU_DEP_2)
	v_min_u32_e32 v85, 32, v5
	v_mov_b32_e32 v5, v3
	v_subrev_nc_u32_e32 v24, 29, v85
	s_delay_alu instid0(VALU_DEP_1) | instskip(SKIP_2) | instid1(VALU_DEP_2)
	v_lshlrev_b64_e32 v[24:25], v24, v[4:5]
	v_bfe_u32 v5, v26, 2, 5
	v_dual_lshlrev_b32 v4, 24, v4 :: v_dual_sub_nc_u32 v25, 30, v85
	v_cmp_eq_u32_e32 vcc_lo, 0, v5
	s_delay_alu instid0(VALU_DEP_2) | instskip(NEXT) | instid1(VALU_DEP_3)
	v_and_b32_e32 v4, 0x80000000, v4
	v_dual_cndmask_b32 v5, v5, v25, vcc_lo :: v_dual_bitop2_b32 v24, 3, v24 bitop3:0x40
	s_delay_alu instid0(VALU_DEP_1) | instskip(SKIP_1) | instid1(VALU_DEP_3)
	v_cndmask_b32_e32 v24, v27, v24, vcc_lo
	v_cmp_lt_i16_e32 vcc_lo, -1, v8
	v_lshl_add_u32 v4, v5, 23, v4
	v_cndmask_b32_e32 v5, 0xff800000, v112, vcc_lo
	v_cmp_eq_u32_e32 vcc_lo, 0, v27
	s_delay_alu instid0(VALU_DEP_3) | instskip(SKIP_1) | instid1(VALU_DEP_4)
	v_lshl_or_b32 v4, v24, 21, v4
	v_and_b32_e32 v24, 0x7c, v26
	v_cndmask_b32_e32 v5, 0x7f800001, v5, vcc_lo
	s_delay_alu instid0(VALU_DEP_3) | instskip(NEXT) | instid1(VALU_DEP_3)
	v_add_nc_u32_e32 v4, 0x38000000, v4
	v_cmp_eq_u32_e32 vcc_lo, 0x7c, v24
	s_delay_alu instid0(VALU_DEP_2)
	v_cndmask_b32_e32 v5, v4, v5, vcc_lo
.LBB4_4518:                             ;   in Loop: Header=BB4_4466 Depth=3
	s_or_b32 exec_lo, exec_lo, s14
	s_delay_alu instid0(VALU_DEP_1) | instskip(SKIP_1) | instid1(VALU_DEP_1)
	v_dual_mul_f32 v4, v2, v5 :: v_dual_mov_b32 v25, v3
                                        ; implicit-def: $vgpr85
	s_mov_b32 s14, exec_lo
	v_and_b32_e32 v24, 0x7f800000, v4
	v_and_b32_e32 v2, 0x7fffff, v4
	v_lshrrev_b32_e32 v5, 24, v4
	s_delay_alu instid0(VALU_DEP_3)
	v_cmpx_ne_u64_e32 0x7f800000, v[24:25]
	s_xor_b32 s15, exec_lo, s14
	s_cbranch_execz .LBB4_4532
; %bb.4519:                             ;   in Loop: Header=BB4_4466 Depth=3
	v_and_b32_e32 v24, 0x7fffffff, v4
	v_mov_b32_e32 v25, v3
	v_and_b32_e32 v26, 0x80, v5
                                        ; implicit-def: $vgpr85
	s_mov_b32 s14, exec_lo
	s_delay_alu instid0(VALU_DEP_2)
	v_cmpx_gt_u64_e32 0x47600001, v[24:25]
	s_xor_b32 s42, exec_lo, s14
	s_cbranch_execz .LBB4_4529
; %bb.4520:                             ;   in Loop: Header=BB4_4466 Depth=3
	v_mov_b32_e32 v85, 0
	s_mov_b32 s43, exec_lo
	v_cmpx_ne_u32_e32 0, v4
	s_cbranch_execz .LBB4_4528
; %bb.4521:                             ;   in Loop: Header=BB4_4466 Depth=3
	v_bfe_u32 v27, v4, 23, 8
	v_or_b32_e32 v24, 0x800000, v2
	s_mov_b32 s75, exec_lo
	s_delay_alu instid0(VALU_DEP_2) | instskip(SKIP_1) | instid1(VALU_DEP_2)
	v_dual_mov_b32 v25, v3 :: v_dual_sub_nc_u32 v4, 0x71, v27
	v_cmp_gt_u32_e32 vcc_lo, 0x72, v27
	v_cndmask_b32_e32 v4, 0, v4, vcc_lo
	v_cmp_eq_u32_e32 vcc_lo, 0, v27
	s_delay_alu instid0(VALU_DEP_2) | instskip(NEXT) | instid1(VALU_DEP_1)
	v_cndmask_b32_e64 v85, v4, 0x70, vcc_lo
	v_dual_cndmask_b32 v24, v24, v2, vcc_lo :: v_dual_add_nc_u32 v4, 21, v85
	v_add_nc_u32_e32 v100, 20, v85
	s_delay_alu instid0(VALU_DEP_2) | instskip(NEXT) | instid1(VALU_DEP_2)
	v_lshlrev_b64_e64 v[4:5], v4, -1
	v_lshlrev_b64_e64 v[100:101], v100, 1
	s_delay_alu instid0(VALU_DEP_2) | instskip(NEXT) | instid1(VALU_DEP_3)
	v_bfi_b32 v103, v5, 0, 0
	v_bfi_b32 v102, v4, 0, v24
	v_lshrrev_b64 v[4:5], v85, v[24:25]
	s_delay_alu instid0(VALU_DEP_1) | instskip(NEXT) | instid1(VALU_DEP_3)
	v_mov_b64_e32 v[24:25], v[4:5]
	v_cmpx_eq_u64_e64 v[102:103], v[100:101]
; %bb.4522:                             ;   in Loop: Header=BB4_4466 Depth=3
	v_bfe_u32 v24, v4, 21, 1
	v_mov_b32_e32 v25, v3
	s_delay_alu instid0(VALU_DEP_1) | instskip(NEXT) | instid1(VALU_DEP_1)
	v_add_nc_u64_e32 v[24:25], v[4:5], v[24:25]
	v_add_nc_u64_e32 v[24:25], -1, v[24:25]
; %bb.4523:                             ;   in Loop: Header=BB4_4466 Depth=3
	s_or_b32 exec_lo, exec_lo, s75
	v_add_nc_u32_e32 v2, 0xffffff81, v27
	s_delay_alu instid0(VALU_DEP_2) | instskip(SKIP_2) | instid1(VALU_DEP_3)
	v_and_b32_e32 v24, 0x1fffff, v24
	v_lshrrev_b32_e32 v5, 23, v4
	s_mov_b32 s14, exec_lo
	v_cndmask_b32_e64 v2, v2, 0xffffff82, vcc_lo
	s_delay_alu instid0(VALU_DEP_1) | instskip(SKIP_1) | instid1(VALU_DEP_2)
	v_add3_u32 v25, v85, v2, v5
	v_add_nc_u32_e32 v2, v24, v4
                                        ; implicit-def: $vgpr4_vgpr5
                                        ; implicit-def: $vgpr24
	v_add_nc_u32_e32 v27, 14, v25
	s_delay_alu instid0(VALU_DEP_1)
	v_cmpx_ne_u32_e32 0, v27
	s_xor_b32 s14, exec_lo, s14
; %bb.4524:                             ;   in Loop: Header=BB4_4466 Depth=3
	s_delay_alu instid0(VALU_DEP_3) | instskip(SKIP_1) | instid1(VALU_DEP_1)
	v_cmp_lt_u64_e32 vcc_lo, 0xffffff, v[2:3]
	v_add_nc_u32_e32 v4, 15, v25
	v_cndmask_b32_e32 v24, v27, v4, vcc_lo
	v_cndmask_b32_e64 v4, 0, 1, vcc_lo
	s_delay_alu instid0(VALU_DEP_1)
	v_lshrrev_b64 v[4:5], v4, v[2:3]
; %bb.4525:                             ;   in Loop: Header=BB4_4466 Depth=3
	s_and_not1_saveexec_b32 s14, s14
; %bb.4526:                             ;   in Loop: Header=BB4_4466 Depth=3
	v_mov_b64_e32 v[4:5], v[2:3]
	v_bfe_u32 v24, v2, 23, 1
; %bb.4527:                             ;   in Loop: Header=BB4_4466 Depth=3
	s_or_b32 exec_lo, exec_lo, s14
	s_delay_alu instid0(VALU_DEP_2) | instskip(NEXT) | instid1(VALU_DEP_2)
	v_lshrrev_b64 v[4:5], 21, v[4:5]
	v_cmp_gt_i32_e32 vcc_lo, 32, v24
	v_min_i32_e32 v2, 31, v24
	v_cmp_eq_u32_e64 s14, 0, v24
	s_delay_alu instid0(VALU_DEP_2) | instskip(SKIP_1) | instid1(VALU_DEP_2)
	v_dual_cndmask_b32 v5, 0, v5 :: v_dual_lshlrev_b32 v2, 2, v2
	v_cndmask_b32_e32 v4, 3, v4, vcc_lo
	v_and_b32_e32 v2, 0xfc, v2
	s_delay_alu instid0(VALU_DEP_2) | instskip(NEXT) | instid1(VALU_DEP_2)
	v_cmp_eq_u64_e32 vcc_lo, 0, v[4:5]
	v_and_or_b32 v2, v4, 3, v2
	s_and_b32 s14, s14, vcc_lo
	s_delay_alu instid0(VALU_DEP_1) | instid1(SALU_CYCLE_1)
	v_cndmask_b32_e64 v2, v2, 0, s14
	s_delay_alu instid0(VALU_DEP_1)
	v_or_b32_e32 v85, v2, v26
.LBB4_4528:                             ;   in Loop: Header=BB4_4466 Depth=3
	s_or_b32 exec_lo, exec_lo, s43
                                        ; implicit-def: $vgpr26
.LBB4_4529:                             ;   in Loop: Header=BB4_4466 Depth=3
	s_and_not1_saveexec_b32 s14, s42
; %bb.4530:                             ;   in Loop: Header=BB4_4466 Depth=3
	v_or_b32_e32 v85, 0x7b, v26
; %bb.4531:                             ;   in Loop: Header=BB4_4466 Depth=3
	s_or_b32 exec_lo, exec_lo, s14
                                        ; implicit-def: $vgpr4
                                        ; implicit-def: $vgpr5
.LBB4_4532:                             ;   in Loop: Header=BB4_4466 Depth=3
	s_and_not1_saveexec_b32 s14, s15
	s_cbranch_execz .LBB4_4538
; %bb.4533:                             ;   in Loop: Header=BB4_4466 Depth=3
	s_mov_b32 s15, exec_lo
                                        ; implicit-def: $vgpr85
	v_cmpx_ne_u64_e32 0, v[2:3]
	s_xor_b32 s15, exec_lo, s15
; %bb.4534:                             ;   in Loop: Header=BB4_4466 Depth=3
	v_or_b32_e32 v85, 0x7f, v5
                                        ; implicit-def: $vgpr4
; %bb.4535:                             ;   in Loop: Header=BB4_4466 Depth=3
	s_and_not1_saveexec_b32 s15, s15
; %bb.4536:                             ;   in Loop: Header=BB4_4466 Depth=3
	v_cmp_lt_i32_e32 vcc_lo, -1, v4
	v_cndmask_b32_e32 v85, 0xfc, v113, vcc_lo
; %bb.4537:                             ;   in Loop: Header=BB4_4466 Depth=3
	s_or_b32 exec_lo, exec_lo, s15
.LBB4_4538:                             ;   in Loop: Header=BB4_4466 Depth=3
	s_delay_alu instid0(SALU_CYCLE_1) | instskip(SKIP_2) | instid1(VALU_DEP_1)
	s_or_b32 exec_lo, exec_lo, s14
	v_dual_lshrrev_b32 v2, 16, v12 :: v_dual_mov_b32 v4, 0
	s_mov_b32 s14, exec_lo
	v_and_b32_e32 v5, 0xff, v2
	s_delay_alu instid0(VALU_DEP_1)
	v_cmpx_ne_u16_e32 0, v5
	s_cbranch_execz .LBB4_4548
; %bb.4539:                             ;   in Loop: Header=BB4_4466 Depth=3
	v_bfrev_b32_e32 v4, 1
	s_mov_b32 s15, exec_lo
	v_cmpx_ne_u16_e32 0x80, v5
	s_cbranch_execz .LBB4_4547
; %bb.4540:                             ;   in Loop: Header=BB4_4466 Depth=3
	v_and_b32_e32 v4, 0x7c0000, v12
	v_bfe_u32 v5, v12, 16, 2
	s_delay_alu instid0(VALU_DEP_2) | instskip(SKIP_1) | instid1(SALU_CYCLE_1)
	v_cmp_ne_u32_e32 vcc_lo, 0x7c0000, v4
                                        ; implicit-def: $vgpr4
	s_and_saveexec_b32 s42, vcc_lo
	s_xor_b32 s42, exec_lo, s42
	s_cbranch_execz .LBB4_4544
; %bb.4541:                             ;   in Loop: Header=BB4_4466 Depth=3
	v_bfe_u32 v4, v12, 18, 5
	s_mov_b32 s43, exec_lo
	s_delay_alu instid0(VALU_DEP_1)
	v_cmpx_eq_u32_e32 0, v4
; %bb.4542:                             ;   in Loop: Header=BB4_4466 Depth=3
	v_clz_i32_u32_e32 v4, v5
	s_delay_alu instid0(VALU_DEP_1) | instskip(NEXT) | instid1(VALU_DEP_1)
	v_min_u32_e32 v4, 32, v4
	v_subrev_nc_u32_e32 v5, 29, v4
	v_sub_nc_u32_e32 v4, 30, v4
	s_delay_alu instid0(VALU_DEP_2) | instskip(NEXT) | instid1(VALU_DEP_1)
	v_lshlrev_b64_e32 v[24:25], v5, v[2:3]
	v_and_b32_e32 v5, 3, v24
; %bb.4543:                             ;   in Loop: Header=BB4_4466 Depth=3
	s_or_b32 exec_lo, exec_lo, s43
	v_lshlrev_b32_e32 v2, 24, v2
	s_delay_alu instid0(VALU_DEP_1) | instskip(NEXT) | instid1(VALU_DEP_1)
	v_and_b32_e32 v2, 0x80000000, v2
	v_lshl_add_u32 v2, v4, 23, v2
	s_delay_alu instid0(VALU_DEP_1) | instskip(NEXT) | instid1(VALU_DEP_1)
	v_lshl_or_b32 v2, v5, 21, v2
                                        ; implicit-def: $vgpr5
	v_add_nc_u32_e32 v4, 0x38000000, v2
                                        ; implicit-def: $vgpr2
.LBB4_4544:                             ;   in Loop: Header=BB4_4466 Depth=3
	s_and_not1_saveexec_b32 s42, s42
; %bb.4545:                             ;   in Loop: Header=BB4_4466 Depth=3
	v_bfe_i32 v2, v2, 0, 8
	s_delay_alu instid0(VALU_DEP_1) | instskip(SKIP_2) | instid1(VALU_DEP_2)
	v_cmp_lt_i16_e32 vcc_lo, -1, v2
	v_cndmask_b32_e32 v2, 0xff800000, v112, vcc_lo
	v_cmp_eq_u32_e32 vcc_lo, 0, v5
	v_cndmask_b32_e32 v4, 0x7f800001, v2, vcc_lo
; %bb.4546:                             ;   in Loop: Header=BB4_4466 Depth=3
	s_or_b32 exec_lo, exec_lo, s42
.LBB4_4547:                             ;   in Loop: Header=BB4_4466 Depth=3
	s_delay_alu instid0(SALU_CYCLE_1)
	s_or_b32 exec_lo, exec_lo, s15
.LBB4_4548:                             ;   in Loop: Header=BB4_4466 Depth=3
	s_delay_alu instid0(SALU_CYCLE_1) | instskip(SKIP_3) | instid1(VALU_DEP_1)
	s_or_b32 exec_lo, exec_lo, s14
	v_lshrrev_b32_e32 v2, 16, v8
	s_mov_b32 s15, 0
	s_mov_b32 s14, exec_lo
	v_and_b32_e32 v24, 0xff, v2
	s_delay_alu instid0(VALU_DEP_1)
	v_cmpx_lt_i16_e32 0x7f, v24
	s_xor_b32 s14, exec_lo, s14
	s_cbranch_execz .LBB4_5025
; %bb.4549:                             ;   in Loop: Header=BB4_4466 Depth=3
	s_mov_b32 s15, -1
	s_mov_b32 s42, exec_lo
	v_cmpx_eq_u16_e32 0x80, v24
; %bb.4550:                             ;   in Loop: Header=BB4_4466 Depth=3
	s_xor_b32 s15, exec_lo, -1
; %bb.4551:                             ;   in Loop: Header=BB4_4466 Depth=3
	s_or_b32 exec_lo, exec_lo, s42
	s_delay_alu instid0(SALU_CYCLE_1)
	s_and_b32 s15, s15, exec_lo
                                        ; implicit-def: $vgpr24
	s_or_saveexec_b32 s14, s14
	v_bfrev_b32_e32 v5, 1
	s_xor_b32 exec_lo, exec_lo, s14
	s_cbranch_execnz .LBB4_5026
.LBB4_4552:                             ;   in Loop: Header=BB4_4466 Depth=3
	s_or_b32 exec_lo, exec_lo, s14
	s_and_saveexec_b32 s14, s15
	s_cbranch_execz .LBB4_4554
.LBB4_4553:                             ;   in Loop: Header=BB4_4466 Depth=3
	v_and_b32_e32 v5, 3, v2
	v_bfe_u32 v27, v8, 18, 5
	s_delay_alu instid0(VALU_DEP_2) | instskip(NEXT) | instid1(VALU_DEP_2)
	v_clz_i32_u32_e32 v24, v5
	v_cmp_eq_u32_e32 vcc_lo, 0, v27
	s_delay_alu instid0(VALU_DEP_2) | instskip(NEXT) | instid1(VALU_DEP_1)
	v_min_u32_e32 v26, 32, v24
	v_subrev_nc_u32_e32 v24, 29, v26
	s_delay_alu instid0(VALU_DEP_1) | instskip(SKIP_3) | instid1(VALU_DEP_3)
	v_lshlrev_b64_e32 v[24:25], v24, v[2:3]
	v_lshlrev_b32_e32 v25, 24, v2
	v_sub_nc_u32_e32 v26, 30, v26
	v_bfe_i32 v2, v2, 0, 8
	v_and_b32_e32 v25, 0x80000000, v25
	s_delay_alu instid0(VALU_DEP_3) | instskip(NEXT) | instid1(VALU_DEP_1)
	v_dual_cndmask_b32 v26, v27, v26, vcc_lo :: v_dual_bitop2_b32 v24, 3, v24 bitop3:0x40
	v_cndmask_b32_e32 v24, v5, v24, vcc_lo
	s_delay_alu instid0(VALU_DEP_2) | instskip(SKIP_1) | instid1(VALU_DEP_2)
	v_lshl_add_u32 v25, v26, 23, v25
	v_cmp_lt_i16_e32 vcc_lo, -1, v2
	v_lshl_or_b32 v24, v24, 21, v25
	v_cndmask_b32_e32 v2, 0xff800000, v112, vcc_lo
	v_and_b32_e32 v25, 0x7c0000, v8
	v_cmp_eq_u32_e32 vcc_lo, 0, v5
	s_delay_alu instid0(VALU_DEP_4) | instskip(NEXT) | instid1(VALU_DEP_4)
	v_add_nc_u32_e32 v5, 0x38000000, v24
	v_cndmask_b32_e32 v2, 0x7f800001, v2, vcc_lo
	s_delay_alu instid0(VALU_DEP_4) | instskip(NEXT) | instid1(VALU_DEP_2)
	v_cmp_eq_u32_e32 vcc_lo, 0x7c0000, v25
	v_cndmask_b32_e32 v5, v5, v2, vcc_lo
.LBB4_4554:                             ;   in Loop: Header=BB4_4466 Depth=3
	s_or_b32 exec_lo, exec_lo, s14
	s_delay_alu instid0(VALU_DEP_1) | instskip(SKIP_1) | instid1(VALU_DEP_1)
	v_dual_mul_f32 v4, v4, v5 :: v_dual_mov_b32 v25, v3
                                        ; implicit-def: $vgpr100
	s_mov_b32 s14, exec_lo
	v_and_b32_e32 v24, 0x7f800000, v4
	v_and_b32_e32 v2, 0x7fffff, v4
	v_lshrrev_b32_e32 v5, 24, v4
	s_delay_alu instid0(VALU_DEP_3)
	v_cmpx_ne_u64_e32 0x7f800000, v[24:25]
	s_xor_b32 s15, exec_lo, s14
	s_cbranch_execz .LBB4_4568
; %bb.4555:                             ;   in Loop: Header=BB4_4466 Depth=3
	v_and_b32_e32 v24, 0x7fffffff, v4
	v_mov_b32_e32 v25, v3
	v_and_b32_e32 v26, 0x80, v5
                                        ; implicit-def: $vgpr100
	s_mov_b32 s14, exec_lo
	s_delay_alu instid0(VALU_DEP_2)
	v_cmpx_gt_u64_e32 0x47600001, v[24:25]
	s_xor_b32 s42, exec_lo, s14
	s_cbranch_execz .LBB4_4565
; %bb.4556:                             ;   in Loop: Header=BB4_4466 Depth=3
	v_mov_b32_e32 v100, 0
	s_mov_b32 s43, exec_lo
	v_cmpx_ne_u32_e32 0, v4
	s_cbranch_execz .LBB4_4564
; %bb.4557:                             ;   in Loop: Header=BB4_4466 Depth=3
	v_bfe_u32 v27, v4, 23, 8
	v_or_b32_e32 v24, 0x800000, v2
	s_mov_b32 s75, exec_lo
	s_delay_alu instid0(VALU_DEP_2) | instskip(SKIP_1) | instid1(VALU_DEP_2)
	v_dual_mov_b32 v25, v3 :: v_dual_sub_nc_u32 v4, 0x71, v27
	v_cmp_gt_u32_e32 vcc_lo, 0x72, v27
	v_cndmask_b32_e32 v4, 0, v4, vcc_lo
	v_cmp_eq_u32_e32 vcc_lo, 0, v27
	v_cndmask_b32_e32 v24, v24, v2, vcc_lo
	s_delay_alu instid0(VALU_DEP_3) | instskip(NEXT) | instid1(VALU_DEP_1)
	v_cndmask_b32_e64 v100, v4, 0x70, vcc_lo
	v_dual_add_nc_u32 v4, 21, v100 :: v_dual_add_nc_u32 v101, 20, v100
	s_delay_alu instid0(VALU_DEP_1) | instskip(NEXT) | instid1(VALU_DEP_2)
	v_lshlrev_b64_e64 v[4:5], v4, -1
	v_lshlrev_b64_e64 v[102:103], v101, 1
	s_delay_alu instid0(VALU_DEP_2) | instskip(NEXT) | instid1(VALU_DEP_3)
	v_bfi_b32 v117, v5, 0, 0
	v_bfi_b32 v116, v4, 0, v24
	v_lshrrev_b64 v[4:5], v100, v[24:25]
	s_delay_alu instid0(VALU_DEP_1) | instskip(NEXT) | instid1(VALU_DEP_3)
	v_mov_b64_e32 v[24:25], v[4:5]
	v_cmpx_eq_u64_e64 v[116:117], v[102:103]
; %bb.4558:                             ;   in Loop: Header=BB4_4466 Depth=3
	v_bfe_u32 v24, v4, 21, 1
	v_mov_b32_e32 v25, v3
	s_delay_alu instid0(VALU_DEP_1) | instskip(NEXT) | instid1(VALU_DEP_1)
	v_add_nc_u64_e32 v[24:25], v[4:5], v[24:25]
	v_add_nc_u64_e32 v[24:25], -1, v[24:25]
; %bb.4559:                             ;   in Loop: Header=BB4_4466 Depth=3
	s_or_b32 exec_lo, exec_lo, s75
	v_add_nc_u32_e32 v2, 0xffffff81, v27
	s_delay_alu instid0(VALU_DEP_2) | instskip(SKIP_2) | instid1(VALU_DEP_3)
	v_and_b32_e32 v24, 0x1fffff, v24
	v_lshrrev_b32_e32 v5, 23, v4
	s_mov_b32 s14, exec_lo
	v_cndmask_b32_e64 v2, v2, 0xffffff82, vcc_lo
	s_delay_alu instid0(VALU_DEP_1) | instskip(SKIP_1) | instid1(VALU_DEP_2)
	v_add3_u32 v25, v100, v2, v5
	v_add_nc_u32_e32 v2, v24, v4
                                        ; implicit-def: $vgpr4_vgpr5
                                        ; implicit-def: $vgpr24
	v_add_nc_u32_e32 v27, 14, v25
	s_delay_alu instid0(VALU_DEP_1)
	v_cmpx_ne_u32_e32 0, v27
	s_xor_b32 s14, exec_lo, s14
; %bb.4560:                             ;   in Loop: Header=BB4_4466 Depth=3
	s_delay_alu instid0(VALU_DEP_3) | instskip(SKIP_1) | instid1(VALU_DEP_1)
	v_cmp_lt_u64_e32 vcc_lo, 0xffffff, v[2:3]
	v_add_nc_u32_e32 v4, 15, v25
	v_cndmask_b32_e32 v24, v27, v4, vcc_lo
	v_cndmask_b32_e64 v4, 0, 1, vcc_lo
	s_delay_alu instid0(VALU_DEP_1)
	v_lshrrev_b64 v[4:5], v4, v[2:3]
; %bb.4561:                             ;   in Loop: Header=BB4_4466 Depth=3
	s_and_not1_saveexec_b32 s14, s14
; %bb.4562:                             ;   in Loop: Header=BB4_4466 Depth=3
	v_mov_b64_e32 v[4:5], v[2:3]
	v_bfe_u32 v24, v2, 23, 1
; %bb.4563:                             ;   in Loop: Header=BB4_4466 Depth=3
	s_or_b32 exec_lo, exec_lo, s14
	s_delay_alu instid0(VALU_DEP_2) | instskip(NEXT) | instid1(VALU_DEP_2)
	v_lshrrev_b64 v[4:5], 21, v[4:5]
	v_cmp_gt_i32_e32 vcc_lo, 32, v24
	v_min_i32_e32 v2, 31, v24
	v_cmp_eq_u32_e64 s14, 0, v24
	s_delay_alu instid0(VALU_DEP_2) | instskip(SKIP_1) | instid1(VALU_DEP_2)
	v_dual_cndmask_b32 v5, 0, v5 :: v_dual_lshlrev_b32 v2, 2, v2
	v_cndmask_b32_e32 v4, 3, v4, vcc_lo
	v_and_b32_e32 v2, 0xfc, v2
	s_delay_alu instid0(VALU_DEP_2) | instskip(NEXT) | instid1(VALU_DEP_2)
	v_cmp_eq_u64_e32 vcc_lo, 0, v[4:5]
	v_and_or_b32 v2, v4, 3, v2
	s_and_b32 s14, s14, vcc_lo
	s_delay_alu instid0(VALU_DEP_1) | instid1(SALU_CYCLE_1)
	v_cndmask_b32_e64 v2, v2, 0, s14
	s_delay_alu instid0(VALU_DEP_1)
	v_or_b32_e32 v100, v2, v26
.LBB4_4564:                             ;   in Loop: Header=BB4_4466 Depth=3
	s_or_b32 exec_lo, exec_lo, s43
                                        ; implicit-def: $vgpr26
.LBB4_4565:                             ;   in Loop: Header=BB4_4466 Depth=3
	s_and_not1_saveexec_b32 s14, s42
; %bb.4566:                             ;   in Loop: Header=BB4_4466 Depth=3
	v_or_b32_e32 v100, 0x7b, v26
; %bb.4567:                             ;   in Loop: Header=BB4_4466 Depth=3
	s_or_b32 exec_lo, exec_lo, s14
                                        ; implicit-def: $vgpr4
                                        ; implicit-def: $vgpr5
.LBB4_4568:                             ;   in Loop: Header=BB4_4466 Depth=3
	s_and_not1_saveexec_b32 s14, s15
	s_cbranch_execz .LBB4_4574
; %bb.4569:                             ;   in Loop: Header=BB4_4466 Depth=3
	s_mov_b32 s15, exec_lo
                                        ; implicit-def: $vgpr100
	v_cmpx_ne_u64_e32 0, v[2:3]
	s_xor_b32 s15, exec_lo, s15
; %bb.4570:                             ;   in Loop: Header=BB4_4466 Depth=3
	v_or_b32_e32 v100, 0x7f, v5
                                        ; implicit-def: $vgpr4
; %bb.4571:                             ;   in Loop: Header=BB4_4466 Depth=3
	s_and_not1_saveexec_b32 s15, s15
; %bb.4572:                             ;   in Loop: Header=BB4_4466 Depth=3
	v_cmp_lt_i32_e32 vcc_lo, -1, v4
	v_cndmask_b32_e32 v100, 0xfc, v113, vcc_lo
; %bb.4573:                             ;   in Loop: Header=BB4_4466 Depth=3
	s_or_b32 exec_lo, exec_lo, s15
.LBB4_4574:                             ;   in Loop: Header=BB4_4466 Depth=3
	s_delay_alu instid0(SALU_CYCLE_1)
	s_or_b32 exec_lo, exec_lo, s14
	v_mov_b32_e32 v4, 0
	s_mov_b32 s14, exec_lo
	v_cmpx_lt_u32_e32 0xffffff, v12
	s_cbranch_execz .LBB4_4584
; %bb.4575:                             ;   in Loop: Header=BB4_4466 Depth=3
	v_lshrrev_b32_e32 v2, 24, v12
	v_bfrev_b32_e32 v4, 1
	s_mov_b32 s15, exec_lo
	s_delay_alu instid0(VALU_DEP_2)
	v_cmpx_ne_u32_e32 0x80, v2
	s_cbranch_execz .LBB4_4583
; %bb.4576:                             ;   in Loop: Header=BB4_4466 Depth=3
	v_and_b32_e32 v4, 0x7c000000, v12
	v_bfe_u32 v5, v12, 24, 2
	s_delay_alu instid0(VALU_DEP_2) | instskip(SKIP_1) | instid1(SALU_CYCLE_1)
	v_cmp_ne_u32_e32 vcc_lo, 0x7c000000, v4
                                        ; implicit-def: $vgpr4
	s_and_saveexec_b32 s42, vcc_lo
	s_xor_b32 s42, exec_lo, s42
	s_cbranch_execz .LBB4_4580
; %bb.4577:                             ;   in Loop: Header=BB4_4466 Depth=3
	v_bfe_u32 v4, v12, 26, 5
	s_mov_b32 s43, exec_lo
	s_delay_alu instid0(VALU_DEP_1)
	v_cmpx_eq_u32_e32 0, v4
; %bb.4578:                             ;   in Loop: Header=BB4_4466 Depth=3
	v_clz_i32_u32_e32 v4, v5
	s_delay_alu instid0(VALU_DEP_1) | instskip(NEXT) | instid1(VALU_DEP_1)
	v_min_u32_e32 v4, 32, v4
	v_subrev_nc_u32_e32 v5, 29, v4
	v_sub_nc_u32_e32 v4, 30, v4
	s_delay_alu instid0(VALU_DEP_2) | instskip(NEXT) | instid1(VALU_DEP_1)
	v_lshlrev_b64_e32 v[24:25], v5, v[2:3]
	v_and_b32_e32 v5, 3, v24
; %bb.4579:                             ;   in Loop: Header=BB4_4466 Depth=3
	s_or_b32 exec_lo, exec_lo, s43
	v_and_b32_e32 v2, 0x80000000, v12
	s_delay_alu instid0(VALU_DEP_1) | instskip(NEXT) | instid1(VALU_DEP_1)
	v_lshl_add_u32 v2, v4, 23, v2
	v_lshl_or_b32 v2, v5, 21, v2
                                        ; implicit-def: $vgpr5
	s_delay_alu instid0(VALU_DEP_1)
	v_add_nc_u32_e32 v4, 0x38000000, v2
.LBB4_4580:                             ;   in Loop: Header=BB4_4466 Depth=3
	s_and_not1_saveexec_b32 s42, s42
; %bb.4581:                             ;   in Loop: Header=BB4_4466 Depth=3
	v_cmp_lt_i32_e32 vcc_lo, -1, v12
	v_cndmask_b32_e32 v2, 0xff800000, v112, vcc_lo
	v_cmp_eq_u32_e32 vcc_lo, 0, v5
	s_delay_alu instid0(VALU_DEP_2)
	v_cndmask_b32_e32 v4, 0x7f800001, v2, vcc_lo
; %bb.4582:                             ;   in Loop: Header=BB4_4466 Depth=3
	s_or_b32 exec_lo, exec_lo, s42
.LBB4_4583:                             ;   in Loop: Header=BB4_4466 Depth=3
	s_delay_alu instid0(SALU_CYCLE_1)
	s_or_b32 exec_lo, exec_lo, s15
.LBB4_4584:                             ;   in Loop: Header=BB4_4466 Depth=3
	s_delay_alu instid0(SALU_CYCLE_1) | instskip(SKIP_3) | instid1(VALU_DEP_2)
	s_or_b32 exec_lo, exec_lo, s14
	v_bfe_u32 v5, v8, 24, 2
	v_bfe_u32 v27, v8, 26, 5
                                        ; implicit-def: $vgpr101
	s_mov_b32 s14, exec_lo
	v_clz_i32_u32_e32 v2, v5
	s_delay_alu instid0(VALU_DEP_2) | instskip(NEXT) | instid1(VALU_DEP_2)
	v_cmp_eq_u32_e32 vcc_lo, 0, v27
	v_min_u32_e32 v26, 32, v2
	v_lshrrev_b32_e32 v2, 24, v8
	s_delay_alu instid0(VALU_DEP_2) | instskip(NEXT) | instid1(VALU_DEP_1)
	v_subrev_nc_u32_e32 v24, 29, v26
	v_lshlrev_b64_e32 v[24:25], v24, v[2:3]
	v_sub_nc_u32_e32 v25, 30, v26
	v_and_b32_e32 v26, 0x80000000, v8
	s_delay_alu instid0(VALU_DEP_2) | instskip(NEXT) | instid1(VALU_DEP_1)
	v_dual_cndmask_b32 v25, v27, v25, vcc_lo :: v_dual_bitop2_b32 v24, 3, v24 bitop3:0x40
	v_lshl_add_u32 v25, v25, 23, v26
	s_delay_alu instid0(VALU_DEP_2) | instskip(SKIP_1) | instid1(VALU_DEP_2)
	v_cndmask_b32_e32 v24, v5, v24, vcc_lo
	v_cmp_lt_i32_e32 vcc_lo, -1, v8
	v_lshl_or_b32 v24, v24, 21, v25
	v_cndmask_b32_e32 v26, 0xff800000, v112, vcc_lo
	v_and_b32_e32 v25, 0x7c000000, v8
	v_cmp_eq_u32_e32 vcc_lo, 0, v5
	s_delay_alu instid0(VALU_DEP_4) | instskip(NEXT) | instid1(VALU_DEP_4)
	v_add_nc_u32_e32 v24, 0x38000000, v24
	v_cndmask_b32_e32 v5, 0x7f800001, v26, vcc_lo
	s_delay_alu instid0(VALU_DEP_4) | instskip(NEXT) | instid1(VALU_DEP_2)
	v_cmp_eq_u32_e32 vcc_lo, 0x7c000000, v25
	v_dual_mov_b32 v25, v3 :: v_dual_cndmask_b32 v5, v24, v5, vcc_lo
	v_cmp_ne_u32_e32 vcc_lo, 0x80, v2
	s_delay_alu instid0(VALU_DEP_2) | instskip(SKIP_1) | instid1(VALU_DEP_2)
	v_cndmask_b32_e32 v2, 0x80000000, v5, vcc_lo
	v_cmp_lt_u32_e32 vcc_lo, 0xffffff, v8
	v_cndmask_b32_e32 v2, 0, v2, vcc_lo
	s_delay_alu instid0(VALU_DEP_1) | instskip(NEXT) | instid1(VALU_DEP_1)
	v_mul_f32_e32 v4, v2, v4
	v_and_b32_e32 v24, 0x7f800000, v4
	v_and_b32_e32 v2, 0x7fffff, v4
	v_lshrrev_b32_e32 v5, 24, v4
	s_delay_alu instid0(VALU_DEP_3)
	v_cmpx_ne_u64_e32 0x7f800000, v[24:25]
	s_xor_b32 s15, exec_lo, s14
	s_cbranch_execz .LBB4_4598
; %bb.4585:                             ;   in Loop: Header=BB4_4466 Depth=3
	v_and_b32_e32 v24, 0x7fffffff, v4
	v_mov_b32_e32 v25, v3
	v_and_b32_e32 v26, 0x80, v5
                                        ; implicit-def: $vgpr101
	s_mov_b32 s14, exec_lo
	s_delay_alu instid0(VALU_DEP_2)
	v_cmpx_gt_u64_e32 0x47600001, v[24:25]
	s_xor_b32 s42, exec_lo, s14
	s_cbranch_execz .LBB4_4595
; %bb.4586:                             ;   in Loop: Header=BB4_4466 Depth=3
	v_mov_b32_e32 v101, 0
	s_mov_b32 s43, exec_lo
	v_cmpx_ne_u32_e32 0, v4
	s_cbranch_execz .LBB4_4594
; %bb.4587:                             ;   in Loop: Header=BB4_4466 Depth=3
	v_bfe_u32 v27, v4, 23, 8
	v_or_b32_e32 v24, 0x800000, v2
	s_mov_b32 s75, exec_lo
	s_delay_alu instid0(VALU_DEP_2) | instskip(SKIP_1) | instid1(VALU_DEP_2)
	v_dual_mov_b32 v25, v3 :: v_dual_sub_nc_u32 v4, 0x71, v27
	v_cmp_gt_u32_e32 vcc_lo, 0x72, v27
	v_cndmask_b32_e32 v4, 0, v4, vcc_lo
	v_cmp_eq_u32_e32 vcc_lo, 0, v27
	s_delay_alu instid0(VALU_DEP_2) | instskip(NEXT) | instid1(VALU_DEP_1)
	v_cndmask_b32_e64 v101, v4, 0x70, vcc_lo
	v_dual_cndmask_b32 v24, v24, v2, vcc_lo :: v_dual_add_nc_u32 v4, 21, v101
	v_add_nc_u32_e32 v102, 20, v101
	s_delay_alu instid0(VALU_DEP_2) | instskip(NEXT) | instid1(VALU_DEP_2)
	v_lshlrev_b64_e64 v[4:5], v4, -1
	v_lshlrev_b64_e64 v[102:103], v102, 1
	s_delay_alu instid0(VALU_DEP_2) | instskip(NEXT) | instid1(VALU_DEP_3)
	v_bfi_b32 v117, v5, 0, 0
	v_bfi_b32 v116, v4, 0, v24
	v_lshrrev_b64 v[4:5], v101, v[24:25]
	s_delay_alu instid0(VALU_DEP_1) | instskip(NEXT) | instid1(VALU_DEP_3)
	v_mov_b64_e32 v[24:25], v[4:5]
	v_cmpx_eq_u64_e64 v[116:117], v[102:103]
; %bb.4588:                             ;   in Loop: Header=BB4_4466 Depth=3
	v_bfe_u32 v24, v4, 21, 1
	v_mov_b32_e32 v25, v3
	s_delay_alu instid0(VALU_DEP_1) | instskip(NEXT) | instid1(VALU_DEP_1)
	v_add_nc_u64_e32 v[24:25], v[4:5], v[24:25]
	v_add_nc_u64_e32 v[24:25], -1, v[24:25]
; %bb.4589:                             ;   in Loop: Header=BB4_4466 Depth=3
	s_or_b32 exec_lo, exec_lo, s75
	v_add_nc_u32_e32 v2, 0xffffff81, v27
	s_delay_alu instid0(VALU_DEP_2) | instskip(SKIP_2) | instid1(VALU_DEP_3)
	v_and_b32_e32 v24, 0x1fffff, v24
	v_lshrrev_b32_e32 v5, 23, v4
	s_mov_b32 s14, exec_lo
	v_cndmask_b32_e64 v2, v2, 0xffffff82, vcc_lo
	s_delay_alu instid0(VALU_DEP_1) | instskip(SKIP_1) | instid1(VALU_DEP_2)
	v_add3_u32 v25, v101, v2, v5
	v_add_nc_u32_e32 v2, v24, v4
                                        ; implicit-def: $vgpr4_vgpr5
                                        ; implicit-def: $vgpr24
	v_add_nc_u32_e32 v27, 14, v25
	s_delay_alu instid0(VALU_DEP_1)
	v_cmpx_ne_u32_e32 0, v27
	s_xor_b32 s14, exec_lo, s14
; %bb.4590:                             ;   in Loop: Header=BB4_4466 Depth=3
	s_delay_alu instid0(VALU_DEP_3) | instskip(SKIP_1) | instid1(VALU_DEP_1)
	v_cmp_lt_u64_e32 vcc_lo, 0xffffff, v[2:3]
	v_add_nc_u32_e32 v4, 15, v25
	v_cndmask_b32_e32 v24, v27, v4, vcc_lo
	v_cndmask_b32_e64 v4, 0, 1, vcc_lo
	s_delay_alu instid0(VALU_DEP_1)
	v_lshrrev_b64 v[4:5], v4, v[2:3]
; %bb.4591:                             ;   in Loop: Header=BB4_4466 Depth=3
	s_and_not1_saveexec_b32 s14, s14
; %bb.4592:                             ;   in Loop: Header=BB4_4466 Depth=3
	v_mov_b64_e32 v[4:5], v[2:3]
	v_bfe_u32 v24, v2, 23, 1
; %bb.4593:                             ;   in Loop: Header=BB4_4466 Depth=3
	s_or_b32 exec_lo, exec_lo, s14
	s_delay_alu instid0(VALU_DEP_2) | instskip(NEXT) | instid1(VALU_DEP_2)
	v_lshrrev_b64 v[4:5], 21, v[4:5]
	v_cmp_gt_i32_e32 vcc_lo, 32, v24
	v_min_i32_e32 v2, 31, v24
	v_cmp_eq_u32_e64 s14, 0, v24
	s_delay_alu instid0(VALU_DEP_2) | instskip(SKIP_1) | instid1(VALU_DEP_2)
	v_dual_cndmask_b32 v5, 0, v5 :: v_dual_lshlrev_b32 v2, 2, v2
	v_cndmask_b32_e32 v4, 3, v4, vcc_lo
	v_and_b32_e32 v2, 0xfc, v2
	s_delay_alu instid0(VALU_DEP_2) | instskip(NEXT) | instid1(VALU_DEP_2)
	v_cmp_eq_u64_e32 vcc_lo, 0, v[4:5]
	v_and_or_b32 v2, v4, 3, v2
	s_and_b32 s14, s14, vcc_lo
	s_delay_alu instid0(VALU_DEP_1) | instid1(SALU_CYCLE_1)
	v_cndmask_b32_e64 v2, v2, 0, s14
	s_delay_alu instid0(VALU_DEP_1)
	v_or_b32_e32 v101, v2, v26
.LBB4_4594:                             ;   in Loop: Header=BB4_4466 Depth=3
	s_or_b32 exec_lo, exec_lo, s43
                                        ; implicit-def: $vgpr26
.LBB4_4595:                             ;   in Loop: Header=BB4_4466 Depth=3
	s_and_not1_saveexec_b32 s14, s42
; %bb.4596:                             ;   in Loop: Header=BB4_4466 Depth=3
	v_or_b32_e32 v101, 0x7b, v26
; %bb.4597:                             ;   in Loop: Header=BB4_4466 Depth=3
	s_or_b32 exec_lo, exec_lo, s14
                                        ; implicit-def: $vgpr4
                                        ; implicit-def: $vgpr5
.LBB4_4598:                             ;   in Loop: Header=BB4_4466 Depth=3
	s_and_not1_saveexec_b32 s14, s15
	s_cbranch_execz .LBB4_4604
; %bb.4599:                             ;   in Loop: Header=BB4_4466 Depth=3
	s_mov_b32 s15, exec_lo
                                        ; implicit-def: $vgpr101
	v_cmpx_ne_u64_e32 0, v[2:3]
	s_xor_b32 s15, exec_lo, s15
; %bb.4600:                             ;   in Loop: Header=BB4_4466 Depth=3
	v_or_b32_e32 v101, 0x7f, v5
                                        ; implicit-def: $vgpr4
; %bb.4601:                             ;   in Loop: Header=BB4_4466 Depth=3
	s_and_not1_saveexec_b32 s15, s15
; %bb.4602:                             ;   in Loop: Header=BB4_4466 Depth=3
	v_cmp_lt_i32_e32 vcc_lo, -1, v4
	v_cndmask_b32_e32 v101, 0xfc, v113, vcc_lo
; %bb.4603:                             ;   in Loop: Header=BB4_4466 Depth=3
	s_or_b32 exec_lo, exec_lo, s15
.LBB4_4604:                             ;   in Loop: Header=BB4_4466 Depth=3
	s_delay_alu instid0(SALU_CYCLE_1) | instskip(SKIP_3) | instid1(VALU_DEP_2)
	s_or_b32 exec_lo, exec_lo, s14
	v_and_b32_e32 v4, 0xff, v13
	v_dual_mov_b32 v2, v13 :: v_dual_mov_b32 v24, 0
	s_mov_b32 s14, exec_lo
	v_cmpx_ne_u16_e32 0, v4
	s_cbranch_execz .LBB4_4614
; %bb.4605:                             ;   in Loop: Header=BB4_4466 Depth=3
	v_bfrev_b32_e32 v24, 1
	s_mov_b32 s15, exec_lo
	v_cmpx_ne_u16_e32 0x80, v4
	s_cbranch_execz .LBB4_4613
; %bb.4606:                             ;   in Loop: Header=BB4_4466 Depth=3
	v_and_b32_e32 v5, 0x7c, v13
	v_and_b32_e32 v4, 3, v13
	s_mov_b32 s42, exec_lo
                                        ; implicit-def: $vgpr24
	s_delay_alu instid0(VALU_DEP_2)
	v_cmpx_ne_u32_e32 0x7c, v5
	s_xor_b32 s42, exec_lo, s42
	s_cbranch_execz .LBB4_4610
; %bb.4607:                             ;   in Loop: Header=BB4_4466 Depth=3
	v_bfe_u32 v5, v13, 2, 5
	s_mov_b32 s43, exec_lo
	s_delay_alu instid0(VALU_DEP_1)
	v_cmpx_eq_u32_e32 0, v5
; %bb.4608:                             ;   in Loop: Header=BB4_4466 Depth=3
	v_clz_i32_u32_e32 v4, v4
	s_delay_alu instid0(VALU_DEP_1) | instskip(NEXT) | instid1(VALU_DEP_1)
	v_min_u32_e32 v24, 32, v4
	v_subrev_nc_u32_e32 v4, 29, v24
	s_delay_alu instid0(VALU_DEP_1) | instskip(SKIP_1) | instid1(VALU_DEP_2)
	v_lshlrev_b64_e32 v[4:5], v4, v[2:3]
	v_sub_nc_u32_e32 v5, 30, v24
	v_and_b32_e32 v4, 3, v4
; %bb.4609:                             ;   in Loop: Header=BB4_4466 Depth=3
	s_or_b32 exec_lo, exec_lo, s43
	v_lshlrev_b32_e32 v24, 24, v13
	s_delay_alu instid0(VALU_DEP_1) | instskip(NEXT) | instid1(VALU_DEP_1)
	v_and_b32_e32 v24, 0x80000000, v24
	v_lshl_add_u32 v5, v5, 23, v24
	s_delay_alu instid0(VALU_DEP_1) | instskip(NEXT) | instid1(VALU_DEP_1)
	v_lshl_or_b32 v4, v4, 21, v5
	v_add_nc_u32_e32 v24, 0x38000000, v4
                                        ; implicit-def: $vgpr4
.LBB4_4610:                             ;   in Loop: Header=BB4_4466 Depth=3
	s_and_not1_saveexec_b32 s42, s42
; %bb.4611:                             ;   in Loop: Header=BB4_4466 Depth=3
	v_bfe_i32 v5, v13, 0, 8
	s_delay_alu instid0(VALU_DEP_1) | instskip(SKIP_2) | instid1(VALU_DEP_2)
	v_cmp_lt_i16_e32 vcc_lo, -1, v5
	v_cndmask_b32_e32 v5, 0xff800000, v112, vcc_lo
	v_cmp_eq_u32_e32 vcc_lo, 0, v4
	v_cndmask_b32_e32 v24, 0x7f800001, v5, vcc_lo
; %bb.4612:                             ;   in Loop: Header=BB4_4466 Depth=3
	s_or_b32 exec_lo, exec_lo, s42
.LBB4_4613:                             ;   in Loop: Header=BB4_4466 Depth=3
	s_delay_alu instid0(SALU_CYCLE_1)
	s_or_b32 exec_lo, exec_lo, s15
.LBB4_4614:                             ;   in Loop: Header=BB4_4466 Depth=3
	s_delay_alu instid0(SALU_CYCLE_1) | instskip(SKIP_4) | instid1(VALU_DEP_2)
	s_or_b32 exec_lo, exec_lo, s14
	v_and_b32_e32 v5, 0xff, v9
	v_mov_b32_e32 v4, v9
	s_mov_b32 s15, 0
	s_mov_b32 s14, exec_lo
	v_cmpx_lt_i16_e32 0x7f, v5
	s_xor_b32 s14, exec_lo, s14
	s_cbranch_execz .LBB4_5027
; %bb.4615:                             ;   in Loop: Header=BB4_4466 Depth=3
	s_mov_b32 s15, -1
	s_mov_b32 s42, exec_lo
	v_cmpx_eq_u16_e32 0x80, v5
; %bb.4616:                             ;   in Loop: Header=BB4_4466 Depth=3
	s_xor_b32 s15, exec_lo, -1
; %bb.4617:                             ;   in Loop: Header=BB4_4466 Depth=3
	s_or_b32 exec_lo, exec_lo, s42
	s_delay_alu instid0(SALU_CYCLE_1)
	s_and_b32 s15, s15, exec_lo
                                        ; implicit-def: $vgpr5
	s_or_saveexec_b32 s14, s14
	v_bfrev_b32_e32 v25, 1
	s_xor_b32 exec_lo, exec_lo, s14
	s_cbranch_execnz .LBB4_5028
.LBB4_4618:                             ;   in Loop: Header=BB4_4466 Depth=3
	s_or_b32 exec_lo, exec_lo, s14
	v_mov_b32_e32 v5, v3
	s_and_saveexec_b32 s14, s15
	s_cbranch_execz .LBB4_4620
.LBB4_4619:                             ;   in Loop: Header=BB4_4466 Depth=3
	v_and_b32_e32 v25, 3, v9
	s_delay_alu instid0(VALU_DEP_1) | instskip(NEXT) | instid1(VALU_DEP_1)
	v_clz_i32_u32_e32 v26, v25
	v_min_u32_e32 v102, 32, v26
	s_delay_alu instid0(VALU_DEP_1) | instskip(SKIP_1) | instid1(VALU_DEP_2)
	v_subrev_nc_u32_e32 v26, 29, v102
	v_sub_nc_u32_e32 v102, 30, v102
	v_lshlrev_b64_e32 v[26:27], v26, v[4:5]
	v_bfe_u32 v27, v9, 2, 5
	v_lshlrev_b32_e32 v5, 24, v9
	s_delay_alu instid0(VALU_DEP_2) | instskip(NEXT) | instid1(VALU_DEP_2)
	v_cmp_eq_u32_e32 vcc_lo, 0, v27
	v_and_b32_e32 v5, 0x80000000, v5
	v_and_b32_e32 v26, 3, v26
	v_cndmask_b32_e32 v27, v27, v102, vcc_lo
	v_bfe_i32 v102, v9, 0, 8
	s_delay_alu instid0(VALU_DEP_3) | instskip(NEXT) | instid1(VALU_DEP_3)
	v_cndmask_b32_e32 v26, v25, v26, vcc_lo
	v_lshl_add_u32 v5, v27, 23, v5
	s_delay_alu instid0(VALU_DEP_3) | instskip(NEXT) | instid1(VALU_DEP_2)
	v_cmp_lt_i16_e32 vcc_lo, -1, v102
	v_lshl_or_b32 v5, v26, 21, v5
	v_cndmask_b32_e32 v27, 0xff800000, v112, vcc_lo
	v_and_b32_e32 v26, 0x7c, v9
	v_cmp_eq_u32_e32 vcc_lo, 0, v25
	s_delay_alu instid0(VALU_DEP_4) | instskip(NEXT) | instid1(VALU_DEP_4)
	v_add_nc_u32_e32 v5, 0x38000000, v5
	v_cndmask_b32_e32 v25, 0x7f800001, v27, vcc_lo
	s_delay_alu instid0(VALU_DEP_4) | instskip(NEXT) | instid1(VALU_DEP_2)
	v_cmp_eq_u32_e32 vcc_lo, 0x7c, v26
	v_cndmask_b32_e32 v25, v5, v25, vcc_lo
.LBB4_4620:                             ;   in Loop: Header=BB4_4466 Depth=3
	s_or_b32 exec_lo, exec_lo, s14
	s_delay_alu instid0(VALU_DEP_1) | instskip(SKIP_2) | instid1(VALU_DEP_2)
	v_dual_mul_f32 v27, v24, v25 :: v_dual_mov_b32 v103, v3
	v_mov_b32_e32 v25, v3
                                        ; implicit-def: $vgpr26
	s_mov_b32 s14, exec_lo
	v_and_b32_e32 v102, 0x7f800000, v27
	v_and_b32_e32 v24, 0x7fffff, v27
	v_lshrrev_b32_e32 v5, 24, v27
	s_delay_alu instid0(VALU_DEP_3)
	v_cmpx_ne_u64_e32 0x7f800000, v[102:103]
	s_xor_b32 s15, exec_lo, s14
	s_cbranch_execz .LBB4_4634
; %bb.4621:                             ;   in Loop: Header=BB4_4466 Depth=3
	v_and_b32_e32 v102, 0x7fffffff, v27
	v_mov_b32_e32 v103, v3
	v_and_b32_e32 v5, 0x80, v5
                                        ; implicit-def: $vgpr26
	s_mov_b32 s14, exec_lo
	s_delay_alu instid0(VALU_DEP_2)
	v_cmpx_gt_u64_e32 0x47600001, v[102:103]
	s_xor_b32 s42, exec_lo, s14
	s_cbranch_execz .LBB4_4631
; %bb.4622:                             ;   in Loop: Header=BB4_4466 Depth=3
	v_mov_b32_e32 v26, 0
	s_mov_b32 s43, exec_lo
	v_cmpx_ne_u32_e32 0, v27
	s_cbranch_execz .LBB4_4630
; %bb.4623:                             ;   in Loop: Header=BB4_4466 Depth=3
	v_bfe_u32 v102, v27, 23, 8
	v_or_b32_e32 v116, 0x800000, v24
	s_delay_alu instid0(VALU_DEP_2) | instskip(SKIP_1) | instid1(VALU_DEP_2)
	v_sub_nc_u32_e32 v26, 0x71, v102
	v_cmp_gt_u32_e32 vcc_lo, 0x72, v102
	v_cndmask_b32_e32 v26, 0, v26, vcc_lo
	v_cmp_eq_u32_e32 vcc_lo, 0, v102
	s_delay_alu instid0(VALU_DEP_2) | instskip(NEXT) | instid1(VALU_DEP_1)
	v_cndmask_b32_e64 v103, v26, 0x70, vcc_lo
	v_dual_cndmask_b32 v24, v116, v24, vcc_lo :: v_dual_add_nc_u32 v26, 21, v103
	v_add_nc_u32_e32 v117, 20, v103
	s_delay_alu instid0(VALU_DEP_2) | instskip(NEXT) | instid1(VALU_DEP_2)
	v_lshlrev_b64_e64 v[26:27], v26, -1
	v_lshlrev_b64_e64 v[116:117], v117, 1
	s_delay_alu instid0(VALU_DEP_2) | instskip(SKIP_1) | instid1(VALU_DEP_4)
	v_bfi_b32 v26, v26, 0, v24
	v_lshrrev_b64 v[24:25], v103, v[24:25]
	v_bfi_b32 v27, v27, 0, 0
	s_delay_alu instid0(VALU_DEP_1) | instskip(NEXT) | instid1(VALU_DEP_3)
	v_cmp_eq_u64_e64 s14, v[26:27], v[116:117]
	v_mov_b64_e32 v[26:27], v[24:25]
	s_and_saveexec_b32 s75, s14
; %bb.4624:                             ;   in Loop: Header=BB4_4466 Depth=3
	v_bfe_u32 v26, v24, 21, 1
	v_mov_b32_e32 v27, v3
	s_delay_alu instid0(VALU_DEP_1) | instskip(NEXT) | instid1(VALU_DEP_1)
	v_add_nc_u64_e32 v[26:27], v[24:25], v[26:27]
	v_add_nc_u64_e32 v[26:27], -1, v[26:27]
; %bb.4625:                             ;   in Loop: Header=BB4_4466 Depth=3
	s_or_b32 exec_lo, exec_lo, s75
	v_add_nc_u32_e32 v25, 0xffffff81, v102
	v_lshrrev_b32_e32 v27, 23, v24
	s_mov_b32 s14, exec_lo
	s_delay_alu instid0(VALU_DEP_2) | instskip(NEXT) | instid1(VALU_DEP_1)
	v_cndmask_b32_e64 v25, v25, 0xffffff82, vcc_lo
	v_add3_u32 v27, v103, v25, v27
	v_and_b32_e32 v25, 0x1fffff, v26
                                        ; implicit-def: $vgpr26
	s_delay_alu instid0(VALU_DEP_1) | instskip(SKIP_1) | instid1(VALU_DEP_2)
	v_dual_add_nc_u32 v102, 14, v27 :: v_dual_add_nc_u32 v24, v25, v24
	v_mov_b32_e32 v25, v3
	v_cmpx_ne_u32_e32 0, v102
	s_xor_b32 s14, exec_lo, s14
; %bb.4626:                             ;   in Loop: Header=BB4_4466 Depth=3
	s_delay_alu instid0(VALU_DEP_2) | instskip(SKIP_2) | instid1(VALU_DEP_2)
	v_cmp_lt_u64_e32 vcc_lo, 0xffffff, v[24:25]
	v_add_nc_u32_e32 v26, 15, v27
	v_cndmask_b32_e64 v27, 0, 1, vcc_lo
	v_cndmask_b32_e32 v26, v102, v26, vcc_lo
	s_delay_alu instid0(VALU_DEP_2)
	v_lshrrev_b64 v[24:25], v27, v[24:25]
; %bb.4627:                             ;   in Loop: Header=BB4_4466 Depth=3
	s_and_not1_saveexec_b32 s14, s14
; %bb.4628:                             ;   in Loop: Header=BB4_4466 Depth=3
	s_delay_alu instid0(VALU_DEP_1)
	v_bfe_u32 v26, v24, 23, 1
; %bb.4629:                             ;   in Loop: Header=BB4_4466 Depth=3
	s_or_b32 exec_lo, exec_lo, s14
	s_delay_alu instid0(VALU_DEP_2) | instskip(NEXT) | instid1(VALU_DEP_2)
	v_lshrrev_b64 v[24:25], 21, v[24:25]
	v_cmp_gt_i32_e32 vcc_lo, 32, v26
	v_min_i32_e32 v27, 31, v26
	v_cmp_eq_u32_e64 s14, 0, v26
	s_delay_alu instid0(VALU_DEP_2) | instskip(SKIP_1) | instid1(VALU_DEP_2)
	v_dual_cndmask_b32 v25, 0, v25, vcc_lo :: v_dual_lshlrev_b32 v27, 2, v27
	v_cndmask_b32_e32 v24, 3, v24, vcc_lo
	v_and_b32_e32 v27, 0xfc, v27
	s_delay_alu instid0(VALU_DEP_2) | instskip(NEXT) | instid1(VALU_DEP_2)
	v_cmp_eq_u64_e32 vcc_lo, 0, v[24:25]
	v_and_or_b32 v24, v24, 3, v27
	s_and_b32 s14, s14, vcc_lo
	s_delay_alu instid0(VALU_DEP_1) | instid1(SALU_CYCLE_1)
	v_cndmask_b32_e64 v24, v24, 0, s14
	s_delay_alu instid0(VALU_DEP_1)
	v_or_b32_e32 v26, v24, v5
.LBB4_4630:                             ;   in Loop: Header=BB4_4466 Depth=3
	s_or_b32 exec_lo, exec_lo, s43
                                        ; implicit-def: $vgpr5
.LBB4_4631:                             ;   in Loop: Header=BB4_4466 Depth=3
	s_and_not1_saveexec_b32 s14, s42
; %bb.4632:                             ;   in Loop: Header=BB4_4466 Depth=3
	v_or_b32_e32 v26, 0x7b, v5
; %bb.4633:                             ;   in Loop: Header=BB4_4466 Depth=3
	s_or_b32 exec_lo, exec_lo, s14
                                        ; implicit-def: $vgpr27
                                        ; implicit-def: $vgpr24_vgpr25
                                        ; implicit-def: $vgpr5
.LBB4_4634:                             ;   in Loop: Header=BB4_4466 Depth=3
	s_and_not1_saveexec_b32 s14, s15
	s_cbranch_execz .LBB4_4640
; %bb.4635:                             ;   in Loop: Header=BB4_4466 Depth=3
	s_mov_b32 s15, exec_lo
                                        ; implicit-def: $vgpr26
	v_cmpx_ne_u64_e32 0, v[24:25]
	s_xor_b32 s15, exec_lo, s15
; %bb.4636:                             ;   in Loop: Header=BB4_4466 Depth=3
	v_or_b32_e32 v26, 0x7f, v5
                                        ; implicit-def: $vgpr27
; %bb.4637:                             ;   in Loop: Header=BB4_4466 Depth=3
	s_and_not1_saveexec_b32 s15, s15
; %bb.4638:                             ;   in Loop: Header=BB4_4466 Depth=3
	v_cmp_lt_i32_e32 vcc_lo, -1, v27
	v_cndmask_b32_e32 v26, 0xfc, v113, vcc_lo
; %bb.4639:                             ;   in Loop: Header=BB4_4466 Depth=3
	s_or_b32 exec_lo, exec_lo, s15
.LBB4_4640:                             ;   in Loop: Header=BB4_4466 Depth=3
	s_delay_alu instid0(SALU_CYCLE_1) | instskip(SKIP_3) | instid1(VALU_DEP_2)
	s_or_b32 exec_lo, exec_lo, s14
	v_lshrrev_b16 v24, 8, v2
	v_mov_b32_e32 v5, 0
	s_mov_b32 s14, exec_lo
	v_cmpx_ne_u16_e32 0, v24
	s_cbranch_execz .LBB4_4650
; %bb.4641:                             ;   in Loop: Header=BB4_4466 Depth=3
	v_bfrev_b32_e32 v5, 1
	s_mov_b32 s15, exec_lo
	v_cmpx_ne_u16_e32 0x80, v24
	s_cbranch_execz .LBB4_4649
; %bb.4642:                             ;   in Loop: Header=BB4_4466 Depth=3
	v_and_b32_e32 v27, 0xffff, v24
	s_delay_alu instid0(VALU_DEP_1) | instskip(SKIP_1) | instid1(VALU_DEP_2)
	v_and_b32_e32 v5, 0x7c, v27
	v_and_b32_e32 v25, 3, v27
	v_cmp_ne_u32_e32 vcc_lo, 0x7c, v5
                                        ; implicit-def: $vgpr5
	s_and_saveexec_b32 s42, vcc_lo
	s_delay_alu instid0(SALU_CYCLE_1)
	s_xor_b32 s42, exec_lo, s42
	s_cbranch_execz .LBB4_4646
; %bb.4643:                             ;   in Loop: Header=BB4_4466 Depth=3
	v_bfe_u32 v5, v27, 2, 5
	s_mov_b32 s43, exec_lo
	s_delay_alu instid0(VALU_DEP_1)
	v_cmpx_eq_u32_e32 0, v5
	s_cbranch_execz .LBB4_4645
; %bb.4644:                             ;   in Loop: Header=BB4_4466 Depth=3
	v_clz_i32_u32_e32 v5, v25
	s_delay_alu instid0(VALU_DEP_1) | instskip(SKIP_1) | instid1(VALU_DEP_2)
	v_min_u32_e32 v5, 32, v5
	v_mov_b32_e32 v25, v3
	v_subrev_nc_u32_e32 v27, 29, v5
	v_sub_nc_u32_e32 v5, 30, v5
	s_delay_alu instid0(VALU_DEP_2) | instskip(NEXT) | instid1(VALU_DEP_1)
	v_lshlrev_b64_e32 v[24:25], v27, v[24:25]
	v_and_b32_e32 v25, 3, v24
.LBB4_4645:                             ;   in Loop: Header=BB4_4466 Depth=3
	s_or_b32 exec_lo, exec_lo, s43
	v_lshlrev_b32_e32 v2, 16, v2
	s_delay_alu instid0(VALU_DEP_1) | instskip(NEXT) | instid1(VALU_DEP_1)
	v_and_b32_e32 v2, 0x80000000, v2
	v_lshl_add_u32 v2, v5, 23, v2
	s_delay_alu instid0(VALU_DEP_1) | instskip(NEXT) | instid1(VALU_DEP_1)
	v_lshl_or_b32 v2, v25, 21, v2
                                        ; implicit-def: $vgpr25
	v_add_nc_u32_e32 v5, 0x38000000, v2
.LBB4_4646:                             ;   in Loop: Header=BB4_4466 Depth=3
	s_and_not1_saveexec_b32 s42, s42
; %bb.4647:                             ;   in Loop: Header=BB4_4466 Depth=3
	v_cmp_lt_i16_e32 vcc_lo, -1, v2
	v_cndmask_b32_e32 v2, 0xff800000, v112, vcc_lo
	v_cmp_eq_u32_e32 vcc_lo, 0, v25
	s_delay_alu instid0(VALU_DEP_2)
	v_cndmask_b32_e32 v5, 0x7f800001, v2, vcc_lo
; %bb.4648:                             ;   in Loop: Header=BB4_4466 Depth=3
	s_or_b32 exec_lo, exec_lo, s42
.LBB4_4649:                             ;   in Loop: Header=BB4_4466 Depth=3
	s_delay_alu instid0(SALU_CYCLE_1)
	s_or_b32 exec_lo, exec_lo, s15
.LBB4_4650:                             ;   in Loop: Header=BB4_4466 Depth=3
	s_delay_alu instid0(SALU_CYCLE_1) | instskip(SKIP_3) | instid1(VALU_DEP_1)
	s_or_b32 exec_lo, exec_lo, s14
	v_lshrrev_b16 v24, 8, v4
	s_mov_b32 s15, 0
	s_mov_b32 s14, exec_lo
	v_cmpx_lt_i16_e32 0x7f, v24
	s_xor_b32 s14, exec_lo, s14
	s_cbranch_execz .LBB4_5029
; %bb.4651:                             ;   in Loop: Header=BB4_4466 Depth=3
	s_mov_b32 s15, -1
	s_mov_b32 s42, exec_lo
	v_cmpx_eq_u16_e32 0x80, v24
; %bb.4652:                             ;   in Loop: Header=BB4_4466 Depth=3
	s_xor_b32 s15, exec_lo, -1
; %bb.4653:                             ;   in Loop: Header=BB4_4466 Depth=3
	s_or_b32 exec_lo, exec_lo, s42
	s_delay_alu instid0(SALU_CYCLE_1)
	s_and_b32 s15, s15, exec_lo
	s_or_saveexec_b32 s14, s14
	v_bfrev_b32_e32 v2, 1
	s_xor_b32 exec_lo, exec_lo, s14
	s_cbranch_execnz .LBB4_5030
.LBB4_4654:                             ;   in Loop: Header=BB4_4466 Depth=3
	s_or_b32 exec_lo, exec_lo, s14
	s_and_saveexec_b32 s14, s15
	s_cbranch_execz .LBB4_4656
.LBB4_4655:                             ;   in Loop: Header=BB4_4466 Depth=3
	v_and_b32_e32 v2, 0xffff, v24
	s_delay_alu instid0(VALU_DEP_1) | instskip(NEXT) | instid1(VALU_DEP_1)
	v_and_b32_e32 v27, 3, v2
	v_clz_i32_u32_e32 v25, v27
	s_delay_alu instid0(VALU_DEP_1) | instskip(SKIP_1) | instid1(VALU_DEP_2)
	v_min_u32_e32 v116, 32, v25
	v_mov_b32_e32 v25, v3
	v_subrev_nc_u32_e32 v102, 29, v116
	s_delay_alu instid0(VALU_DEP_1) | instskip(SKIP_3) | instid1(VALU_DEP_3)
	v_lshlrev_b64_e32 v[102:103], v102, v[24:25]
	v_bfe_u32 v25, v2, 2, 5
	v_lshlrev_b32_e32 v24, 24, v24
	v_and_b32_e32 v2, 0x7c, v2
	v_cmp_eq_u32_e32 vcc_lo, 0, v25
	v_dual_sub_nc_u32 v103, 30, v116 :: v_dual_bitop2_b32 v102, 3, v102 bitop3:0x40
	s_delay_alu instid0(VALU_DEP_4) | instskip(NEXT) | instid1(VALU_DEP_2)
	v_and_b32_e32 v24, 0x80000000, v24
	v_dual_cndmask_b32 v102, v27, v102 :: v_dual_cndmask_b32 v25, v25, v103
	v_cmp_lt_i16_e32 vcc_lo, -1, v4
	s_delay_alu instid0(VALU_DEP_2) | instskip(SKIP_2) | instid1(VALU_DEP_3)
	v_lshl_add_u32 v24, v25, 23, v24
	v_cndmask_b32_e32 v4, 0xff800000, v112, vcc_lo
	v_cmp_eq_u32_e32 vcc_lo, 0, v27
	v_lshl_or_b32 v24, v102, 21, v24
	s_delay_alu instid0(VALU_DEP_3) | instskip(SKIP_1) | instid1(VALU_DEP_3)
	v_cndmask_b32_e32 v4, 0x7f800001, v4, vcc_lo
	v_cmp_eq_u32_e32 vcc_lo, 0x7c, v2
	v_add_nc_u32_e32 v24, 0x38000000, v24
	s_delay_alu instid0(VALU_DEP_1)
	v_cndmask_b32_e32 v2, v24, v4, vcc_lo
.LBB4_4656:                             ;   in Loop: Header=BB4_4466 Depth=3
	s_or_b32 exec_lo, exec_lo, s14
	s_delay_alu instid0(VALU_DEP_1) | instskip(SKIP_1) | instid1(VALU_DEP_1)
	v_dual_mul_f32 v4, v5, v2 :: v_dual_mov_b32 v25, v3
                                        ; implicit-def: $vgpr27
	s_mov_b32 s14, exec_lo
	v_and_b32_e32 v24, 0x7f800000, v4
	v_and_b32_e32 v2, 0x7fffff, v4
	v_lshrrev_b32_e32 v5, 24, v4
	s_delay_alu instid0(VALU_DEP_3)
	v_cmpx_ne_u64_e32 0x7f800000, v[24:25]
	s_xor_b32 s15, exec_lo, s14
	s_cbranch_execz .LBB4_4670
; %bb.4657:                             ;   in Loop: Header=BB4_4466 Depth=3
	v_and_b32_e32 v24, 0x7fffffff, v4
	v_mov_b32_e32 v25, v3
	v_and_b32_e32 v102, 0x80, v5
                                        ; implicit-def: $vgpr27
	s_mov_b32 s14, exec_lo
	s_delay_alu instid0(VALU_DEP_2)
	v_cmpx_gt_u64_e32 0x47600001, v[24:25]
	s_xor_b32 s42, exec_lo, s14
	s_cbranch_execz .LBB4_4667
; %bb.4658:                             ;   in Loop: Header=BB4_4466 Depth=3
	v_mov_b32_e32 v27, 0
	s_mov_b32 s43, exec_lo
	v_cmpx_ne_u32_e32 0, v4
	s_cbranch_execz .LBB4_4666
; %bb.4659:                             ;   in Loop: Header=BB4_4466 Depth=3
	v_bfe_u32 v27, v4, 23, 8
	v_or_b32_e32 v24, 0x800000, v2
	s_mov_b32 s75, exec_lo
	s_delay_alu instid0(VALU_DEP_2) | instskip(SKIP_1) | instid1(VALU_DEP_2)
	v_dual_mov_b32 v25, v3 :: v_dual_sub_nc_u32 v4, 0x71, v27
	v_cmp_gt_u32_e32 vcc_lo, 0x72, v27
	v_cndmask_b32_e32 v4, 0, v4, vcc_lo
	v_cmp_eq_u32_e32 vcc_lo, 0, v27
	s_delay_alu instid0(VALU_DEP_2) | instskip(NEXT) | instid1(VALU_DEP_1)
	v_cndmask_b32_e64 v103, v4, 0x70, vcc_lo
	v_dual_cndmask_b32 v24, v24, v2, vcc_lo :: v_dual_add_nc_u32 v4, 21, v103
	v_add_nc_u32_e32 v116, 20, v103
	s_delay_alu instid0(VALU_DEP_2) | instskip(NEXT) | instid1(VALU_DEP_2)
	v_lshlrev_b64_e64 v[4:5], v4, -1
	v_lshlrev_b64_e64 v[116:117], v116, 1
	s_delay_alu instid0(VALU_DEP_2) | instskip(NEXT) | instid1(VALU_DEP_3)
	v_bfi_b32 v45, v5, 0, 0
	v_bfi_b32 v44, v4, 0, v24
	v_lshrrev_b64 v[4:5], v103, v[24:25]
	s_delay_alu instid0(VALU_DEP_1) | instskip(NEXT) | instid1(VALU_DEP_3)
	v_mov_b64_e32 v[24:25], v[4:5]
	v_cmpx_eq_u64_e64 v[44:45], v[116:117]
; %bb.4660:                             ;   in Loop: Header=BB4_4466 Depth=3
	v_bfe_u32 v24, v4, 21, 1
	v_mov_b32_e32 v25, v3
	s_delay_alu instid0(VALU_DEP_1) | instskip(NEXT) | instid1(VALU_DEP_1)
	v_add_nc_u64_e32 v[24:25], v[4:5], v[24:25]
	v_add_nc_u64_e32 v[24:25], -1, v[24:25]
; %bb.4661:                             ;   in Loop: Header=BB4_4466 Depth=3
	s_or_b32 exec_lo, exec_lo, s75
	v_add_nc_u32_e32 v2, 0xffffff81, v27
	s_delay_alu instid0(VALU_DEP_2) | instskip(SKIP_2) | instid1(VALU_DEP_3)
	v_and_b32_e32 v24, 0x1fffff, v24
	v_lshrrev_b32_e32 v5, 23, v4
	s_mov_b32 s14, exec_lo
	v_cndmask_b32_e64 v2, v2, 0xffffff82, vcc_lo
	s_delay_alu instid0(VALU_DEP_1) | instskip(SKIP_1) | instid1(VALU_DEP_2)
	v_add3_u32 v25, v103, v2, v5
	v_add_nc_u32_e32 v2, v24, v4
                                        ; implicit-def: $vgpr4_vgpr5
                                        ; implicit-def: $vgpr24
	v_add_nc_u32_e32 v27, 14, v25
	s_delay_alu instid0(VALU_DEP_1)
	v_cmpx_ne_u32_e32 0, v27
	s_xor_b32 s14, exec_lo, s14
; %bb.4662:                             ;   in Loop: Header=BB4_4466 Depth=3
	s_delay_alu instid0(VALU_DEP_3) | instskip(SKIP_1) | instid1(VALU_DEP_1)
	v_cmp_lt_u64_e32 vcc_lo, 0xffffff, v[2:3]
	v_add_nc_u32_e32 v4, 15, v25
	v_cndmask_b32_e32 v24, v27, v4, vcc_lo
	v_cndmask_b32_e64 v4, 0, 1, vcc_lo
	s_delay_alu instid0(VALU_DEP_1)
	v_lshrrev_b64 v[4:5], v4, v[2:3]
; %bb.4663:                             ;   in Loop: Header=BB4_4466 Depth=3
	s_and_not1_saveexec_b32 s14, s14
; %bb.4664:                             ;   in Loop: Header=BB4_4466 Depth=3
	v_mov_b64_e32 v[4:5], v[2:3]
	v_bfe_u32 v24, v2, 23, 1
; %bb.4665:                             ;   in Loop: Header=BB4_4466 Depth=3
	s_or_b32 exec_lo, exec_lo, s14
	s_delay_alu instid0(VALU_DEP_2) | instskip(NEXT) | instid1(VALU_DEP_2)
	v_lshrrev_b64 v[4:5], 21, v[4:5]
	v_cmp_gt_i32_e32 vcc_lo, 32, v24
	v_min_i32_e32 v2, 31, v24
	v_cmp_eq_u32_e64 s14, 0, v24
	s_delay_alu instid0(VALU_DEP_2) | instskip(SKIP_1) | instid1(VALU_DEP_2)
	v_dual_cndmask_b32 v5, 0, v5 :: v_dual_lshlrev_b32 v2, 2, v2
	v_cndmask_b32_e32 v4, 3, v4, vcc_lo
	v_and_b32_e32 v2, 0xfc, v2
	s_delay_alu instid0(VALU_DEP_2) | instskip(NEXT) | instid1(VALU_DEP_2)
	v_cmp_eq_u64_e32 vcc_lo, 0, v[4:5]
	v_and_or_b32 v2, v4, 3, v2
	s_and_b32 s14, s14, vcc_lo
	s_delay_alu instid0(VALU_DEP_1) | instid1(SALU_CYCLE_1)
	v_cndmask_b32_e64 v2, v2, 0, s14
	s_delay_alu instid0(VALU_DEP_1)
	v_or_b32_e32 v27, v2, v102
.LBB4_4666:                             ;   in Loop: Header=BB4_4466 Depth=3
	s_or_b32 exec_lo, exec_lo, s43
                                        ; implicit-def: $vgpr102
.LBB4_4667:                             ;   in Loop: Header=BB4_4466 Depth=3
	s_and_not1_saveexec_b32 s14, s42
; %bb.4668:                             ;   in Loop: Header=BB4_4466 Depth=3
	v_or_b32_e32 v27, 0x7b, v102
; %bb.4669:                             ;   in Loop: Header=BB4_4466 Depth=3
	s_or_b32 exec_lo, exec_lo, s14
                                        ; implicit-def: $vgpr4
                                        ; implicit-def: $vgpr5
.LBB4_4670:                             ;   in Loop: Header=BB4_4466 Depth=3
	s_and_not1_saveexec_b32 s14, s15
	s_cbranch_execz .LBB4_4676
; %bb.4671:                             ;   in Loop: Header=BB4_4466 Depth=3
	s_mov_b32 s15, exec_lo
                                        ; implicit-def: $vgpr27
	v_cmpx_ne_u64_e32 0, v[2:3]
	s_xor_b32 s15, exec_lo, s15
; %bb.4672:                             ;   in Loop: Header=BB4_4466 Depth=3
	v_or_b32_e32 v27, 0x7f, v5
                                        ; implicit-def: $vgpr4
; %bb.4673:                             ;   in Loop: Header=BB4_4466 Depth=3
	s_and_not1_saveexec_b32 s15, s15
; %bb.4674:                             ;   in Loop: Header=BB4_4466 Depth=3
	v_cmp_lt_i32_e32 vcc_lo, -1, v4
	v_cndmask_b32_e32 v27, 0xfc, v113, vcc_lo
; %bb.4675:                             ;   in Loop: Header=BB4_4466 Depth=3
	s_or_b32 exec_lo, exec_lo, s15
.LBB4_4676:                             ;   in Loop: Header=BB4_4466 Depth=3
	s_delay_alu instid0(SALU_CYCLE_1) | instskip(SKIP_2) | instid1(VALU_DEP_1)
	s_or_b32 exec_lo, exec_lo, s14
	v_dual_lshrrev_b32 v2, 16, v13 :: v_dual_mov_b32 v4, 0
	s_mov_b32 s14, exec_lo
	v_and_b32_e32 v5, 0xff, v2
	s_delay_alu instid0(VALU_DEP_1)
	v_cmpx_ne_u16_e32 0, v5
	s_cbranch_execz .LBB4_4686
; %bb.4677:                             ;   in Loop: Header=BB4_4466 Depth=3
	v_bfrev_b32_e32 v4, 1
	s_mov_b32 s15, exec_lo
	v_cmpx_ne_u16_e32 0x80, v5
	s_cbranch_execz .LBB4_4685
; %bb.4678:                             ;   in Loop: Header=BB4_4466 Depth=3
	v_and_b32_e32 v4, 0x7c0000, v13
	v_bfe_u32 v5, v13, 16, 2
	s_delay_alu instid0(VALU_DEP_2) | instskip(SKIP_1) | instid1(SALU_CYCLE_1)
	v_cmp_ne_u32_e32 vcc_lo, 0x7c0000, v4
                                        ; implicit-def: $vgpr4
	s_and_saveexec_b32 s42, vcc_lo
	s_xor_b32 s42, exec_lo, s42
	s_cbranch_execz .LBB4_4682
; %bb.4679:                             ;   in Loop: Header=BB4_4466 Depth=3
	v_bfe_u32 v4, v13, 18, 5
	s_mov_b32 s43, exec_lo
	s_delay_alu instid0(VALU_DEP_1)
	v_cmpx_eq_u32_e32 0, v4
; %bb.4680:                             ;   in Loop: Header=BB4_4466 Depth=3
	v_clz_i32_u32_e32 v4, v5
	s_delay_alu instid0(VALU_DEP_1) | instskip(NEXT) | instid1(VALU_DEP_1)
	v_min_u32_e32 v4, 32, v4
	v_subrev_nc_u32_e32 v5, 29, v4
	v_sub_nc_u32_e32 v4, 30, v4
	s_delay_alu instid0(VALU_DEP_2) | instskip(NEXT) | instid1(VALU_DEP_1)
	v_lshlrev_b64_e32 v[24:25], v5, v[2:3]
	v_and_b32_e32 v5, 3, v24
; %bb.4681:                             ;   in Loop: Header=BB4_4466 Depth=3
	s_or_b32 exec_lo, exec_lo, s43
	v_lshlrev_b32_e32 v2, 24, v2
	s_delay_alu instid0(VALU_DEP_1) | instskip(NEXT) | instid1(VALU_DEP_1)
	v_and_b32_e32 v2, 0x80000000, v2
	v_lshl_add_u32 v2, v4, 23, v2
	s_delay_alu instid0(VALU_DEP_1) | instskip(NEXT) | instid1(VALU_DEP_1)
	v_lshl_or_b32 v2, v5, 21, v2
                                        ; implicit-def: $vgpr5
	v_add_nc_u32_e32 v4, 0x38000000, v2
                                        ; implicit-def: $vgpr2
.LBB4_4682:                             ;   in Loop: Header=BB4_4466 Depth=3
	s_and_not1_saveexec_b32 s42, s42
; %bb.4683:                             ;   in Loop: Header=BB4_4466 Depth=3
	v_bfe_i32 v2, v2, 0, 8
	s_delay_alu instid0(VALU_DEP_1) | instskip(SKIP_2) | instid1(VALU_DEP_2)
	v_cmp_lt_i16_e32 vcc_lo, -1, v2
	v_cndmask_b32_e32 v2, 0xff800000, v112, vcc_lo
	v_cmp_eq_u32_e32 vcc_lo, 0, v5
	v_cndmask_b32_e32 v4, 0x7f800001, v2, vcc_lo
; %bb.4684:                             ;   in Loop: Header=BB4_4466 Depth=3
	s_or_b32 exec_lo, exec_lo, s42
.LBB4_4685:                             ;   in Loop: Header=BB4_4466 Depth=3
	s_delay_alu instid0(SALU_CYCLE_1)
	s_or_b32 exec_lo, exec_lo, s15
.LBB4_4686:                             ;   in Loop: Header=BB4_4466 Depth=3
	s_delay_alu instid0(SALU_CYCLE_1) | instskip(SKIP_3) | instid1(VALU_DEP_1)
	s_or_b32 exec_lo, exec_lo, s14
	v_lshrrev_b32_e32 v2, 16, v9
	s_mov_b32 s15, 0
	s_mov_b32 s14, exec_lo
	v_and_b32_e32 v24, 0xff, v2
	s_delay_alu instid0(VALU_DEP_1)
	v_cmpx_lt_i16_e32 0x7f, v24
	s_xor_b32 s14, exec_lo, s14
	s_cbranch_execz .LBB4_5031
; %bb.4687:                             ;   in Loop: Header=BB4_4466 Depth=3
	s_mov_b32 s15, -1
	s_mov_b32 s42, exec_lo
	v_cmpx_eq_u16_e32 0x80, v24
; %bb.4688:                             ;   in Loop: Header=BB4_4466 Depth=3
	s_xor_b32 s15, exec_lo, -1
; %bb.4689:                             ;   in Loop: Header=BB4_4466 Depth=3
	s_or_b32 exec_lo, exec_lo, s42
	s_delay_alu instid0(SALU_CYCLE_1)
	s_and_b32 s15, s15, exec_lo
                                        ; implicit-def: $vgpr24
	s_or_saveexec_b32 s14, s14
	v_bfrev_b32_e32 v5, 1
	s_xor_b32 exec_lo, exec_lo, s14
	s_cbranch_execnz .LBB4_5032
.LBB4_4690:                             ;   in Loop: Header=BB4_4466 Depth=3
	s_or_b32 exec_lo, exec_lo, s14
	s_and_saveexec_b32 s14, s15
	s_cbranch_execz .LBB4_4692
.LBB4_4691:                             ;   in Loop: Header=BB4_4466 Depth=3
	v_and_b32_e32 v5, 3, v2
	v_bfe_u32 v103, v9, 18, 5
	s_delay_alu instid0(VALU_DEP_2) | instskip(NEXT) | instid1(VALU_DEP_2)
	v_clz_i32_u32_e32 v24, v5
	v_cmp_eq_u32_e32 vcc_lo, 0, v103
	s_delay_alu instid0(VALU_DEP_2) | instskip(NEXT) | instid1(VALU_DEP_1)
	v_min_u32_e32 v102, 32, v24
	v_subrev_nc_u32_e32 v24, 29, v102
	s_delay_alu instid0(VALU_DEP_1) | instskip(SKIP_3) | instid1(VALU_DEP_3)
	v_lshlrev_b64_e32 v[24:25], v24, v[2:3]
	v_lshlrev_b32_e32 v25, 24, v2
	v_sub_nc_u32_e32 v102, 30, v102
	v_bfe_i32 v2, v2, 0, 8
	v_and_b32_e32 v25, 0x80000000, v25
	s_delay_alu instid0(VALU_DEP_3) | instskip(NEXT) | instid1(VALU_DEP_1)
	v_dual_cndmask_b32 v102, v103, v102, vcc_lo :: v_dual_bitop2_b32 v24, 3, v24 bitop3:0x40
	v_cndmask_b32_e32 v24, v5, v24, vcc_lo
	s_delay_alu instid0(VALU_DEP_2) | instskip(SKIP_1) | instid1(VALU_DEP_2)
	v_lshl_add_u32 v25, v102, 23, v25
	v_cmp_lt_i16_e32 vcc_lo, -1, v2
	v_lshl_or_b32 v24, v24, 21, v25
	v_cndmask_b32_e32 v2, 0xff800000, v112, vcc_lo
	v_and_b32_e32 v25, 0x7c0000, v9
	v_cmp_eq_u32_e32 vcc_lo, 0, v5
	s_delay_alu instid0(VALU_DEP_4) | instskip(NEXT) | instid1(VALU_DEP_4)
	v_add_nc_u32_e32 v5, 0x38000000, v24
	v_cndmask_b32_e32 v2, 0x7f800001, v2, vcc_lo
	s_delay_alu instid0(VALU_DEP_4) | instskip(NEXT) | instid1(VALU_DEP_2)
	v_cmp_eq_u32_e32 vcc_lo, 0x7c0000, v25
	v_cndmask_b32_e32 v5, v5, v2, vcc_lo
.LBB4_4692:                             ;   in Loop: Header=BB4_4466 Depth=3
	s_or_b32 exec_lo, exec_lo, s14
	s_delay_alu instid0(VALU_DEP_1) | instskip(NEXT) | instid1(VALU_DEP_1)
	v_dual_mul_f32 v4, v4, v5 :: v_dual_mov_b32 v25, v3
	v_and_b32_e32 v24, 0x7f800000, v4
	v_and_b32_e32 v2, 0x7fffff, v4
	v_lshrrev_b32_e32 v5, 24, v4
	s_delay_alu instid0(VALU_DEP_3) | instskip(SKIP_1) | instid1(SALU_CYCLE_1)
	v_cmp_ne_u64_e32 vcc_lo, 0x7f800000, v[24:25]
                                        ; implicit-def: $vgpr24
	s_and_saveexec_b32 s14, vcc_lo
	s_xor_b32 s15, exec_lo, s14
	s_cbranch_execz .LBB4_4706
; %bb.4693:                             ;   in Loop: Header=BB4_4466 Depth=3
	v_and_b32_e32 v24, 0x7fffffff, v4
	v_mov_b32_e32 v25, v3
	v_and_b32_e32 v102, 0x80, v5
	s_delay_alu instid0(VALU_DEP_2) | instskip(SKIP_1) | instid1(SALU_CYCLE_1)
	v_cmp_gt_u64_e32 vcc_lo, 0x47600001, v[24:25]
                                        ; implicit-def: $vgpr24
	s_and_saveexec_b32 s14, vcc_lo
	s_xor_b32 s42, exec_lo, s14
	s_cbranch_execz .LBB4_4703
; %bb.4694:                             ;   in Loop: Header=BB4_4466 Depth=3
	v_mov_b32_e32 v24, 0
	s_mov_b32 s43, exec_lo
	v_cmpx_ne_u32_e32 0, v4
	s_cbranch_execz .LBB4_4702
; %bb.4695:                             ;   in Loop: Header=BB4_4466 Depth=3
	v_bfe_u32 v103, v4, 23, 8
	v_or_b32_e32 v24, 0x800000, v2
	s_mov_b32 s75, exec_lo
	s_delay_alu instid0(VALU_DEP_2) | instskip(SKIP_1) | instid1(VALU_DEP_2)
	v_dual_mov_b32 v25, v3 :: v_dual_sub_nc_u32 v4, 0x71, v103
	v_cmp_gt_u32_e32 vcc_lo, 0x72, v103
	v_cndmask_b32_e32 v4, 0, v4, vcc_lo
	v_cmp_eq_u32_e32 vcc_lo, 0, v103
	v_cndmask_b32_e32 v24, v24, v2, vcc_lo
	s_delay_alu instid0(VALU_DEP_3) | instskip(NEXT) | instid1(VALU_DEP_1)
	v_cndmask_b32_e64 v116, v4, 0x70, vcc_lo
	v_dual_add_nc_u32 v4, 21, v116 :: v_dual_add_nc_u32 v117, 20, v116
	s_delay_alu instid0(VALU_DEP_1) | instskip(NEXT) | instid1(VALU_DEP_2)
	v_lshlrev_b64_e64 v[4:5], v4, -1
	v_lshlrev_b64_e64 v[44:45], v117, 1
	s_delay_alu instid0(VALU_DEP_2) | instskip(NEXT) | instid1(VALU_DEP_3)
	v_bfi_b32 v47, v5, 0, 0
	v_bfi_b32 v46, v4, 0, v24
	v_lshrrev_b64 v[4:5], v116, v[24:25]
	s_delay_alu instid0(VALU_DEP_1) | instskip(NEXT) | instid1(VALU_DEP_3)
	v_mov_b64_e32 v[24:25], v[4:5]
	v_cmpx_eq_u64_e64 v[46:47], v[44:45]
; %bb.4696:                             ;   in Loop: Header=BB4_4466 Depth=3
	v_bfe_u32 v24, v4, 21, 1
	v_mov_b32_e32 v25, v3
	s_delay_alu instid0(VALU_DEP_1) | instskip(NEXT) | instid1(VALU_DEP_1)
	v_add_nc_u64_e32 v[24:25], v[4:5], v[24:25]
	v_add_nc_u64_e32 v[24:25], -1, v[24:25]
; %bb.4697:                             ;   in Loop: Header=BB4_4466 Depth=3
	s_or_b32 exec_lo, exec_lo, s75
	v_add_nc_u32_e32 v2, 0xffffff81, v103
	s_delay_alu instid0(VALU_DEP_2) | instskip(SKIP_2) | instid1(VALU_DEP_3)
	v_and_b32_e32 v24, 0x1fffff, v24
	v_lshrrev_b32_e32 v5, 23, v4
	s_mov_b32 s14, exec_lo
	v_cndmask_b32_e64 v2, v2, 0xffffff82, vcc_lo
	s_delay_alu instid0(VALU_DEP_1) | instskip(SKIP_1) | instid1(VALU_DEP_2)
	v_add3_u32 v25, v116, v2, v5
	v_add_nc_u32_e32 v2, v24, v4
                                        ; implicit-def: $vgpr4_vgpr5
                                        ; implicit-def: $vgpr24
	v_add_nc_u32_e32 v103, 14, v25
	s_delay_alu instid0(VALU_DEP_1)
	v_cmpx_ne_u32_e32 0, v103
	s_xor_b32 s14, exec_lo, s14
; %bb.4698:                             ;   in Loop: Header=BB4_4466 Depth=3
	s_delay_alu instid0(VALU_DEP_3) | instskip(SKIP_1) | instid1(VALU_DEP_1)
	v_cmp_lt_u64_e32 vcc_lo, 0xffffff, v[2:3]
	v_add_nc_u32_e32 v4, 15, v25
	v_cndmask_b32_e32 v24, v103, v4, vcc_lo
	v_cndmask_b32_e64 v4, 0, 1, vcc_lo
	s_delay_alu instid0(VALU_DEP_1)
	v_lshrrev_b64 v[4:5], v4, v[2:3]
; %bb.4699:                             ;   in Loop: Header=BB4_4466 Depth=3
	s_and_not1_saveexec_b32 s14, s14
; %bb.4700:                             ;   in Loop: Header=BB4_4466 Depth=3
	v_mov_b64_e32 v[4:5], v[2:3]
	v_bfe_u32 v24, v2, 23, 1
; %bb.4701:                             ;   in Loop: Header=BB4_4466 Depth=3
	s_or_b32 exec_lo, exec_lo, s14
	s_delay_alu instid0(VALU_DEP_2) | instskip(NEXT) | instid1(VALU_DEP_2)
	v_lshrrev_b64 v[4:5], 21, v[4:5]
	v_cmp_gt_i32_e32 vcc_lo, 32, v24
	v_min_i32_e32 v2, 31, v24
	v_cmp_eq_u32_e64 s14, 0, v24
	s_delay_alu instid0(VALU_DEP_2) | instskip(SKIP_1) | instid1(VALU_DEP_2)
	v_dual_cndmask_b32 v5, 0, v5 :: v_dual_lshlrev_b32 v2, 2, v2
	v_cndmask_b32_e32 v4, 3, v4, vcc_lo
	v_and_b32_e32 v2, 0xfc, v2
	s_delay_alu instid0(VALU_DEP_2) | instskip(NEXT) | instid1(VALU_DEP_2)
	v_cmp_eq_u64_e32 vcc_lo, 0, v[4:5]
	v_and_or_b32 v2, v4, 3, v2
	s_and_b32 s14, s14, vcc_lo
	s_delay_alu instid0(VALU_DEP_1) | instid1(SALU_CYCLE_1)
	v_cndmask_b32_e64 v2, v2, 0, s14
	s_delay_alu instid0(VALU_DEP_1)
	v_or_b32_e32 v24, v2, v102
.LBB4_4702:                             ;   in Loop: Header=BB4_4466 Depth=3
	s_or_b32 exec_lo, exec_lo, s43
                                        ; implicit-def: $vgpr102
.LBB4_4703:                             ;   in Loop: Header=BB4_4466 Depth=3
	s_and_not1_saveexec_b32 s14, s42
; %bb.4704:                             ;   in Loop: Header=BB4_4466 Depth=3
	v_or_b32_e32 v24, 0x7b, v102
; %bb.4705:                             ;   in Loop: Header=BB4_4466 Depth=3
	s_or_b32 exec_lo, exec_lo, s14
                                        ; implicit-def: $vgpr4
                                        ; implicit-def: $vgpr5
.LBB4_4706:                             ;   in Loop: Header=BB4_4466 Depth=3
	s_and_not1_saveexec_b32 s14, s15
	s_cbranch_execz .LBB4_4712
; %bb.4707:                             ;   in Loop: Header=BB4_4466 Depth=3
	s_mov_b32 s15, exec_lo
                                        ; implicit-def: $vgpr24
	v_cmpx_ne_u64_e32 0, v[2:3]
	s_xor_b32 s15, exec_lo, s15
; %bb.4708:                             ;   in Loop: Header=BB4_4466 Depth=3
	v_or_b32_e32 v24, 0x7f, v5
                                        ; implicit-def: $vgpr4
; %bb.4709:                             ;   in Loop: Header=BB4_4466 Depth=3
	s_and_not1_saveexec_b32 s15, s15
; %bb.4710:                             ;   in Loop: Header=BB4_4466 Depth=3
	v_cmp_lt_i32_e32 vcc_lo, -1, v4
	v_cndmask_b32_e32 v24, 0xfc, v113, vcc_lo
; %bb.4711:                             ;   in Loop: Header=BB4_4466 Depth=3
	s_or_b32 exec_lo, exec_lo, s15
.LBB4_4712:                             ;   in Loop: Header=BB4_4466 Depth=3
	s_delay_alu instid0(SALU_CYCLE_1)
	s_or_b32 exec_lo, exec_lo, s14
	v_mov_b32_e32 v4, 0
	s_mov_b32 s14, exec_lo
	v_cmpx_lt_u64_e64 s[22:23], v[12:13]
	s_cbranch_execz .LBB4_4722
; %bb.4713:                             ;   in Loop: Header=BB4_4466 Depth=3
	v_lshrrev_b32_e32 v2, 24, v13
	v_bfrev_b32_e32 v4, 1
	s_mov_b32 s15, exec_lo
	s_delay_alu instid0(VALU_DEP_2)
	v_cmpx_ne_u32_e32 0x80, v2
	s_cbranch_execz .LBB4_4721
; %bb.4714:                             ;   in Loop: Header=BB4_4466 Depth=3
	v_and_b32_e32 v4, 0x7c000000, v13
	v_bfe_u32 v5, v13, 24, 2
	s_delay_alu instid0(VALU_DEP_2) | instskip(SKIP_1) | instid1(SALU_CYCLE_1)
	v_cmp_ne_u32_e32 vcc_lo, 0x7c000000, v4
                                        ; implicit-def: $vgpr4
	s_and_saveexec_b32 s42, vcc_lo
	s_xor_b32 s42, exec_lo, s42
	s_cbranch_execz .LBB4_4718
; %bb.4715:                             ;   in Loop: Header=BB4_4466 Depth=3
	v_bfe_u32 v4, v13, 26, 5
	s_mov_b32 s43, exec_lo
	s_delay_alu instid0(VALU_DEP_1)
	v_cmpx_eq_u32_e32 0, v4
; %bb.4716:                             ;   in Loop: Header=BB4_4466 Depth=3
	v_clz_i32_u32_e32 v4, v5
	s_delay_alu instid0(VALU_DEP_1) | instskip(NEXT) | instid1(VALU_DEP_1)
	v_min_u32_e32 v4, 32, v4
	v_subrev_nc_u32_e32 v5, 29, v4
	s_delay_alu instid0(VALU_DEP_1) | instskip(NEXT) | instid1(VALU_DEP_1)
	v_lshlrev_b64_e32 v[102:103], v5, v[2:3]
	v_dual_sub_nc_u32 v4, 30, v4 :: v_dual_bitop2_b32 v5, 3, v102 bitop3:0x40
; %bb.4717:                             ;   in Loop: Header=BB4_4466 Depth=3
	s_or_b32 exec_lo, exec_lo, s43
	v_and_b32_e32 v2, 0x80000000, v13
	s_delay_alu instid0(VALU_DEP_1) | instskip(NEXT) | instid1(VALU_DEP_1)
	v_lshl_add_u32 v2, v4, 23, v2
	v_lshl_or_b32 v2, v5, 21, v2
                                        ; implicit-def: $vgpr5
	s_delay_alu instid0(VALU_DEP_1)
	v_add_nc_u32_e32 v4, 0x38000000, v2
.LBB4_4718:                             ;   in Loop: Header=BB4_4466 Depth=3
	s_and_not1_saveexec_b32 s42, s42
; %bb.4719:                             ;   in Loop: Header=BB4_4466 Depth=3
	v_cmp_lt_i64_e32 vcc_lo, -1, v[12:13]
	v_cndmask_b32_e32 v2, 0xff800000, v112, vcc_lo
	v_cmp_eq_u32_e32 vcc_lo, 0, v5
	s_delay_alu instid0(VALU_DEP_2)
	v_cndmask_b32_e32 v4, 0x7f800001, v2, vcc_lo
; %bb.4720:                             ;   in Loop: Header=BB4_4466 Depth=3
	s_or_b32 exec_lo, exec_lo, s42
.LBB4_4721:                             ;   in Loop: Header=BB4_4466 Depth=3
	s_delay_alu instid0(SALU_CYCLE_1)
	s_or_b32 exec_lo, exec_lo, s15
.LBB4_4722:                             ;   in Loop: Header=BB4_4466 Depth=3
	s_delay_alu instid0(SALU_CYCLE_1) | instskip(SKIP_3) | instid1(VALU_DEP_2)
	s_or_b32 exec_lo, exec_lo, s14
	v_bfe_u32 v5, v9, 24, 2
	v_bfe_u32 v102, v9, 26, 5
	s_mov_b32 s14, exec_lo
	v_clz_i32_u32_e32 v2, v5
	s_delay_alu instid0(VALU_DEP_2) | instskip(NEXT) | instid1(VALU_DEP_2)
	v_cmp_eq_u32_e32 vcc_lo, 0, v102
	v_min_u32_e32 v25, 32, v2
	v_lshrrev_b32_e32 v2, 24, v9
	s_delay_alu instid0(VALU_DEP_2) | instskip(NEXT) | instid1(VALU_DEP_1)
	v_subrev_nc_u32_e32 v12, 29, v25
	v_lshlrev_b64_e32 v[12:13], v12, v[2:3]
	s_delay_alu instid0(VALU_DEP_1) | instskip(SKIP_1) | instid1(VALU_DEP_2)
	v_dual_sub_nc_u32 v13, 30, v25 :: v_dual_bitop2_b32 v12, 3, v12 bitop3:0x40
	v_and_b32_e32 v25, 0x80000000, v9
	v_dual_cndmask_b32 v12, v5, v12 :: v_dual_cndmask_b32 v13, v102, v13
	v_cmp_lt_i64_e32 vcc_lo, -1, v[8:9]
	s_delay_alu instid0(VALU_DEP_2) | instskip(SKIP_2) | instid1(VALU_DEP_3)
	v_lshl_add_u32 v13, v13, 23, v25
	v_cndmask_b32_e32 v25, 0xff800000, v112, vcc_lo
	v_cmp_eq_u32_e32 vcc_lo, 0, v5
	v_lshl_or_b32 v12, v12, 21, v13
	v_and_b32_e32 v13, 0x7c000000, v9
	s_delay_alu instid0(VALU_DEP_4) | instskip(NEXT) | instid1(VALU_DEP_3)
	v_cndmask_b32_e32 v5, 0x7f800001, v25, vcc_lo
	v_add_nc_u32_e32 v12, 0x38000000, v12
	s_delay_alu instid0(VALU_DEP_3) | instskip(NEXT) | instid1(VALU_DEP_2)
	v_cmp_eq_u32_e32 vcc_lo, 0x7c000000, v13
                                        ; implicit-def: $vgpr25
	v_cndmask_b32_e32 v5, v12, v5, vcc_lo
	v_cmp_ne_u32_e32 vcc_lo, 0x80, v2
	s_delay_alu instid0(VALU_DEP_2) | instskip(SKIP_1) | instid1(VALU_DEP_2)
	v_cndmask_b32_e32 v2, 0x80000000, v5, vcc_lo
	v_cmp_lt_u64_e32 vcc_lo, s[22:23], v[8:9]
	v_dual_mov_b32 v9, v3 :: v_dual_cndmask_b32 v2, 0, v2
	s_delay_alu instid0(VALU_DEP_1) | instskip(NEXT) | instid1(VALU_DEP_1)
	v_mul_f32_e32 v4, v2, v4
	v_and_b32_e32 v8, 0x7f800000, v4
	v_and_b32_e32 v2, 0x7fffff, v4
	v_lshrrev_b32_e32 v5, 24, v4
	s_delay_alu instid0(VALU_DEP_3)
	v_cmpx_ne_u64_e32 0x7f800000, v[8:9]
	s_xor_b32 s15, exec_lo, s14
	s_cbranch_execz .LBB4_4736
; %bb.4723:                             ;   in Loop: Header=BB4_4466 Depth=3
	v_and_b32_e32 v8, 0x7fffffff, v4
	v_mov_b32_e32 v9, v3
	v_and_b32_e32 v12, 0x80, v5
                                        ; implicit-def: $vgpr25
	s_mov_b32 s14, exec_lo
	s_delay_alu instid0(VALU_DEP_2)
	v_cmpx_gt_u64_e32 0x47600001, v[8:9]
	s_xor_b32 s42, exec_lo, s14
	s_cbranch_execz .LBB4_4733
; %bb.4724:                             ;   in Loop: Header=BB4_4466 Depth=3
	v_mov_b32_e32 v25, 0
	s_mov_b32 s43, exec_lo
	v_cmpx_ne_u32_e32 0, v4
	s_cbranch_execz .LBB4_4732
; %bb.4725:                             ;   in Loop: Header=BB4_4466 Depth=3
	v_bfe_u32 v13, v4, 23, 8
	v_or_b32_e32 v8, 0x800000, v2
	s_mov_b32 s75, exec_lo
	s_delay_alu instid0(VALU_DEP_2) | instskip(SKIP_1) | instid1(VALU_DEP_2)
	v_dual_mov_b32 v9, v3 :: v_dual_sub_nc_u32 v4, 0x71, v13
	v_cmp_gt_u32_e32 vcc_lo, 0x72, v13
	v_cndmask_b32_e32 v4, 0, v4, vcc_lo
	v_cmp_eq_u32_e32 vcc_lo, 0, v13
	s_delay_alu instid0(VALU_DEP_2) | instskip(NEXT) | instid1(VALU_DEP_1)
	v_cndmask_b32_e64 v25, v4, 0x70, vcc_lo
	v_dual_cndmask_b32 v8, v8, v2, vcc_lo :: v_dual_add_nc_u32 v4, 21, v25
	v_add_nc_u32_e32 v102, 20, v25
	s_delay_alu instid0(VALU_DEP_2) | instskip(NEXT) | instid1(VALU_DEP_2)
	v_lshlrev_b64_e64 v[4:5], v4, -1
	v_lshlrev_b64_e64 v[102:103], v102, 1
	s_delay_alu instid0(VALU_DEP_2) | instskip(NEXT) | instid1(VALU_DEP_3)
	v_bfi_b32 v117, v5, 0, 0
	v_bfi_b32 v116, v4, 0, v8
	v_lshrrev_b64 v[4:5], v25, v[8:9]
	s_delay_alu instid0(VALU_DEP_1) | instskip(NEXT) | instid1(VALU_DEP_3)
	v_mov_b64_e32 v[8:9], v[4:5]
	v_cmpx_eq_u64_e64 v[116:117], v[102:103]
; %bb.4726:                             ;   in Loop: Header=BB4_4466 Depth=3
	v_bfe_u32 v8, v4, 21, 1
	v_mov_b32_e32 v9, v3
	s_delay_alu instid0(VALU_DEP_1) | instskip(NEXT) | instid1(VALU_DEP_1)
	v_add_nc_u64_e32 v[8:9], v[4:5], v[8:9]
	v_add_nc_u64_e32 v[8:9], -1, v[8:9]
; %bb.4727:                             ;   in Loop: Header=BB4_4466 Depth=3
	s_or_b32 exec_lo, exec_lo, s75
	v_add_nc_u32_e32 v2, 0xffffff81, v13
	s_delay_alu instid0(VALU_DEP_2) | instskip(SKIP_2) | instid1(VALU_DEP_3)
	v_and_b32_e32 v8, 0x1fffff, v8
	v_lshrrev_b32_e32 v5, 23, v4
	s_mov_b32 s14, exec_lo
	v_cndmask_b32_e64 v2, v2, 0xffffff82, vcc_lo
	s_delay_alu instid0(VALU_DEP_1) | instskip(SKIP_1) | instid1(VALU_DEP_2)
	v_add3_u32 v9, v25, v2, v5
	v_add_nc_u32_e32 v2, v8, v4
                                        ; implicit-def: $vgpr4_vgpr5
                                        ; implicit-def: $vgpr8
	v_add_nc_u32_e32 v13, 14, v9
	s_delay_alu instid0(VALU_DEP_1)
	v_cmpx_ne_u32_e32 0, v13
	s_xor_b32 s14, exec_lo, s14
; %bb.4728:                             ;   in Loop: Header=BB4_4466 Depth=3
	s_delay_alu instid0(VALU_DEP_3) | instskip(SKIP_1) | instid1(VALU_DEP_1)
	v_cmp_lt_u64_e32 vcc_lo, 0xffffff, v[2:3]
	v_add_nc_u32_e32 v4, 15, v9
	v_cndmask_b32_e32 v8, v13, v4, vcc_lo
	v_cndmask_b32_e64 v4, 0, 1, vcc_lo
	s_delay_alu instid0(VALU_DEP_1)
	v_lshrrev_b64 v[4:5], v4, v[2:3]
; %bb.4729:                             ;   in Loop: Header=BB4_4466 Depth=3
	s_and_not1_saveexec_b32 s14, s14
; %bb.4730:                             ;   in Loop: Header=BB4_4466 Depth=3
	v_mov_b64_e32 v[4:5], v[2:3]
	v_bfe_u32 v8, v2, 23, 1
; %bb.4731:                             ;   in Loop: Header=BB4_4466 Depth=3
	s_or_b32 exec_lo, exec_lo, s14
	s_delay_alu instid0(VALU_DEP_2) | instskip(NEXT) | instid1(VALU_DEP_2)
	v_lshrrev_b64 v[4:5], 21, v[4:5]
	v_cmp_gt_i32_e32 vcc_lo, 32, v8
	v_min_i32_e32 v2, 31, v8
	v_cmp_eq_u32_e64 s14, 0, v8
	s_delay_alu instid0(VALU_DEP_2) | instskip(SKIP_1) | instid1(VALU_DEP_2)
	v_dual_cndmask_b32 v5, 0, v5 :: v_dual_lshlrev_b32 v2, 2, v2
	v_cndmask_b32_e32 v4, 3, v4, vcc_lo
	v_and_b32_e32 v2, 0xfc, v2
	s_delay_alu instid0(VALU_DEP_2) | instskip(NEXT) | instid1(VALU_DEP_2)
	v_cmp_eq_u64_e32 vcc_lo, 0, v[4:5]
	v_and_or_b32 v2, v4, 3, v2
	s_and_b32 s14, s14, vcc_lo
	s_delay_alu instid0(VALU_DEP_1) | instid1(SALU_CYCLE_1)
	v_cndmask_b32_e64 v2, v2, 0, s14
	s_delay_alu instid0(VALU_DEP_1)
	v_or_b32_e32 v25, v2, v12
.LBB4_4732:                             ;   in Loop: Header=BB4_4466 Depth=3
	s_or_b32 exec_lo, exec_lo, s43
                                        ; implicit-def: $vgpr12
.LBB4_4733:                             ;   in Loop: Header=BB4_4466 Depth=3
	s_and_not1_saveexec_b32 s14, s42
; %bb.4734:                             ;   in Loop: Header=BB4_4466 Depth=3
	v_or_b32_e32 v25, 0x7b, v12
; %bb.4735:                             ;   in Loop: Header=BB4_4466 Depth=3
	s_or_b32 exec_lo, exec_lo, s14
                                        ; implicit-def: $vgpr4
                                        ; implicit-def: $vgpr5
.LBB4_4736:                             ;   in Loop: Header=BB4_4466 Depth=3
	s_and_not1_saveexec_b32 s14, s15
	s_cbranch_execz .LBB4_4742
; %bb.4737:                             ;   in Loop: Header=BB4_4466 Depth=3
	s_mov_b32 s15, exec_lo
                                        ; implicit-def: $vgpr25
	v_cmpx_ne_u64_e32 0, v[2:3]
	s_xor_b32 s15, exec_lo, s15
; %bb.4738:                             ;   in Loop: Header=BB4_4466 Depth=3
	v_or_b32_e32 v25, 0x7f, v5
                                        ; implicit-def: $vgpr4
; %bb.4739:                             ;   in Loop: Header=BB4_4466 Depth=3
	s_and_not1_saveexec_b32 s15, s15
; %bb.4740:                             ;   in Loop: Header=BB4_4466 Depth=3
	v_cmp_lt_i32_e32 vcc_lo, -1, v4
	v_cndmask_b32_e32 v25, 0xfc, v113, vcc_lo
; %bb.4741:                             ;   in Loop: Header=BB4_4466 Depth=3
	s_or_b32 exec_lo, exec_lo, s15
.LBB4_4742:                             ;   in Loop: Header=BB4_4466 Depth=3
	s_delay_alu instid0(SALU_CYCLE_1) | instskip(SKIP_1) | instid1(VALU_DEP_1)
	s_or_b32 exec_lo, exec_lo, s14
	v_and_b32_e32 v2, 0xff, v14
	v_cmp_ne_u16_e32 vcc_lo, 0, v2
	v_mov_b32_e32 v2, 0
	s_and_saveexec_b32 s14, vcc_lo
	s_cbranch_execz .LBB4_4752
; %bb.4743:                             ;   in Loop: Header=BB4_4466 Depth=3
	v_bfe_i32 v5, v14, 0, 8
	v_bfrev_b32_e32 v2, 1
	s_mov_b32 s15, exec_lo
	s_delay_alu instid0(VALU_DEP_2)
	v_cmpx_ne_u16_e32 0xff80, v5
	s_cbranch_execz .LBB4_4751
; %bb.4744:                             ;   in Loop: Header=BB4_4466 Depth=3
	v_and_b32_e32 v2, 0x7c, v14
	v_and_b32_e32 v4, 3, v14
	s_delay_alu instid0(VALU_DEP_2) | instskip(SKIP_1) | instid1(SALU_CYCLE_1)
	v_cmp_ne_u32_e32 vcc_lo, 0x7c, v2
                                        ; implicit-def: $vgpr2
	s_and_saveexec_b32 s42, vcc_lo
	s_xor_b32 s42, exec_lo, s42
	s_cbranch_execz .LBB4_4748
; %bb.4745:                             ;   in Loop: Header=BB4_4466 Depth=3
	v_bfe_u32 v2, v14, 2, 5
	s_mov_b32 s43, exec_lo
	s_delay_alu instid0(VALU_DEP_1)
	v_cmpx_eq_u32_e32 0, v2
; %bb.4746:                             ;   in Loop: Header=BB4_4466 Depth=3
	v_clz_i32_u32_e32 v2, v4
	s_delay_alu instid0(VALU_DEP_1) | instskip(NEXT) | instid1(VALU_DEP_1)
	v_min_u32_e32 v2, 32, v2
	v_subrev_nc_u32_e32 v4, 29, v2
	s_delay_alu instid0(VALU_DEP_1) | instskip(NEXT) | instid1(VALU_DEP_1)
	v_lshlrev_b64_e32 v[4:5], v4, v[14:15]
	v_dual_sub_nc_u32 v2, 30, v2 :: v_dual_bitop2_b32 v4, 3, v4 bitop3:0x40
; %bb.4747:                             ;   in Loop: Header=BB4_4466 Depth=3
	s_or_b32 exec_lo, exec_lo, s43
	v_lshlrev_b32_e32 v5, 24, v14
	s_delay_alu instid0(VALU_DEP_1) | instskip(NEXT) | instid1(VALU_DEP_1)
	v_and_b32_e32 v5, 0x80000000, v5
	v_lshl_add_u32 v2, v2, 23, v5
                                        ; implicit-def: $vgpr5
	s_delay_alu instid0(VALU_DEP_1) | instskip(NEXT) | instid1(VALU_DEP_1)
	v_lshl_or_b32 v2, v4, 21, v2
                                        ; implicit-def: $vgpr4
	v_add_nc_u32_e32 v2, 0x38000000, v2
.LBB4_4748:                             ;   in Loop: Header=BB4_4466 Depth=3
	s_and_not1_saveexec_b32 s42, s42
; %bb.4749:                             ;   in Loop: Header=BB4_4466 Depth=3
	v_cmp_lt_i16_e32 vcc_lo, -1, v5
	v_cndmask_b32_e32 v2, 0xff800000, v112, vcc_lo
	v_cmp_eq_u32_e32 vcc_lo, 0, v4
	s_delay_alu instid0(VALU_DEP_2)
	v_cndmask_b32_e32 v2, 0x7f800001, v2, vcc_lo
; %bb.4750:                             ;   in Loop: Header=BB4_4466 Depth=3
	s_or_b32 exec_lo, exec_lo, s42
.LBB4_4751:                             ;   in Loop: Header=BB4_4466 Depth=3
	s_delay_alu instid0(SALU_CYCLE_1)
	s_or_b32 exec_lo, exec_lo, s15
.LBB4_4752:                             ;   in Loop: Header=BB4_4466 Depth=3
	s_delay_alu instid0(SALU_CYCLE_1) | instskip(SKIP_3) | instid1(VALU_DEP_1)
	s_or_b32 exec_lo, exec_lo, s14
	v_and_b32_e32 v5, 0xff, v10
	s_mov_b32 s15, 0
	s_mov_b32 s14, exec_lo
	v_cmpx_lt_i16_e32 0x7f, v5
	s_xor_b32 s14, exec_lo, s14
	s_cbranch_execz .LBB4_5033
; %bb.4753:                             ;   in Loop: Header=BB4_4466 Depth=3
	s_mov_b32 s15, -1
	s_mov_b32 s42, exec_lo
	v_cmpx_eq_u16_e32 0x80, v5
; %bb.4754:                             ;   in Loop: Header=BB4_4466 Depth=3
	s_xor_b32 s15, exec_lo, -1
; %bb.4755:                             ;   in Loop: Header=BB4_4466 Depth=3
	s_or_b32 exec_lo, exec_lo, s42
	s_delay_alu instid0(SALU_CYCLE_1)
	s_and_b32 s15, s15, exec_lo
                                        ; implicit-def: $vgpr5
	s_or_saveexec_b32 s14, s14
	v_bfrev_b32_e32 v4, 1
	s_xor_b32 exec_lo, exec_lo, s14
	s_cbranch_execnz .LBB4_5034
.LBB4_4756:                             ;   in Loop: Header=BB4_4466 Depth=3
	s_or_b32 exec_lo, exec_lo, s14
	s_and_saveexec_b32 s14, s15
	s_cbranch_execz .LBB4_4758
.LBB4_4757:                             ;   in Loop: Header=BB4_4466 Depth=3
	v_and_b32_e32 v8, 3, v10
	v_bfe_u32 v12, v10, 2, 5
	s_delay_alu instid0(VALU_DEP_2) | instskip(NEXT) | instid1(VALU_DEP_2)
	v_clz_i32_u32_e32 v4, v8
	v_cmp_eq_u32_e32 vcc_lo, 0, v12
	s_delay_alu instid0(VALU_DEP_2) | instskip(NEXT) | instid1(VALU_DEP_1)
	v_min_u32_e32 v9, 32, v4
	v_subrev_nc_u32_e32 v4, 29, v9
	s_delay_alu instid0(VALU_DEP_1) | instskip(SKIP_1) | instid1(VALU_DEP_1)
	v_lshlrev_b64_e32 v[4:5], v4, v[10:11]
	v_dual_lshlrev_b32 v5, 24, v10 :: v_dual_sub_nc_u32 v9, 30, v9
	v_and_b32_e32 v5, 0x80000000, v5
	s_delay_alu instid0(VALU_DEP_2) | instskip(SKIP_1) | instid1(VALU_DEP_2)
	v_dual_cndmask_b32 v9, v12, v9, vcc_lo :: v_dual_bitop2_b32 v4, 3, v4 bitop3:0x40
	v_bfe_i32 v12, v10, 0, 8
	v_cndmask_b32_e32 v4, v8, v4, vcc_lo
	s_delay_alu instid0(VALU_DEP_3) | instskip(NEXT) | instid1(VALU_DEP_3)
	v_lshl_add_u32 v5, v9, 23, v5
	v_cmp_lt_i16_e32 vcc_lo, -1, v12
	s_delay_alu instid0(VALU_DEP_2) | instskip(SKIP_3) | instid1(VALU_DEP_4)
	v_lshl_or_b32 v4, v4, 21, v5
	v_cndmask_b32_e32 v9, 0xff800000, v112, vcc_lo
	v_and_b32_e32 v5, 0x7c, v10
	v_cmp_eq_u32_e32 vcc_lo, 0, v8
	v_add_nc_u32_e32 v4, 0x38000000, v4
	s_delay_alu instid0(VALU_DEP_4) | instskip(NEXT) | instid1(VALU_DEP_4)
	v_cndmask_b32_e32 v8, 0x7f800001, v9, vcc_lo
	v_cmp_eq_u32_e32 vcc_lo, 0x7c, v5
	s_delay_alu instid0(VALU_DEP_2)
	v_cndmask_b32_e32 v4, v4, v8, vcc_lo
.LBB4_4758:                             ;   in Loop: Header=BB4_4466 Depth=3
	s_or_b32 exec_lo, exec_lo, s14
	s_delay_alu instid0(VALU_DEP_1) | instskip(SKIP_1) | instid1(VALU_DEP_1)
	v_dual_mul_f32 v4, v2, v4 :: v_dual_mov_b32 v9, v3
                                        ; implicit-def: $vgpr102
	s_mov_b32 s14, exec_lo
	v_and_b32_e32 v8, 0x7f800000, v4
	v_and_b32_e32 v2, 0x7fffff, v4
	v_lshrrev_b32_e32 v5, 24, v4
	s_delay_alu instid0(VALU_DEP_3)
	v_cmpx_ne_u64_e32 0x7f800000, v[8:9]
	s_xor_b32 s15, exec_lo, s14
	s_cbranch_execz .LBB4_4772
; %bb.4759:                             ;   in Loop: Header=BB4_4466 Depth=3
	v_and_b32_e32 v8, 0x7fffffff, v4
	v_mov_b32_e32 v9, v3
	v_and_b32_e32 v12, 0x80, v5
                                        ; implicit-def: $vgpr102
	s_mov_b32 s14, exec_lo
	s_delay_alu instid0(VALU_DEP_2)
	v_cmpx_gt_u64_e32 0x47600001, v[8:9]
	s_xor_b32 s42, exec_lo, s14
	s_cbranch_execz .LBB4_4769
; %bb.4760:                             ;   in Loop: Header=BB4_4466 Depth=3
	v_mov_b32_e32 v102, 0
	s_mov_b32 s43, exec_lo
	v_cmpx_ne_u32_e32 0, v4
	s_cbranch_execz .LBB4_4768
; %bb.4761:                             ;   in Loop: Header=BB4_4466 Depth=3
	v_bfe_u32 v13, v4, 23, 8
	v_or_b32_e32 v8, 0x800000, v2
	s_mov_b32 s75, exec_lo
	s_delay_alu instid0(VALU_DEP_2) | instskip(SKIP_1) | instid1(VALU_DEP_2)
	v_dual_mov_b32 v9, v3 :: v_dual_sub_nc_u32 v4, 0x71, v13
	v_cmp_gt_u32_e32 vcc_lo, 0x72, v13
	v_cndmask_b32_e32 v4, 0, v4, vcc_lo
	v_cmp_eq_u32_e32 vcc_lo, 0, v13
	s_delay_alu instid0(VALU_DEP_2) | instskip(SKIP_1) | instid1(VALU_DEP_2)
	v_cndmask_b32_e64 v102, v4, 0x70, vcc_lo
	v_cndmask_b32_e32 v8, v8, v2, vcc_lo
	v_dual_add_nc_u32 v4, 21, v102 :: v_dual_add_nc_u32 v103, 20, v102
	s_delay_alu instid0(VALU_DEP_1) | instskip(NEXT) | instid1(VALU_DEP_2)
	v_lshlrev_b64_e64 v[4:5], v4, -1
	v_lshlrev_b64_e64 v[116:117], v103, 1
	s_delay_alu instid0(VALU_DEP_2) | instskip(NEXT) | instid1(VALU_DEP_3)
	v_bfi_b32 v45, v5, 0, 0
	v_bfi_b32 v44, v4, 0, v8
	v_lshrrev_b64 v[4:5], v102, v[8:9]
	s_delay_alu instid0(VALU_DEP_1) | instskip(NEXT) | instid1(VALU_DEP_3)
	v_mov_b64_e32 v[8:9], v[4:5]
	v_cmpx_eq_u64_e64 v[44:45], v[116:117]
; %bb.4762:                             ;   in Loop: Header=BB4_4466 Depth=3
	v_bfe_u32 v8, v4, 21, 1
	v_mov_b32_e32 v9, v3
	s_delay_alu instid0(VALU_DEP_1) | instskip(NEXT) | instid1(VALU_DEP_1)
	v_add_nc_u64_e32 v[8:9], v[4:5], v[8:9]
	v_add_nc_u64_e32 v[8:9], -1, v[8:9]
; %bb.4763:                             ;   in Loop: Header=BB4_4466 Depth=3
	s_or_b32 exec_lo, exec_lo, s75
	v_add_nc_u32_e32 v2, 0xffffff81, v13
	s_delay_alu instid0(VALU_DEP_2) | instskip(SKIP_2) | instid1(VALU_DEP_3)
	v_and_b32_e32 v8, 0x1fffff, v8
	v_lshrrev_b32_e32 v5, 23, v4
	s_mov_b32 s14, exec_lo
	v_cndmask_b32_e64 v2, v2, 0xffffff82, vcc_lo
	s_delay_alu instid0(VALU_DEP_1) | instskip(SKIP_1) | instid1(VALU_DEP_2)
	v_add3_u32 v9, v102, v2, v5
	v_add_nc_u32_e32 v2, v8, v4
                                        ; implicit-def: $vgpr4_vgpr5
                                        ; implicit-def: $vgpr8
	v_add_nc_u32_e32 v13, 14, v9
	s_delay_alu instid0(VALU_DEP_1)
	v_cmpx_ne_u32_e32 0, v13
	s_xor_b32 s14, exec_lo, s14
; %bb.4764:                             ;   in Loop: Header=BB4_4466 Depth=3
	s_delay_alu instid0(VALU_DEP_3) | instskip(SKIP_1) | instid1(VALU_DEP_1)
	v_cmp_lt_u64_e32 vcc_lo, 0xffffff, v[2:3]
	v_add_nc_u32_e32 v4, 15, v9
	v_cndmask_b32_e32 v8, v13, v4, vcc_lo
	v_cndmask_b32_e64 v4, 0, 1, vcc_lo
	s_delay_alu instid0(VALU_DEP_1)
	v_lshrrev_b64 v[4:5], v4, v[2:3]
; %bb.4765:                             ;   in Loop: Header=BB4_4466 Depth=3
	s_and_not1_saveexec_b32 s14, s14
; %bb.4766:                             ;   in Loop: Header=BB4_4466 Depth=3
	v_mov_b64_e32 v[4:5], v[2:3]
	v_bfe_u32 v8, v2, 23, 1
; %bb.4767:                             ;   in Loop: Header=BB4_4466 Depth=3
	s_or_b32 exec_lo, exec_lo, s14
	s_delay_alu instid0(VALU_DEP_2) | instskip(NEXT) | instid1(VALU_DEP_2)
	v_lshrrev_b64 v[4:5], 21, v[4:5]
	v_cmp_gt_i32_e32 vcc_lo, 32, v8
	v_min_i32_e32 v2, 31, v8
	v_cmp_eq_u32_e64 s14, 0, v8
	s_delay_alu instid0(VALU_DEP_2) | instskip(SKIP_1) | instid1(VALU_DEP_2)
	v_dual_cndmask_b32 v5, 0, v5 :: v_dual_lshlrev_b32 v2, 2, v2
	v_cndmask_b32_e32 v4, 3, v4, vcc_lo
	v_and_b32_e32 v2, 0xfc, v2
	s_delay_alu instid0(VALU_DEP_2) | instskip(NEXT) | instid1(VALU_DEP_2)
	v_cmp_eq_u64_e32 vcc_lo, 0, v[4:5]
	v_and_or_b32 v2, v4, 3, v2
	s_and_b32 s14, s14, vcc_lo
	s_delay_alu instid0(VALU_DEP_1) | instid1(SALU_CYCLE_1)
	v_cndmask_b32_e64 v2, v2, 0, s14
	s_delay_alu instid0(VALU_DEP_1)
	v_or_b32_e32 v102, v2, v12
.LBB4_4768:                             ;   in Loop: Header=BB4_4466 Depth=3
	s_or_b32 exec_lo, exec_lo, s43
                                        ; implicit-def: $vgpr12
.LBB4_4769:                             ;   in Loop: Header=BB4_4466 Depth=3
	s_and_not1_saveexec_b32 s14, s42
; %bb.4770:                             ;   in Loop: Header=BB4_4466 Depth=3
	v_or_b32_e32 v102, 0x7b, v12
; %bb.4771:                             ;   in Loop: Header=BB4_4466 Depth=3
	s_or_b32 exec_lo, exec_lo, s14
                                        ; implicit-def: $vgpr4
                                        ; implicit-def: $vgpr5
.LBB4_4772:                             ;   in Loop: Header=BB4_4466 Depth=3
	s_and_not1_saveexec_b32 s14, s15
	s_cbranch_execz .LBB4_4778
; %bb.4773:                             ;   in Loop: Header=BB4_4466 Depth=3
	s_mov_b32 s15, exec_lo
                                        ; implicit-def: $vgpr102
	v_cmpx_ne_u64_e32 0, v[2:3]
	s_xor_b32 s15, exec_lo, s15
; %bb.4774:                             ;   in Loop: Header=BB4_4466 Depth=3
	v_or_b32_e32 v102, 0x7f, v5
                                        ; implicit-def: $vgpr4
; %bb.4775:                             ;   in Loop: Header=BB4_4466 Depth=3
	s_and_not1_saveexec_b32 s15, s15
; %bb.4776:                             ;   in Loop: Header=BB4_4466 Depth=3
	v_cmp_lt_i32_e32 vcc_lo, -1, v4
	v_cndmask_b32_e32 v102, 0xfc, v113, vcc_lo
; %bb.4777:                             ;   in Loop: Header=BB4_4466 Depth=3
	s_or_b32 exec_lo, exec_lo, s15
.LBB4_4778:                             ;   in Loop: Header=BB4_4466 Depth=3
	s_delay_alu instid0(SALU_CYCLE_1) | instskip(SKIP_3) | instid1(VALU_DEP_2)
	s_or_b32 exec_lo, exec_lo, s14
	v_lshrrev_b16 v4, 8, v14
	v_mov_b32_e32 v2, 0
	s_mov_b32 s14, exec_lo
	v_cmpx_ne_u16_e32 0, v4
	s_cbranch_execz .LBB4_4788
; %bb.4779:                             ;   in Loop: Header=BB4_4466 Depth=3
	v_bfrev_b32_e32 v2, 1
	s_mov_b32 s15, exec_lo
	v_cmpx_ne_u16_e32 0x80, v4
	s_cbranch_execz .LBB4_4787
; %bb.4780:                             ;   in Loop: Header=BB4_4466 Depth=3
	v_and_b32_e32 v8, 0xffff, v4
	s_delay_alu instid0(VALU_DEP_1) | instskip(SKIP_1) | instid1(VALU_DEP_2)
	v_and_b32_e32 v2, 0x7c, v8
	v_and_b32_e32 v5, 3, v8
	v_cmp_ne_u32_e32 vcc_lo, 0x7c, v2
                                        ; implicit-def: $vgpr2
	s_and_saveexec_b32 s42, vcc_lo
	s_delay_alu instid0(SALU_CYCLE_1)
	s_xor_b32 s42, exec_lo, s42
	s_cbranch_execz .LBB4_4784
; %bb.4781:                             ;   in Loop: Header=BB4_4466 Depth=3
	v_bfe_u32 v2, v8, 2, 5
	s_mov_b32 s43, exec_lo
	s_delay_alu instid0(VALU_DEP_1)
	v_cmpx_eq_u32_e32 0, v2
	s_cbranch_execz .LBB4_4783
; %bb.4782:                             ;   in Loop: Header=BB4_4466 Depth=3
	v_clz_i32_u32_e32 v2, v5
	s_delay_alu instid0(VALU_DEP_1) | instskip(SKIP_1) | instid1(VALU_DEP_2)
	v_min_u32_e32 v2, 32, v2
	v_mov_b32_e32 v5, v3
	v_subrev_nc_u32_e32 v8, 29, v2
	v_sub_nc_u32_e32 v2, 30, v2
	s_delay_alu instid0(VALU_DEP_2) | instskip(NEXT) | instid1(VALU_DEP_1)
	v_lshlrev_b64_e32 v[4:5], v8, v[4:5]
	v_and_b32_e32 v5, 3, v4
.LBB4_4783:                             ;   in Loop: Header=BB4_4466 Depth=3
	s_or_b32 exec_lo, exec_lo, s43
	v_lshlrev_b32_e32 v4, 16, v14
	s_delay_alu instid0(VALU_DEP_1) | instskip(NEXT) | instid1(VALU_DEP_1)
	v_and_b32_e32 v4, 0x80000000, v4
	v_lshl_add_u32 v2, v2, 23, v4
	s_delay_alu instid0(VALU_DEP_1) | instskip(NEXT) | instid1(VALU_DEP_1)
	v_lshl_or_b32 v2, v5, 21, v2
                                        ; implicit-def: $vgpr5
	v_add_nc_u32_e32 v2, 0x38000000, v2
.LBB4_4784:                             ;   in Loop: Header=BB4_4466 Depth=3
	s_and_not1_saveexec_b32 s42, s42
; %bb.4785:                             ;   in Loop: Header=BB4_4466 Depth=3
	v_cmp_lt_i16_e32 vcc_lo, -1, v14
	v_cndmask_b32_e32 v2, 0xff800000, v112, vcc_lo
	v_cmp_eq_u32_e32 vcc_lo, 0, v5
	s_delay_alu instid0(VALU_DEP_2)
	v_cndmask_b32_e32 v2, 0x7f800001, v2, vcc_lo
; %bb.4786:                             ;   in Loop: Header=BB4_4466 Depth=3
	s_or_b32 exec_lo, exec_lo, s42
.LBB4_4787:                             ;   in Loop: Header=BB4_4466 Depth=3
	s_delay_alu instid0(SALU_CYCLE_1)
	s_or_b32 exec_lo, exec_lo, s15
.LBB4_4788:                             ;   in Loop: Header=BB4_4466 Depth=3
	s_delay_alu instid0(SALU_CYCLE_1) | instskip(SKIP_3) | instid1(VALU_DEP_1)
	s_or_b32 exec_lo, exec_lo, s14
	v_lshrrev_b16 v4, 8, v10
	s_mov_b32 s15, 0
	s_mov_b32 s14, exec_lo
	v_cmpx_lt_i16_e32 0x7f, v4
	s_xor_b32 s14, exec_lo, s14
	s_cbranch_execz .LBB4_5035
; %bb.4789:                             ;   in Loop: Header=BB4_4466 Depth=3
	s_mov_b32 s15, -1
	s_mov_b32 s42, exec_lo
	v_cmpx_eq_u16_e32 0x80, v4
; %bb.4790:                             ;   in Loop: Header=BB4_4466 Depth=3
	s_xor_b32 s15, exec_lo, -1
; %bb.4791:                             ;   in Loop: Header=BB4_4466 Depth=3
	s_or_b32 exec_lo, exec_lo, s42
	s_delay_alu instid0(SALU_CYCLE_1)
	s_and_b32 s15, s15, exec_lo
	s_or_saveexec_b32 s14, s14
	v_bfrev_b32_e32 v5, 1
	s_xor_b32 exec_lo, exec_lo, s14
	s_cbranch_execnz .LBB4_5036
.LBB4_4792:                             ;   in Loop: Header=BB4_4466 Depth=3
	s_or_b32 exec_lo, exec_lo, s14
	s_and_saveexec_b32 s14, s15
	s_cbranch_execz .LBB4_4794
.LBB4_4793:                             ;   in Loop: Header=BB4_4466 Depth=3
	v_and_b32_e32 v12, 0xffff, v4
	s_delay_alu instid0(VALU_DEP_1) | instskip(NEXT) | instid1(VALU_DEP_1)
	v_and_b32_e32 v13, 3, v12
	v_clz_i32_u32_e32 v5, v13
	s_delay_alu instid0(VALU_DEP_1) | instskip(SKIP_1) | instid1(VALU_DEP_2)
	v_min_u32_e32 v103, 32, v5
	v_mov_b32_e32 v5, v3
	v_subrev_nc_u32_e32 v8, 29, v103
	s_delay_alu instid0(VALU_DEP_1) | instskip(SKIP_2) | instid1(VALU_DEP_2)
	v_lshlrev_b64_e32 v[8:9], v8, v[4:5]
	v_bfe_u32 v5, v12, 2, 5
	v_dual_lshlrev_b32 v4, 24, v4 :: v_dual_sub_nc_u32 v9, 30, v103
	v_cmp_eq_u32_e32 vcc_lo, 0, v5
	s_delay_alu instid0(VALU_DEP_2) | instskip(NEXT) | instid1(VALU_DEP_3)
	v_and_b32_e32 v4, 0x80000000, v4
	v_dual_cndmask_b32 v5, v5, v9, vcc_lo :: v_dual_bitop2_b32 v8, 3, v8 bitop3:0x40
	s_delay_alu instid0(VALU_DEP_1) | instskip(SKIP_1) | instid1(VALU_DEP_3)
	v_cndmask_b32_e32 v8, v13, v8, vcc_lo
	v_cmp_lt_i16_e32 vcc_lo, -1, v10
	v_lshl_add_u32 v4, v5, 23, v4
	v_cndmask_b32_e32 v5, 0xff800000, v112, vcc_lo
	v_cmp_eq_u32_e32 vcc_lo, 0, v13
	s_delay_alu instid0(VALU_DEP_3) | instskip(SKIP_1) | instid1(VALU_DEP_4)
	v_lshl_or_b32 v4, v8, 21, v4
	v_and_b32_e32 v8, 0x7c, v12
	v_cndmask_b32_e32 v5, 0x7f800001, v5, vcc_lo
	s_delay_alu instid0(VALU_DEP_3) | instskip(NEXT) | instid1(VALU_DEP_3)
	v_add_nc_u32_e32 v4, 0x38000000, v4
	v_cmp_eq_u32_e32 vcc_lo, 0x7c, v8
	s_delay_alu instid0(VALU_DEP_2)
	v_cndmask_b32_e32 v5, v4, v5, vcc_lo
.LBB4_4794:                             ;   in Loop: Header=BB4_4466 Depth=3
	s_or_b32 exec_lo, exec_lo, s14
	s_delay_alu instid0(VALU_DEP_1) | instskip(SKIP_1) | instid1(VALU_DEP_1)
	v_dual_mul_f32 v4, v2, v5 :: v_dual_mov_b32 v9, v3
                                        ; implicit-def: $vgpr103
	s_mov_b32 s14, exec_lo
	v_and_b32_e32 v8, 0x7f800000, v4
	v_and_b32_e32 v2, 0x7fffff, v4
	v_lshrrev_b32_e32 v5, 24, v4
	s_delay_alu instid0(VALU_DEP_3)
	v_cmpx_ne_u64_e32 0x7f800000, v[8:9]
	s_xor_b32 s15, exec_lo, s14
	s_cbranch_execz .LBB4_4808
; %bb.4795:                             ;   in Loop: Header=BB4_4466 Depth=3
	v_and_b32_e32 v8, 0x7fffffff, v4
	v_mov_b32_e32 v9, v3
	v_and_b32_e32 v12, 0x80, v5
                                        ; implicit-def: $vgpr103
	s_mov_b32 s14, exec_lo
	s_delay_alu instid0(VALU_DEP_2)
	v_cmpx_gt_u64_e32 0x47600001, v[8:9]
	s_xor_b32 s42, exec_lo, s14
	s_cbranch_execz .LBB4_4805
; %bb.4796:                             ;   in Loop: Header=BB4_4466 Depth=3
	v_mov_b32_e32 v103, 0
	s_mov_b32 s43, exec_lo
	v_cmpx_ne_u32_e32 0, v4
	s_cbranch_execz .LBB4_4804
; %bb.4797:                             ;   in Loop: Header=BB4_4466 Depth=3
	v_bfe_u32 v13, v4, 23, 8
	v_or_b32_e32 v8, 0x800000, v2
	s_mov_b32 s75, exec_lo
	s_delay_alu instid0(VALU_DEP_2) | instskip(SKIP_1) | instid1(VALU_DEP_2)
	v_dual_mov_b32 v9, v3 :: v_dual_sub_nc_u32 v4, 0x71, v13
	v_cmp_gt_u32_e32 vcc_lo, 0x72, v13
	v_cndmask_b32_e32 v4, 0, v4, vcc_lo
	v_cmp_eq_u32_e32 vcc_lo, 0, v13
	s_delay_alu instid0(VALU_DEP_2) | instskip(NEXT) | instid1(VALU_DEP_1)
	v_cndmask_b32_e64 v103, v4, 0x70, vcc_lo
	v_dual_cndmask_b32 v8, v8, v2, vcc_lo :: v_dual_add_nc_u32 v4, 21, v103
	v_add_nc_u32_e32 v116, 20, v103
	s_delay_alu instid0(VALU_DEP_2) | instskip(NEXT) | instid1(VALU_DEP_2)
	v_lshlrev_b64_e64 v[4:5], v4, -1
	v_lshlrev_b64_e64 v[116:117], v116, 1
	s_delay_alu instid0(VALU_DEP_2) | instskip(NEXT) | instid1(VALU_DEP_3)
	v_bfi_b32 v45, v5, 0, 0
	v_bfi_b32 v44, v4, 0, v8
	v_lshrrev_b64 v[4:5], v103, v[8:9]
	s_delay_alu instid0(VALU_DEP_1) | instskip(NEXT) | instid1(VALU_DEP_3)
	v_mov_b64_e32 v[8:9], v[4:5]
	v_cmpx_eq_u64_e64 v[44:45], v[116:117]
; %bb.4798:                             ;   in Loop: Header=BB4_4466 Depth=3
	v_bfe_u32 v8, v4, 21, 1
	v_mov_b32_e32 v9, v3
	s_delay_alu instid0(VALU_DEP_1) | instskip(NEXT) | instid1(VALU_DEP_1)
	v_add_nc_u64_e32 v[8:9], v[4:5], v[8:9]
	v_add_nc_u64_e32 v[8:9], -1, v[8:9]
; %bb.4799:                             ;   in Loop: Header=BB4_4466 Depth=3
	s_or_b32 exec_lo, exec_lo, s75
	v_add_nc_u32_e32 v2, 0xffffff81, v13
	s_delay_alu instid0(VALU_DEP_2) | instskip(SKIP_2) | instid1(VALU_DEP_3)
	v_and_b32_e32 v8, 0x1fffff, v8
	v_lshrrev_b32_e32 v5, 23, v4
	s_mov_b32 s14, exec_lo
	v_cndmask_b32_e64 v2, v2, 0xffffff82, vcc_lo
	s_delay_alu instid0(VALU_DEP_1) | instskip(SKIP_1) | instid1(VALU_DEP_2)
	v_add3_u32 v9, v103, v2, v5
	v_add_nc_u32_e32 v2, v8, v4
                                        ; implicit-def: $vgpr4_vgpr5
                                        ; implicit-def: $vgpr8
	v_add_nc_u32_e32 v13, 14, v9
	s_delay_alu instid0(VALU_DEP_1)
	v_cmpx_ne_u32_e32 0, v13
	s_xor_b32 s14, exec_lo, s14
; %bb.4800:                             ;   in Loop: Header=BB4_4466 Depth=3
	s_delay_alu instid0(VALU_DEP_3) | instskip(SKIP_1) | instid1(VALU_DEP_1)
	v_cmp_lt_u64_e32 vcc_lo, 0xffffff, v[2:3]
	v_add_nc_u32_e32 v4, 15, v9
	v_cndmask_b32_e32 v8, v13, v4, vcc_lo
	v_cndmask_b32_e64 v4, 0, 1, vcc_lo
	s_delay_alu instid0(VALU_DEP_1)
	v_lshrrev_b64 v[4:5], v4, v[2:3]
; %bb.4801:                             ;   in Loop: Header=BB4_4466 Depth=3
	s_and_not1_saveexec_b32 s14, s14
; %bb.4802:                             ;   in Loop: Header=BB4_4466 Depth=3
	v_mov_b64_e32 v[4:5], v[2:3]
	v_bfe_u32 v8, v2, 23, 1
; %bb.4803:                             ;   in Loop: Header=BB4_4466 Depth=3
	s_or_b32 exec_lo, exec_lo, s14
	s_delay_alu instid0(VALU_DEP_2) | instskip(NEXT) | instid1(VALU_DEP_2)
	v_lshrrev_b64 v[4:5], 21, v[4:5]
	v_cmp_gt_i32_e32 vcc_lo, 32, v8
	v_min_i32_e32 v2, 31, v8
	v_cmp_eq_u32_e64 s14, 0, v8
	s_delay_alu instid0(VALU_DEP_2) | instskip(SKIP_1) | instid1(VALU_DEP_2)
	v_dual_cndmask_b32 v5, 0, v5 :: v_dual_lshlrev_b32 v2, 2, v2
	v_cndmask_b32_e32 v4, 3, v4, vcc_lo
	v_and_b32_e32 v2, 0xfc, v2
	s_delay_alu instid0(VALU_DEP_2) | instskip(NEXT) | instid1(VALU_DEP_2)
	v_cmp_eq_u64_e32 vcc_lo, 0, v[4:5]
	v_and_or_b32 v2, v4, 3, v2
	s_and_b32 s14, s14, vcc_lo
	s_delay_alu instid0(VALU_DEP_1) | instid1(SALU_CYCLE_1)
	v_cndmask_b32_e64 v2, v2, 0, s14
	s_delay_alu instid0(VALU_DEP_1)
	v_or_b32_e32 v103, v2, v12
.LBB4_4804:                             ;   in Loop: Header=BB4_4466 Depth=3
	s_or_b32 exec_lo, exec_lo, s43
                                        ; implicit-def: $vgpr12
.LBB4_4805:                             ;   in Loop: Header=BB4_4466 Depth=3
	s_and_not1_saveexec_b32 s14, s42
; %bb.4806:                             ;   in Loop: Header=BB4_4466 Depth=3
	v_or_b32_e32 v103, 0x7b, v12
; %bb.4807:                             ;   in Loop: Header=BB4_4466 Depth=3
	s_or_b32 exec_lo, exec_lo, s14
                                        ; implicit-def: $vgpr4
                                        ; implicit-def: $vgpr5
.LBB4_4808:                             ;   in Loop: Header=BB4_4466 Depth=3
	s_and_not1_saveexec_b32 s14, s15
	s_cbranch_execz .LBB4_4814
; %bb.4809:                             ;   in Loop: Header=BB4_4466 Depth=3
	s_mov_b32 s15, exec_lo
                                        ; implicit-def: $vgpr103
	v_cmpx_ne_u64_e32 0, v[2:3]
	s_xor_b32 s15, exec_lo, s15
; %bb.4810:                             ;   in Loop: Header=BB4_4466 Depth=3
	v_or_b32_e32 v103, 0x7f, v5
                                        ; implicit-def: $vgpr4
; %bb.4811:                             ;   in Loop: Header=BB4_4466 Depth=3
	s_and_not1_saveexec_b32 s15, s15
; %bb.4812:                             ;   in Loop: Header=BB4_4466 Depth=3
	v_cmp_lt_i32_e32 vcc_lo, -1, v4
	v_cndmask_b32_e32 v103, 0xfc, v113, vcc_lo
; %bb.4813:                             ;   in Loop: Header=BB4_4466 Depth=3
	s_or_b32 exec_lo, exec_lo, s15
.LBB4_4814:                             ;   in Loop: Header=BB4_4466 Depth=3
	s_delay_alu instid0(SALU_CYCLE_1) | instskip(SKIP_2) | instid1(VALU_DEP_1)
	s_or_b32 exec_lo, exec_lo, s14
	v_dual_lshrrev_b32 v2, 16, v14 :: v_dual_mov_b32 v4, 0
	s_mov_b32 s14, exec_lo
	v_and_b32_e32 v5, 0xff, v2
	s_delay_alu instid0(VALU_DEP_1)
	v_cmpx_ne_u16_e32 0, v5
	s_cbranch_execz .LBB4_4824
; %bb.4815:                             ;   in Loop: Header=BB4_4466 Depth=3
	v_bfrev_b32_e32 v4, 1
	s_mov_b32 s15, exec_lo
	v_cmpx_ne_u16_e32 0x80, v5
	s_cbranch_execz .LBB4_4823
; %bb.4816:                             ;   in Loop: Header=BB4_4466 Depth=3
	v_and_b32_e32 v4, 0x7c0000, v14
	v_bfe_u32 v5, v14, 16, 2
	s_delay_alu instid0(VALU_DEP_2) | instskip(SKIP_1) | instid1(SALU_CYCLE_1)
	v_cmp_ne_u32_e32 vcc_lo, 0x7c0000, v4
                                        ; implicit-def: $vgpr4
	s_and_saveexec_b32 s42, vcc_lo
	s_xor_b32 s42, exec_lo, s42
	s_cbranch_execz .LBB4_4820
; %bb.4817:                             ;   in Loop: Header=BB4_4466 Depth=3
	v_bfe_u32 v4, v14, 18, 5
	s_mov_b32 s43, exec_lo
	s_delay_alu instid0(VALU_DEP_1)
	v_cmpx_eq_u32_e32 0, v4
; %bb.4818:                             ;   in Loop: Header=BB4_4466 Depth=3
	v_clz_i32_u32_e32 v4, v5
	s_delay_alu instid0(VALU_DEP_1) | instskip(NEXT) | instid1(VALU_DEP_1)
	v_min_u32_e32 v4, 32, v4
	v_subrev_nc_u32_e32 v5, 29, v4
	v_sub_nc_u32_e32 v4, 30, v4
	s_delay_alu instid0(VALU_DEP_2) | instskip(NEXT) | instid1(VALU_DEP_1)
	v_lshlrev_b64_e32 v[8:9], v5, v[2:3]
	v_and_b32_e32 v5, 3, v8
; %bb.4819:                             ;   in Loop: Header=BB4_4466 Depth=3
	s_or_b32 exec_lo, exec_lo, s43
	v_lshlrev_b32_e32 v2, 24, v2
	s_delay_alu instid0(VALU_DEP_1) | instskip(NEXT) | instid1(VALU_DEP_1)
	v_and_b32_e32 v2, 0x80000000, v2
	v_lshl_add_u32 v2, v4, 23, v2
	s_delay_alu instid0(VALU_DEP_1) | instskip(NEXT) | instid1(VALU_DEP_1)
	v_lshl_or_b32 v2, v5, 21, v2
                                        ; implicit-def: $vgpr5
	v_add_nc_u32_e32 v4, 0x38000000, v2
                                        ; implicit-def: $vgpr2
.LBB4_4820:                             ;   in Loop: Header=BB4_4466 Depth=3
	s_and_not1_saveexec_b32 s42, s42
; %bb.4821:                             ;   in Loop: Header=BB4_4466 Depth=3
	v_bfe_i32 v2, v2, 0, 8
	s_delay_alu instid0(VALU_DEP_1) | instskip(SKIP_2) | instid1(VALU_DEP_2)
	v_cmp_lt_i16_e32 vcc_lo, -1, v2
	v_cndmask_b32_e32 v2, 0xff800000, v112, vcc_lo
	v_cmp_eq_u32_e32 vcc_lo, 0, v5
	v_cndmask_b32_e32 v4, 0x7f800001, v2, vcc_lo
; %bb.4822:                             ;   in Loop: Header=BB4_4466 Depth=3
	s_or_b32 exec_lo, exec_lo, s42
.LBB4_4823:                             ;   in Loop: Header=BB4_4466 Depth=3
	s_delay_alu instid0(SALU_CYCLE_1)
	s_or_b32 exec_lo, exec_lo, s15
.LBB4_4824:                             ;   in Loop: Header=BB4_4466 Depth=3
	s_delay_alu instid0(SALU_CYCLE_1) | instskip(SKIP_3) | instid1(VALU_DEP_1)
	s_or_b32 exec_lo, exec_lo, s14
	v_lshrrev_b32_e32 v2, 16, v10
	s_mov_b32 s15, 0
	s_mov_b32 s14, exec_lo
	v_and_b32_e32 v8, 0xff, v2
	s_delay_alu instid0(VALU_DEP_1)
	v_cmpx_lt_i16_e32 0x7f, v8
	s_xor_b32 s14, exec_lo, s14
	s_cbranch_execz .LBB4_5037
; %bb.4825:                             ;   in Loop: Header=BB4_4466 Depth=3
	s_mov_b32 s15, -1
	s_mov_b32 s42, exec_lo
	v_cmpx_eq_u16_e32 0x80, v8
; %bb.4826:                             ;   in Loop: Header=BB4_4466 Depth=3
	s_xor_b32 s15, exec_lo, -1
; %bb.4827:                             ;   in Loop: Header=BB4_4466 Depth=3
	s_or_b32 exec_lo, exec_lo, s42
	s_delay_alu instid0(SALU_CYCLE_1)
	s_and_b32 s15, s15, exec_lo
                                        ; implicit-def: $vgpr8
	s_or_saveexec_b32 s14, s14
	v_bfrev_b32_e32 v5, 1
	s_xor_b32 exec_lo, exec_lo, s14
	s_cbranch_execnz .LBB4_5038
.LBB4_4828:                             ;   in Loop: Header=BB4_4466 Depth=3
	s_or_b32 exec_lo, exec_lo, s14
	s_and_saveexec_b32 s14, s15
	s_cbranch_execz .LBB4_4830
.LBB4_4829:                             ;   in Loop: Header=BB4_4466 Depth=3
	v_and_b32_e32 v5, 3, v2
	v_bfe_u32 v13, v10, 18, 5
	s_delay_alu instid0(VALU_DEP_2) | instskip(NEXT) | instid1(VALU_DEP_2)
	v_clz_i32_u32_e32 v8, v5
	v_cmp_eq_u32_e32 vcc_lo, 0, v13
	s_delay_alu instid0(VALU_DEP_2) | instskip(NEXT) | instid1(VALU_DEP_1)
	v_min_u32_e32 v12, 32, v8
	v_subrev_nc_u32_e32 v8, 29, v12
	v_sub_nc_u32_e32 v12, 30, v12
	s_delay_alu instid0(VALU_DEP_2) | instskip(NEXT) | instid1(VALU_DEP_2)
	v_lshlrev_b64_e32 v[8:9], v8, v[2:3]
	v_dual_cndmask_b32 v12, v13, v12 :: v_dual_lshlrev_b32 v9, 24, v2
	v_bfe_i32 v2, v2, 0, 8
	s_delay_alu instid0(VALU_DEP_2) | instskip(NEXT) | instid1(VALU_DEP_4)
	v_and_b32_e32 v9, 0x80000000, v9
	v_and_b32_e32 v8, 3, v8
	s_delay_alu instid0(VALU_DEP_2) | instskip(NEXT) | instid1(VALU_DEP_2)
	v_lshl_add_u32 v9, v12, 23, v9
	v_cndmask_b32_e32 v8, v5, v8, vcc_lo
	v_cmp_lt_i16_e32 vcc_lo, -1, v2
	s_delay_alu instid0(VALU_DEP_2) | instskip(SKIP_3) | instid1(VALU_DEP_4)
	v_lshl_or_b32 v8, v8, 21, v9
	v_cndmask_b32_e32 v2, 0xff800000, v112, vcc_lo
	v_and_b32_e32 v9, 0x7c0000, v10
	v_cmp_eq_u32_e32 vcc_lo, 0, v5
	v_add_nc_u32_e32 v5, 0x38000000, v8
	s_delay_alu instid0(VALU_DEP_4) | instskip(NEXT) | instid1(VALU_DEP_4)
	v_cndmask_b32_e32 v2, 0x7f800001, v2, vcc_lo
	v_cmp_eq_u32_e32 vcc_lo, 0x7c0000, v9
	s_delay_alu instid0(VALU_DEP_2)
	v_cndmask_b32_e32 v5, v5, v2, vcc_lo
.LBB4_4830:                             ;   in Loop: Header=BB4_4466 Depth=3
	s_or_b32 exec_lo, exec_lo, s14
	s_delay_alu instid0(VALU_DEP_1) | instskip(SKIP_1) | instid1(VALU_DEP_1)
	v_dual_mul_f32 v4, v4, v5 :: v_dual_mov_b32 v9, v3
                                        ; implicit-def: $vgpr116
	s_mov_b32 s14, exec_lo
	v_and_b32_e32 v8, 0x7f800000, v4
	v_and_b32_e32 v2, 0x7fffff, v4
	v_lshrrev_b32_e32 v5, 24, v4
	s_delay_alu instid0(VALU_DEP_3)
	v_cmpx_ne_u64_e32 0x7f800000, v[8:9]
	s_xor_b32 s15, exec_lo, s14
	s_cbranch_execz .LBB4_4844
; %bb.4831:                             ;   in Loop: Header=BB4_4466 Depth=3
	v_and_b32_e32 v8, 0x7fffffff, v4
	v_mov_b32_e32 v9, v3
	v_and_b32_e32 v12, 0x80, v5
                                        ; implicit-def: $vgpr116
	s_mov_b32 s14, exec_lo
	s_delay_alu instid0(VALU_DEP_2)
	v_cmpx_gt_u64_e32 0x47600001, v[8:9]
	s_xor_b32 s42, exec_lo, s14
	s_cbranch_execz .LBB4_4841
; %bb.4832:                             ;   in Loop: Header=BB4_4466 Depth=3
	v_mov_b32_e32 v116, 0
	s_mov_b32 s43, exec_lo
	v_cmpx_ne_u32_e32 0, v4
	s_cbranch_execz .LBB4_4840
; %bb.4833:                             ;   in Loop: Header=BB4_4466 Depth=3
	v_bfe_u32 v13, v4, 23, 8
	v_or_b32_e32 v8, 0x800000, v2
	s_mov_b32 s75, exec_lo
	s_delay_alu instid0(VALU_DEP_2) | instskip(SKIP_1) | instid1(VALU_DEP_2)
	v_dual_mov_b32 v9, v3 :: v_dual_sub_nc_u32 v4, 0x71, v13
	v_cmp_gt_u32_e32 vcc_lo, 0x72, v13
	v_cndmask_b32_e32 v4, 0, v4, vcc_lo
	v_cmp_eq_u32_e32 vcc_lo, 0, v13
	v_cndmask_b32_e32 v8, v8, v2, vcc_lo
	s_delay_alu instid0(VALU_DEP_3) | instskip(NEXT) | instid1(VALU_DEP_1)
	v_cndmask_b32_e64 v116, v4, 0x70, vcc_lo
	v_dual_add_nc_u32 v4, 21, v116 :: v_dual_add_nc_u32 v117, 20, v116
	s_delay_alu instid0(VALU_DEP_1) | instskip(NEXT) | instid1(VALU_DEP_2)
	v_lshlrev_b64_e64 v[4:5], v4, -1
	v_lshlrev_b64_e64 v[44:45], v117, 1
	s_delay_alu instid0(VALU_DEP_2) | instskip(NEXT) | instid1(VALU_DEP_3)
	v_bfi_b32 v47, v5, 0, 0
	v_bfi_b32 v46, v4, 0, v8
	v_lshrrev_b64 v[4:5], v116, v[8:9]
	s_delay_alu instid0(VALU_DEP_1) | instskip(NEXT) | instid1(VALU_DEP_3)
	v_mov_b64_e32 v[8:9], v[4:5]
	v_cmpx_eq_u64_e64 v[46:47], v[44:45]
; %bb.4834:                             ;   in Loop: Header=BB4_4466 Depth=3
	v_bfe_u32 v8, v4, 21, 1
	v_mov_b32_e32 v9, v3
	s_delay_alu instid0(VALU_DEP_1) | instskip(NEXT) | instid1(VALU_DEP_1)
	v_add_nc_u64_e32 v[8:9], v[4:5], v[8:9]
	v_add_nc_u64_e32 v[8:9], -1, v[8:9]
; %bb.4835:                             ;   in Loop: Header=BB4_4466 Depth=3
	s_or_b32 exec_lo, exec_lo, s75
	v_add_nc_u32_e32 v2, 0xffffff81, v13
	s_delay_alu instid0(VALU_DEP_2) | instskip(SKIP_2) | instid1(VALU_DEP_3)
	v_and_b32_e32 v8, 0x1fffff, v8
	v_lshrrev_b32_e32 v5, 23, v4
	s_mov_b32 s14, exec_lo
	v_cndmask_b32_e64 v2, v2, 0xffffff82, vcc_lo
	s_delay_alu instid0(VALU_DEP_1) | instskip(SKIP_1) | instid1(VALU_DEP_2)
	v_add3_u32 v9, v116, v2, v5
	v_add_nc_u32_e32 v2, v8, v4
                                        ; implicit-def: $vgpr4_vgpr5
                                        ; implicit-def: $vgpr8
	v_add_nc_u32_e32 v13, 14, v9
	s_delay_alu instid0(VALU_DEP_1)
	v_cmpx_ne_u32_e32 0, v13
	s_xor_b32 s14, exec_lo, s14
; %bb.4836:                             ;   in Loop: Header=BB4_4466 Depth=3
	s_delay_alu instid0(VALU_DEP_3) | instskip(SKIP_1) | instid1(VALU_DEP_1)
	v_cmp_lt_u64_e32 vcc_lo, 0xffffff, v[2:3]
	v_add_nc_u32_e32 v4, 15, v9
	v_cndmask_b32_e32 v8, v13, v4, vcc_lo
	v_cndmask_b32_e64 v4, 0, 1, vcc_lo
	s_delay_alu instid0(VALU_DEP_1)
	v_lshrrev_b64 v[4:5], v4, v[2:3]
; %bb.4837:                             ;   in Loop: Header=BB4_4466 Depth=3
	s_and_not1_saveexec_b32 s14, s14
; %bb.4838:                             ;   in Loop: Header=BB4_4466 Depth=3
	v_mov_b64_e32 v[4:5], v[2:3]
	v_bfe_u32 v8, v2, 23, 1
; %bb.4839:                             ;   in Loop: Header=BB4_4466 Depth=3
	s_or_b32 exec_lo, exec_lo, s14
	s_delay_alu instid0(VALU_DEP_2) | instskip(NEXT) | instid1(VALU_DEP_2)
	v_lshrrev_b64 v[4:5], 21, v[4:5]
	v_cmp_gt_i32_e32 vcc_lo, 32, v8
	v_min_i32_e32 v2, 31, v8
	v_cmp_eq_u32_e64 s14, 0, v8
	s_delay_alu instid0(VALU_DEP_2) | instskip(SKIP_1) | instid1(VALU_DEP_2)
	v_dual_cndmask_b32 v5, 0, v5 :: v_dual_lshlrev_b32 v2, 2, v2
	v_cndmask_b32_e32 v4, 3, v4, vcc_lo
	v_and_b32_e32 v2, 0xfc, v2
	s_delay_alu instid0(VALU_DEP_2) | instskip(NEXT) | instid1(VALU_DEP_2)
	v_cmp_eq_u64_e32 vcc_lo, 0, v[4:5]
	v_and_or_b32 v2, v4, 3, v2
	s_and_b32 s14, s14, vcc_lo
	s_delay_alu instid0(VALU_DEP_1) | instid1(SALU_CYCLE_1)
	v_cndmask_b32_e64 v2, v2, 0, s14
	s_delay_alu instid0(VALU_DEP_1)
	v_or_b32_e32 v116, v2, v12
.LBB4_4840:                             ;   in Loop: Header=BB4_4466 Depth=3
	s_or_b32 exec_lo, exec_lo, s43
                                        ; implicit-def: $vgpr12
.LBB4_4841:                             ;   in Loop: Header=BB4_4466 Depth=3
	s_and_not1_saveexec_b32 s14, s42
; %bb.4842:                             ;   in Loop: Header=BB4_4466 Depth=3
	v_or_b32_e32 v116, 0x7b, v12
; %bb.4843:                             ;   in Loop: Header=BB4_4466 Depth=3
	s_or_b32 exec_lo, exec_lo, s14
                                        ; implicit-def: $vgpr4
                                        ; implicit-def: $vgpr5
.LBB4_4844:                             ;   in Loop: Header=BB4_4466 Depth=3
	s_and_not1_saveexec_b32 s14, s15
	s_cbranch_execz .LBB4_4850
; %bb.4845:                             ;   in Loop: Header=BB4_4466 Depth=3
	s_mov_b32 s15, exec_lo
                                        ; implicit-def: $vgpr116
	v_cmpx_ne_u64_e32 0, v[2:3]
	s_xor_b32 s15, exec_lo, s15
; %bb.4846:                             ;   in Loop: Header=BB4_4466 Depth=3
	v_or_b32_e32 v116, 0x7f, v5
                                        ; implicit-def: $vgpr4
; %bb.4847:                             ;   in Loop: Header=BB4_4466 Depth=3
	s_and_not1_saveexec_b32 s15, s15
; %bb.4848:                             ;   in Loop: Header=BB4_4466 Depth=3
	v_cmp_lt_i32_e32 vcc_lo, -1, v4
	v_cndmask_b32_e32 v116, 0xfc, v113, vcc_lo
; %bb.4849:                             ;   in Loop: Header=BB4_4466 Depth=3
	s_or_b32 exec_lo, exec_lo, s15
.LBB4_4850:                             ;   in Loop: Header=BB4_4466 Depth=3
	s_delay_alu instid0(SALU_CYCLE_1)
	s_or_b32 exec_lo, exec_lo, s14
	v_mov_b32_e32 v4, 0
	s_mov_b32 s14, exec_lo
	v_cmpx_lt_u32_e32 0xffffff, v14
	s_cbranch_execz .LBB4_4860
; %bb.4851:                             ;   in Loop: Header=BB4_4466 Depth=3
	v_lshrrev_b32_e32 v2, 24, v14
	v_bfrev_b32_e32 v4, 1
	s_mov_b32 s15, exec_lo
	s_delay_alu instid0(VALU_DEP_2)
	v_cmpx_ne_u32_e32 0x80, v2
	s_cbranch_execz .LBB4_4859
; %bb.4852:                             ;   in Loop: Header=BB4_4466 Depth=3
	v_and_b32_e32 v4, 0x7c000000, v14
	v_bfe_u32 v5, v14, 24, 2
	s_delay_alu instid0(VALU_DEP_2) | instskip(SKIP_1) | instid1(SALU_CYCLE_1)
	v_cmp_ne_u32_e32 vcc_lo, 0x7c000000, v4
                                        ; implicit-def: $vgpr4
	s_and_saveexec_b32 s42, vcc_lo
	s_xor_b32 s42, exec_lo, s42
	s_cbranch_execz .LBB4_4856
; %bb.4853:                             ;   in Loop: Header=BB4_4466 Depth=3
	v_bfe_u32 v4, v14, 26, 5
	s_mov_b32 s43, exec_lo
	s_delay_alu instid0(VALU_DEP_1)
	v_cmpx_eq_u32_e32 0, v4
; %bb.4854:                             ;   in Loop: Header=BB4_4466 Depth=3
	v_clz_i32_u32_e32 v4, v5
	s_delay_alu instid0(VALU_DEP_1) | instskip(NEXT) | instid1(VALU_DEP_1)
	v_min_u32_e32 v4, 32, v4
	v_subrev_nc_u32_e32 v5, 29, v4
	v_sub_nc_u32_e32 v4, 30, v4
	s_delay_alu instid0(VALU_DEP_2) | instskip(NEXT) | instid1(VALU_DEP_1)
	v_lshlrev_b64_e32 v[8:9], v5, v[2:3]
	v_and_b32_e32 v5, 3, v8
; %bb.4855:                             ;   in Loop: Header=BB4_4466 Depth=3
	s_or_b32 exec_lo, exec_lo, s43
	v_and_b32_e32 v2, 0x80000000, v14
	s_delay_alu instid0(VALU_DEP_1) | instskip(NEXT) | instid1(VALU_DEP_1)
	v_lshl_add_u32 v2, v4, 23, v2
	v_lshl_or_b32 v2, v5, 21, v2
                                        ; implicit-def: $vgpr5
	s_delay_alu instid0(VALU_DEP_1)
	v_add_nc_u32_e32 v4, 0x38000000, v2
.LBB4_4856:                             ;   in Loop: Header=BB4_4466 Depth=3
	s_and_not1_saveexec_b32 s42, s42
; %bb.4857:                             ;   in Loop: Header=BB4_4466 Depth=3
	v_cmp_lt_i32_e32 vcc_lo, -1, v14
	v_cndmask_b32_e32 v2, 0xff800000, v112, vcc_lo
	v_cmp_eq_u32_e32 vcc_lo, 0, v5
	s_delay_alu instid0(VALU_DEP_2)
	v_cndmask_b32_e32 v4, 0x7f800001, v2, vcc_lo
; %bb.4858:                             ;   in Loop: Header=BB4_4466 Depth=3
	s_or_b32 exec_lo, exec_lo, s42
.LBB4_4859:                             ;   in Loop: Header=BB4_4466 Depth=3
	s_delay_alu instid0(SALU_CYCLE_1)
	s_or_b32 exec_lo, exec_lo, s15
.LBB4_4860:                             ;   in Loop: Header=BB4_4466 Depth=3
	s_delay_alu instid0(SALU_CYCLE_1) | instskip(SKIP_3) | instid1(VALU_DEP_2)
	s_or_b32 exec_lo, exec_lo, s14
	v_bfe_u32 v5, v10, 24, 2
	v_bfe_u32 v13, v10, 26, 5
                                        ; implicit-def: $vgpr117
	s_mov_b32 s14, exec_lo
	v_clz_i32_u32_e32 v2, v5
	s_delay_alu instid0(VALU_DEP_2) | instskip(NEXT) | instid1(VALU_DEP_2)
	v_cmp_eq_u32_e32 vcc_lo, 0, v13
	v_min_u32_e32 v12, 32, v2
	v_lshrrev_b32_e32 v2, 24, v10
	s_delay_alu instid0(VALU_DEP_2) | instskip(NEXT) | instid1(VALU_DEP_1)
	v_subrev_nc_u32_e32 v8, 29, v12
	v_lshlrev_b64_e32 v[8:9], v8, v[2:3]
	v_sub_nc_u32_e32 v9, 30, v12
	v_and_b32_e32 v12, 0x80000000, v10
	s_delay_alu instid0(VALU_DEP_2) | instskip(NEXT) | instid1(VALU_DEP_1)
	v_dual_cndmask_b32 v9, v13, v9, vcc_lo :: v_dual_bitop2_b32 v8, 3, v8 bitop3:0x40
	v_lshl_add_u32 v9, v9, 23, v12
	s_delay_alu instid0(VALU_DEP_2) | instskip(SKIP_1) | instid1(VALU_DEP_2)
	v_cndmask_b32_e32 v8, v5, v8, vcc_lo
	v_cmp_lt_i32_e32 vcc_lo, -1, v10
	v_lshl_or_b32 v8, v8, 21, v9
	v_cndmask_b32_e32 v12, 0xff800000, v112, vcc_lo
	v_and_b32_e32 v9, 0x7c000000, v10
	v_cmp_eq_u32_e32 vcc_lo, 0, v5
	s_delay_alu instid0(VALU_DEP_4) | instskip(NEXT) | instid1(VALU_DEP_4)
	v_add_nc_u32_e32 v8, 0x38000000, v8
	v_cndmask_b32_e32 v5, 0x7f800001, v12, vcc_lo
	s_delay_alu instid0(VALU_DEP_4) | instskip(NEXT) | instid1(VALU_DEP_2)
	v_cmp_eq_u32_e32 vcc_lo, 0x7c000000, v9
	v_dual_mov_b32 v9, v3 :: v_dual_cndmask_b32 v5, v8, v5, vcc_lo
	v_cmp_ne_u32_e32 vcc_lo, 0x80, v2
	s_delay_alu instid0(VALU_DEP_2) | instskip(SKIP_1) | instid1(VALU_DEP_2)
	v_cndmask_b32_e32 v2, 0x80000000, v5, vcc_lo
	v_cmp_lt_u32_e32 vcc_lo, 0xffffff, v10
	v_cndmask_b32_e32 v2, 0, v2, vcc_lo
	s_delay_alu instid0(VALU_DEP_1) | instskip(NEXT) | instid1(VALU_DEP_1)
	v_mul_f32_e32 v4, v2, v4
	v_and_b32_e32 v8, 0x7f800000, v4
	v_and_b32_e32 v2, 0x7fffff, v4
	v_lshrrev_b32_e32 v5, 24, v4
	s_delay_alu instid0(VALU_DEP_3)
	v_cmpx_ne_u64_e32 0x7f800000, v[8:9]
	s_xor_b32 s15, exec_lo, s14
	s_cbranch_execz .LBB4_4874
; %bb.4861:                             ;   in Loop: Header=BB4_4466 Depth=3
	v_and_b32_e32 v8, 0x7fffffff, v4
	v_mov_b32_e32 v9, v3
	v_and_b32_e32 v12, 0x80, v5
                                        ; implicit-def: $vgpr117
	s_mov_b32 s14, exec_lo
	s_delay_alu instid0(VALU_DEP_2)
	v_cmpx_gt_u64_e32 0x47600001, v[8:9]
	s_xor_b32 s42, exec_lo, s14
	s_cbranch_execz .LBB4_4871
; %bb.4862:                             ;   in Loop: Header=BB4_4466 Depth=3
	v_mov_b32_e32 v117, 0
	s_mov_b32 s43, exec_lo
	v_cmpx_ne_u32_e32 0, v4
	s_cbranch_execz .LBB4_4870
; %bb.4863:                             ;   in Loop: Header=BB4_4466 Depth=3
	v_bfe_u32 v13, v4, 23, 8
	v_or_b32_e32 v8, 0x800000, v2
	s_mov_b32 s75, exec_lo
	s_delay_alu instid0(VALU_DEP_2) | instskip(SKIP_1) | instid1(VALU_DEP_2)
	v_dual_mov_b32 v9, v3 :: v_dual_sub_nc_u32 v4, 0x71, v13
	v_cmp_gt_u32_e32 vcc_lo, 0x72, v13
	v_cndmask_b32_e32 v4, 0, v4, vcc_lo
	v_cmp_eq_u32_e32 vcc_lo, 0, v13
	s_delay_alu instid0(VALU_DEP_2) | instskip(NEXT) | instid1(VALU_DEP_1)
	v_cndmask_b32_e64 v117, v4, 0x70, vcc_lo
	v_dual_cndmask_b32 v8, v8, v2, vcc_lo :: v_dual_add_nc_u32 v4, 21, v117
	v_add_nc_u32_e32 v41, 20, v117
	s_delay_alu instid0(VALU_DEP_2) | instskip(NEXT) | instid1(VALU_DEP_2)
	v_lshlrev_b64_e64 v[4:5], v4, -1
	v_lshlrev_b64_e64 v[44:45], v41, 1
	s_delay_alu instid0(VALU_DEP_2) | instskip(NEXT) | instid1(VALU_DEP_3)
	v_bfi_b32 v47, v5, 0, 0
	v_bfi_b32 v46, v4, 0, v8
	v_lshrrev_b64 v[4:5], v117, v[8:9]
	s_delay_alu instid0(VALU_DEP_1) | instskip(NEXT) | instid1(VALU_DEP_3)
	v_mov_b64_e32 v[8:9], v[4:5]
	v_cmpx_eq_u64_e64 v[46:47], v[44:45]
; %bb.4864:                             ;   in Loop: Header=BB4_4466 Depth=3
	v_bfe_u32 v8, v4, 21, 1
	v_mov_b32_e32 v9, v3
	s_delay_alu instid0(VALU_DEP_1) | instskip(NEXT) | instid1(VALU_DEP_1)
	v_add_nc_u64_e32 v[8:9], v[4:5], v[8:9]
	v_add_nc_u64_e32 v[8:9], -1, v[8:9]
; %bb.4865:                             ;   in Loop: Header=BB4_4466 Depth=3
	s_or_b32 exec_lo, exec_lo, s75
	v_add_nc_u32_e32 v2, 0xffffff81, v13
	s_delay_alu instid0(VALU_DEP_2) | instskip(SKIP_2) | instid1(VALU_DEP_3)
	v_and_b32_e32 v8, 0x1fffff, v8
	v_lshrrev_b32_e32 v5, 23, v4
	s_mov_b32 s14, exec_lo
	v_cndmask_b32_e64 v2, v2, 0xffffff82, vcc_lo
	s_delay_alu instid0(VALU_DEP_1) | instskip(SKIP_1) | instid1(VALU_DEP_2)
	v_add3_u32 v9, v117, v2, v5
	v_add_nc_u32_e32 v2, v8, v4
                                        ; implicit-def: $vgpr4_vgpr5
                                        ; implicit-def: $vgpr8
	v_add_nc_u32_e32 v13, 14, v9
	s_delay_alu instid0(VALU_DEP_1)
	v_cmpx_ne_u32_e32 0, v13
	s_xor_b32 s14, exec_lo, s14
; %bb.4866:                             ;   in Loop: Header=BB4_4466 Depth=3
	s_delay_alu instid0(VALU_DEP_3) | instskip(SKIP_1) | instid1(VALU_DEP_1)
	v_cmp_lt_u64_e32 vcc_lo, 0xffffff, v[2:3]
	v_add_nc_u32_e32 v4, 15, v9
	v_cndmask_b32_e32 v8, v13, v4, vcc_lo
	v_cndmask_b32_e64 v4, 0, 1, vcc_lo
	s_delay_alu instid0(VALU_DEP_1)
	v_lshrrev_b64 v[4:5], v4, v[2:3]
; %bb.4867:                             ;   in Loop: Header=BB4_4466 Depth=3
	s_and_not1_saveexec_b32 s14, s14
; %bb.4868:                             ;   in Loop: Header=BB4_4466 Depth=3
	v_mov_b64_e32 v[4:5], v[2:3]
	v_bfe_u32 v8, v2, 23, 1
; %bb.4869:                             ;   in Loop: Header=BB4_4466 Depth=3
	s_or_b32 exec_lo, exec_lo, s14
	s_delay_alu instid0(VALU_DEP_2) | instskip(NEXT) | instid1(VALU_DEP_2)
	v_lshrrev_b64 v[4:5], 21, v[4:5]
	v_cmp_gt_i32_e32 vcc_lo, 32, v8
	v_min_i32_e32 v2, 31, v8
	v_cmp_eq_u32_e64 s14, 0, v8
	s_delay_alu instid0(VALU_DEP_2) | instskip(SKIP_1) | instid1(VALU_DEP_2)
	v_dual_cndmask_b32 v5, 0, v5 :: v_dual_lshlrev_b32 v2, 2, v2
	v_cndmask_b32_e32 v4, 3, v4, vcc_lo
	v_and_b32_e32 v2, 0xfc, v2
	s_delay_alu instid0(VALU_DEP_2) | instskip(NEXT) | instid1(VALU_DEP_2)
	v_cmp_eq_u64_e32 vcc_lo, 0, v[4:5]
	v_and_or_b32 v2, v4, 3, v2
	s_and_b32 s14, s14, vcc_lo
	s_delay_alu instid0(VALU_DEP_1) | instid1(SALU_CYCLE_1)
	v_cndmask_b32_e64 v2, v2, 0, s14
	s_delay_alu instid0(VALU_DEP_1)
	v_or_b32_e32 v117, v2, v12
.LBB4_4870:                             ;   in Loop: Header=BB4_4466 Depth=3
	s_or_b32 exec_lo, exec_lo, s43
                                        ; implicit-def: $vgpr12
.LBB4_4871:                             ;   in Loop: Header=BB4_4466 Depth=3
	s_and_not1_saveexec_b32 s14, s42
; %bb.4872:                             ;   in Loop: Header=BB4_4466 Depth=3
	v_or_b32_e32 v117, 0x7b, v12
; %bb.4873:                             ;   in Loop: Header=BB4_4466 Depth=3
	s_or_b32 exec_lo, exec_lo, s14
                                        ; implicit-def: $vgpr4
                                        ; implicit-def: $vgpr5
.LBB4_4874:                             ;   in Loop: Header=BB4_4466 Depth=3
	s_and_not1_saveexec_b32 s14, s15
	s_cbranch_execz .LBB4_4880
; %bb.4875:                             ;   in Loop: Header=BB4_4466 Depth=3
	s_mov_b32 s15, exec_lo
                                        ; implicit-def: $vgpr117
	v_cmpx_ne_u64_e32 0, v[2:3]
	s_xor_b32 s15, exec_lo, s15
; %bb.4876:                             ;   in Loop: Header=BB4_4466 Depth=3
	v_or_b32_e32 v117, 0x7f, v5
                                        ; implicit-def: $vgpr4
; %bb.4877:                             ;   in Loop: Header=BB4_4466 Depth=3
	s_and_not1_saveexec_b32 s15, s15
; %bb.4878:                             ;   in Loop: Header=BB4_4466 Depth=3
	v_cmp_lt_i32_e32 vcc_lo, -1, v4
	v_cndmask_b32_e32 v117, 0xfc, v113, vcc_lo
; %bb.4879:                             ;   in Loop: Header=BB4_4466 Depth=3
	s_or_b32 exec_lo, exec_lo, s15
.LBB4_4880:                             ;   in Loop: Header=BB4_4466 Depth=3
	s_delay_alu instid0(SALU_CYCLE_1) | instskip(SKIP_3) | instid1(VALU_DEP_2)
	s_or_b32 exec_lo, exec_lo, s14
	v_and_b32_e32 v4, 0xff, v15
	v_dual_mov_b32 v2, v15 :: v_dual_mov_b32 v8, 0
	s_mov_b32 s14, exec_lo
	v_cmpx_ne_u16_e32 0, v4
	s_cbranch_execz .LBB4_4890
; %bb.4881:                             ;   in Loop: Header=BB4_4466 Depth=3
	v_bfrev_b32_e32 v8, 1
	s_mov_b32 s15, exec_lo
	v_cmpx_ne_u16_e32 0x80, v4
	s_cbranch_execz .LBB4_4889
; %bb.4882:                             ;   in Loop: Header=BB4_4466 Depth=3
	v_and_b32_e32 v5, 0x7c, v15
	v_and_b32_e32 v4, 3, v15
	s_mov_b32 s42, exec_lo
                                        ; implicit-def: $vgpr8
	s_delay_alu instid0(VALU_DEP_2)
	v_cmpx_ne_u32_e32 0x7c, v5
	s_xor_b32 s42, exec_lo, s42
	s_cbranch_execz .LBB4_4886
; %bb.4883:                             ;   in Loop: Header=BB4_4466 Depth=3
	v_bfe_u32 v5, v15, 2, 5
	s_mov_b32 s43, exec_lo
	s_delay_alu instid0(VALU_DEP_1)
	v_cmpx_eq_u32_e32 0, v5
; %bb.4884:                             ;   in Loop: Header=BB4_4466 Depth=3
	v_clz_i32_u32_e32 v4, v4
	s_delay_alu instid0(VALU_DEP_1) | instskip(NEXT) | instid1(VALU_DEP_1)
	v_min_u32_e32 v8, 32, v4
	v_subrev_nc_u32_e32 v4, 29, v8
	s_delay_alu instid0(VALU_DEP_1) | instskip(SKIP_1) | instid1(VALU_DEP_2)
	v_lshlrev_b64_e32 v[4:5], v4, v[2:3]
	v_sub_nc_u32_e32 v5, 30, v8
	v_and_b32_e32 v4, 3, v4
; %bb.4885:                             ;   in Loop: Header=BB4_4466 Depth=3
	s_or_b32 exec_lo, exec_lo, s43
	v_lshlrev_b32_e32 v8, 24, v15
	s_delay_alu instid0(VALU_DEP_1) | instskip(NEXT) | instid1(VALU_DEP_1)
	v_and_b32_e32 v8, 0x80000000, v8
	v_lshl_add_u32 v5, v5, 23, v8
	s_delay_alu instid0(VALU_DEP_1) | instskip(NEXT) | instid1(VALU_DEP_1)
	v_lshl_or_b32 v4, v4, 21, v5
	v_add_nc_u32_e32 v8, 0x38000000, v4
                                        ; implicit-def: $vgpr4
.LBB4_4886:                             ;   in Loop: Header=BB4_4466 Depth=3
	s_and_not1_saveexec_b32 s42, s42
; %bb.4887:                             ;   in Loop: Header=BB4_4466 Depth=3
	v_bfe_i32 v5, v15, 0, 8
	s_delay_alu instid0(VALU_DEP_1) | instskip(SKIP_2) | instid1(VALU_DEP_2)
	v_cmp_lt_i16_e32 vcc_lo, -1, v5
	v_cndmask_b32_e32 v5, 0xff800000, v112, vcc_lo
	v_cmp_eq_u32_e32 vcc_lo, 0, v4
	v_cndmask_b32_e32 v8, 0x7f800001, v5, vcc_lo
; %bb.4888:                             ;   in Loop: Header=BB4_4466 Depth=3
	s_or_b32 exec_lo, exec_lo, s42
.LBB4_4889:                             ;   in Loop: Header=BB4_4466 Depth=3
	s_delay_alu instid0(SALU_CYCLE_1)
	s_or_b32 exec_lo, exec_lo, s15
.LBB4_4890:                             ;   in Loop: Header=BB4_4466 Depth=3
	s_delay_alu instid0(SALU_CYCLE_1) | instskip(SKIP_4) | instid1(VALU_DEP_2)
	s_or_b32 exec_lo, exec_lo, s14
	v_and_b32_e32 v5, 0xff, v11
	v_mov_b32_e32 v4, v11
	s_mov_b32 s15, 0
	s_mov_b32 s14, exec_lo
	v_cmpx_lt_i16_e32 0x7f, v5
	s_xor_b32 s14, exec_lo, s14
	s_cbranch_execz .LBB4_5039
; %bb.4891:                             ;   in Loop: Header=BB4_4466 Depth=3
	s_mov_b32 s15, -1
	s_mov_b32 s42, exec_lo
	v_cmpx_eq_u16_e32 0x80, v5
; %bb.4892:                             ;   in Loop: Header=BB4_4466 Depth=3
	s_xor_b32 s15, exec_lo, -1
; %bb.4893:                             ;   in Loop: Header=BB4_4466 Depth=3
	s_or_b32 exec_lo, exec_lo, s42
	s_delay_alu instid0(SALU_CYCLE_1)
	s_and_b32 s15, s15, exec_lo
                                        ; implicit-def: $vgpr5
	s_or_saveexec_b32 s14, s14
	v_bfrev_b32_e32 v9, 1
	s_xor_b32 exec_lo, exec_lo, s14
	s_cbranch_execnz .LBB4_5040
.LBB4_4894:                             ;   in Loop: Header=BB4_4466 Depth=3
	s_or_b32 exec_lo, exec_lo, s14
	v_mov_b32_e32 v5, v3
	s_and_saveexec_b32 s14, s15
	s_cbranch_execz .LBB4_4896
.LBB4_4895:                             ;   in Loop: Header=BB4_4466 Depth=3
	v_and_b32_e32 v9, 3, v11
	s_delay_alu instid0(VALU_DEP_1) | instskip(NEXT) | instid1(VALU_DEP_1)
	v_clz_i32_u32_e32 v12, v9
	v_min_u32_e32 v41, 32, v12
	s_delay_alu instid0(VALU_DEP_1) | instskip(NEXT) | instid1(VALU_DEP_1)
	v_subrev_nc_u32_e32 v12, 29, v41
	v_lshlrev_b64_e32 v[12:13], v12, v[4:5]
	v_bfe_u32 v13, v11, 2, 5
	v_dual_lshlrev_b32 v5, 24, v11 :: v_dual_sub_nc_u32 v41, 30, v41
	s_delay_alu instid0(VALU_DEP_2) | instskip(NEXT) | instid1(VALU_DEP_2)
	v_cmp_eq_u32_e32 vcc_lo, 0, v13
	v_and_b32_e32 v5, 0x80000000, v5
	s_delay_alu instid0(VALU_DEP_3) | instskip(SKIP_1) | instid1(VALU_DEP_2)
	v_dual_cndmask_b32 v13, v13, v41, vcc_lo :: v_dual_bitop2_b32 v12, 3, v12 bitop3:0x40
	v_bfe_i32 v41, v11, 0, 8
	v_cndmask_b32_e32 v12, v9, v12, vcc_lo
	s_delay_alu instid0(VALU_DEP_3) | instskip(NEXT) | instid1(VALU_DEP_3)
	v_lshl_add_u32 v5, v13, 23, v5
	v_cmp_lt_i16_e32 vcc_lo, -1, v41
	s_delay_alu instid0(VALU_DEP_2) | instskip(SKIP_3) | instid1(VALU_DEP_4)
	v_lshl_or_b32 v5, v12, 21, v5
	v_cndmask_b32_e32 v13, 0xff800000, v112, vcc_lo
	v_and_b32_e32 v12, 0x7c, v11
	v_cmp_eq_u32_e32 vcc_lo, 0, v9
	v_add_nc_u32_e32 v5, 0x38000000, v5
	s_delay_alu instid0(VALU_DEP_4) | instskip(NEXT) | instid1(VALU_DEP_4)
	v_cndmask_b32_e32 v9, 0x7f800001, v13, vcc_lo
	v_cmp_eq_u32_e32 vcc_lo, 0x7c, v12
	s_delay_alu instid0(VALU_DEP_2)
	v_cndmask_b32_e32 v9, v5, v9, vcc_lo
.LBB4_4896:                             ;   in Loop: Header=BB4_4466 Depth=3
	s_or_b32 exec_lo, exec_lo, s14
	s_delay_alu instid0(VALU_DEP_1) | instskip(SKIP_2) | instid1(VALU_DEP_2)
	v_dual_mul_f32 v13, v8, v9 :: v_dual_mov_b32 v45, v3
	v_mov_b32_e32 v9, v3
                                        ; implicit-def: $vgpr12
	s_mov_b32 s14, exec_lo
	v_and_b32_e32 v44, 0x7f800000, v13
	v_and_b32_e32 v8, 0x7fffff, v13
	v_lshrrev_b32_e32 v5, 24, v13
	s_delay_alu instid0(VALU_DEP_3)
	v_cmpx_ne_u64_e32 0x7f800000, v[44:45]
	s_xor_b32 s15, exec_lo, s14
	s_cbranch_execz .LBB4_4910
; %bb.4897:                             ;   in Loop: Header=BB4_4466 Depth=3
	v_and_b32_e32 v44, 0x7fffffff, v13
	v_mov_b32_e32 v45, v3
	v_and_b32_e32 v5, 0x80, v5
                                        ; implicit-def: $vgpr12
	s_mov_b32 s14, exec_lo
	s_delay_alu instid0(VALU_DEP_2)
	v_cmpx_gt_u64_e32 0x47600001, v[44:45]
	s_xor_b32 s42, exec_lo, s14
	s_cbranch_execz .LBB4_4907
; %bb.4898:                             ;   in Loop: Header=BB4_4466 Depth=3
	v_mov_b32_e32 v12, 0
	s_mov_b32 s43, exec_lo
	v_cmpx_ne_u32_e32 0, v13
	s_cbranch_execz .LBB4_4906
; %bb.4899:                             ;   in Loop: Header=BB4_4466 Depth=3
	v_bfe_u32 v41, v13, 23, 8
	v_or_b32_e32 v44, 0x800000, v8
	s_delay_alu instid0(VALU_DEP_2) | instskip(SKIP_1) | instid1(VALU_DEP_2)
	v_sub_nc_u32_e32 v12, 0x71, v41
	v_cmp_gt_u32_e32 vcc_lo, 0x72, v41
	v_cndmask_b32_e32 v12, 0, v12, vcc_lo
	v_cmp_eq_u32_e32 vcc_lo, 0, v41
	s_delay_alu instid0(VALU_DEP_2) | instskip(NEXT) | instid1(VALU_DEP_1)
	v_cndmask_b32_e64 v43, v12, 0x70, vcc_lo
	v_dual_cndmask_b32 v8, v44, v8, vcc_lo :: v_dual_add_nc_u32 v12, 21, v43
	v_add_nc_u32_e32 v45, 20, v43
	s_delay_alu instid0(VALU_DEP_2) | instskip(NEXT) | instid1(VALU_DEP_2)
	v_lshlrev_b64_e64 v[12:13], v12, -1
	v_lshlrev_b64_e64 v[44:45], v45, 1
	s_delay_alu instid0(VALU_DEP_2) | instskip(SKIP_1) | instid1(VALU_DEP_4)
	v_bfi_b32 v12, v12, 0, v8
	v_lshrrev_b64 v[8:9], v43, v[8:9]
	v_bfi_b32 v13, v13, 0, 0
	s_delay_alu instid0(VALU_DEP_1) | instskip(NEXT) | instid1(VALU_DEP_3)
	v_cmp_eq_u64_e64 s14, v[12:13], v[44:45]
	v_mov_b64_e32 v[12:13], v[8:9]
	s_and_saveexec_b32 s75, s14
; %bb.4900:                             ;   in Loop: Header=BB4_4466 Depth=3
	v_bfe_u32 v12, v8, 21, 1
	v_mov_b32_e32 v13, v3
	s_delay_alu instid0(VALU_DEP_1) | instskip(NEXT) | instid1(VALU_DEP_1)
	v_add_nc_u64_e32 v[12:13], v[8:9], v[12:13]
	v_add_nc_u64_e32 v[12:13], -1, v[12:13]
; %bb.4901:                             ;   in Loop: Header=BB4_4466 Depth=3
	s_or_b32 exec_lo, exec_lo, s75
	v_add_nc_u32_e32 v9, 0xffffff81, v41
	v_lshrrev_b32_e32 v13, 23, v8
	s_mov_b32 s14, exec_lo
	s_delay_alu instid0(VALU_DEP_2) | instskip(NEXT) | instid1(VALU_DEP_1)
	v_cndmask_b32_e64 v9, v9, 0xffffff82, vcc_lo
	v_add3_u32 v13, v43, v9, v13
	v_and_b32_e32 v9, 0x1fffff, v12
                                        ; implicit-def: $vgpr12
	s_delay_alu instid0(VALU_DEP_1) | instskip(SKIP_1) | instid1(VALU_DEP_2)
	v_dual_add_nc_u32 v41, 14, v13 :: v_dual_add_nc_u32 v8, v9, v8
	v_mov_b32_e32 v9, v3
	v_cmpx_ne_u32_e32 0, v41
	s_xor_b32 s14, exec_lo, s14
; %bb.4902:                             ;   in Loop: Header=BB4_4466 Depth=3
	s_delay_alu instid0(VALU_DEP_2) | instskip(SKIP_2) | instid1(VALU_DEP_2)
	v_cmp_lt_u64_e32 vcc_lo, 0xffffff, v[8:9]
	v_add_nc_u32_e32 v12, 15, v13
	v_cndmask_b32_e64 v13, 0, 1, vcc_lo
	v_cndmask_b32_e32 v12, v41, v12, vcc_lo
	s_delay_alu instid0(VALU_DEP_2)
	v_lshrrev_b64 v[8:9], v13, v[8:9]
; %bb.4903:                             ;   in Loop: Header=BB4_4466 Depth=3
	s_and_not1_saveexec_b32 s14, s14
; %bb.4904:                             ;   in Loop: Header=BB4_4466 Depth=3
	s_delay_alu instid0(VALU_DEP_1)
	v_bfe_u32 v12, v8, 23, 1
; %bb.4905:                             ;   in Loop: Header=BB4_4466 Depth=3
	s_or_b32 exec_lo, exec_lo, s14
	s_delay_alu instid0(VALU_DEP_2) | instskip(NEXT) | instid1(VALU_DEP_2)
	v_lshrrev_b64 v[8:9], 21, v[8:9]
	v_cmp_gt_i32_e32 vcc_lo, 32, v12
	v_min_i32_e32 v13, 31, v12
	v_cmp_eq_u32_e64 s14, 0, v12
	s_delay_alu instid0(VALU_DEP_4) | instskip(NEXT) | instid1(VALU_DEP_3)
	v_cndmask_b32_e32 v9, 0, v9, vcc_lo
	v_dual_cndmask_b32 v8, 3, v8 :: v_dual_lshlrev_b32 v13, 2, v13
	s_delay_alu instid0(VALU_DEP_1) | instskip(NEXT) | instid1(VALU_DEP_2)
	v_and_b32_e32 v13, 0xfc, v13
	v_cmp_eq_u64_e32 vcc_lo, 0, v[8:9]
	s_delay_alu instid0(VALU_DEP_2)
	v_and_or_b32 v8, v8, 3, v13
	s_and_b32 s14, s14, vcc_lo
	s_delay_alu instid0(VALU_DEP_1) | instid1(SALU_CYCLE_1)
	v_cndmask_b32_e64 v8, v8, 0, s14
	s_delay_alu instid0(VALU_DEP_1)
	v_or_b32_e32 v12, v8, v5
.LBB4_4906:                             ;   in Loop: Header=BB4_4466 Depth=3
	s_or_b32 exec_lo, exec_lo, s43
                                        ; implicit-def: $vgpr5
.LBB4_4907:                             ;   in Loop: Header=BB4_4466 Depth=3
	s_and_not1_saveexec_b32 s14, s42
; %bb.4908:                             ;   in Loop: Header=BB4_4466 Depth=3
	v_or_b32_e32 v12, 0x7b, v5
; %bb.4909:                             ;   in Loop: Header=BB4_4466 Depth=3
	s_or_b32 exec_lo, exec_lo, s14
                                        ; implicit-def: $vgpr13
                                        ; implicit-def: $vgpr8_vgpr9
                                        ; implicit-def: $vgpr5
.LBB4_4910:                             ;   in Loop: Header=BB4_4466 Depth=3
	s_and_not1_saveexec_b32 s14, s15
	s_cbranch_execz .LBB4_4916
; %bb.4911:                             ;   in Loop: Header=BB4_4466 Depth=3
	s_mov_b32 s15, exec_lo
                                        ; implicit-def: $vgpr12
	v_cmpx_ne_u64_e32 0, v[8:9]
	s_xor_b32 s15, exec_lo, s15
; %bb.4912:                             ;   in Loop: Header=BB4_4466 Depth=3
	v_or_b32_e32 v12, 0x7f, v5
                                        ; implicit-def: $vgpr13
; %bb.4913:                             ;   in Loop: Header=BB4_4466 Depth=3
	s_and_not1_saveexec_b32 s15, s15
; %bb.4914:                             ;   in Loop: Header=BB4_4466 Depth=3
	v_cmp_lt_i32_e32 vcc_lo, -1, v13
	v_cndmask_b32_e32 v12, 0xfc, v113, vcc_lo
; %bb.4915:                             ;   in Loop: Header=BB4_4466 Depth=3
	s_or_b32 exec_lo, exec_lo, s15
.LBB4_4916:                             ;   in Loop: Header=BB4_4466 Depth=3
	s_delay_alu instid0(SALU_CYCLE_1) | instskip(SKIP_3) | instid1(VALU_DEP_2)
	s_or_b32 exec_lo, exec_lo, s14
	v_lshrrev_b16 v8, 8, v2
	v_mov_b32_e32 v5, 0
	s_mov_b32 s14, exec_lo
	v_cmpx_ne_u16_e32 0, v8
	s_cbranch_execz .LBB4_4926
; %bb.4917:                             ;   in Loop: Header=BB4_4466 Depth=3
	v_bfrev_b32_e32 v5, 1
	s_mov_b32 s15, exec_lo
	v_cmpx_ne_u16_e32 0x80, v8
	s_cbranch_execz .LBB4_4925
; %bb.4918:                             ;   in Loop: Header=BB4_4466 Depth=3
	v_and_b32_e32 v13, 0xffff, v8
	s_delay_alu instid0(VALU_DEP_1) | instskip(SKIP_1) | instid1(VALU_DEP_2)
	v_and_b32_e32 v5, 0x7c, v13
	v_and_b32_e32 v9, 3, v13
	v_cmp_ne_u32_e32 vcc_lo, 0x7c, v5
                                        ; implicit-def: $vgpr5
	s_and_saveexec_b32 s42, vcc_lo
	s_delay_alu instid0(SALU_CYCLE_1)
	s_xor_b32 s42, exec_lo, s42
	s_cbranch_execz .LBB4_4922
; %bb.4919:                             ;   in Loop: Header=BB4_4466 Depth=3
	v_bfe_u32 v5, v13, 2, 5
	s_mov_b32 s43, exec_lo
	s_delay_alu instid0(VALU_DEP_1)
	v_cmpx_eq_u32_e32 0, v5
	s_cbranch_execz .LBB4_4921
; %bb.4920:                             ;   in Loop: Header=BB4_4466 Depth=3
	v_clz_i32_u32_e32 v5, v9
	s_delay_alu instid0(VALU_DEP_1) | instskip(SKIP_1) | instid1(VALU_DEP_2)
	v_min_u32_e32 v5, 32, v5
	v_mov_b32_e32 v9, v3
	v_subrev_nc_u32_e32 v13, 29, v5
	v_sub_nc_u32_e32 v5, 30, v5
	s_delay_alu instid0(VALU_DEP_2) | instskip(NEXT) | instid1(VALU_DEP_1)
	v_lshlrev_b64_e32 v[8:9], v13, v[8:9]
	v_and_b32_e32 v9, 3, v8
.LBB4_4921:                             ;   in Loop: Header=BB4_4466 Depth=3
	s_or_b32 exec_lo, exec_lo, s43
	v_lshlrev_b32_e32 v2, 16, v2
	s_delay_alu instid0(VALU_DEP_1) | instskip(NEXT) | instid1(VALU_DEP_1)
	v_and_b32_e32 v2, 0x80000000, v2
	v_lshl_add_u32 v2, v5, 23, v2
	s_delay_alu instid0(VALU_DEP_1) | instskip(NEXT) | instid1(VALU_DEP_1)
	v_lshl_or_b32 v2, v9, 21, v2
                                        ; implicit-def: $vgpr9
	v_add_nc_u32_e32 v5, 0x38000000, v2
.LBB4_4922:                             ;   in Loop: Header=BB4_4466 Depth=3
	s_and_not1_saveexec_b32 s42, s42
; %bb.4923:                             ;   in Loop: Header=BB4_4466 Depth=3
	v_cmp_lt_i16_e32 vcc_lo, -1, v2
	v_cndmask_b32_e32 v2, 0xff800000, v112, vcc_lo
	v_cmp_eq_u32_e32 vcc_lo, 0, v9
	s_delay_alu instid0(VALU_DEP_2)
	v_cndmask_b32_e32 v5, 0x7f800001, v2, vcc_lo
; %bb.4924:                             ;   in Loop: Header=BB4_4466 Depth=3
	s_or_b32 exec_lo, exec_lo, s42
.LBB4_4925:                             ;   in Loop: Header=BB4_4466 Depth=3
	s_delay_alu instid0(SALU_CYCLE_1)
	s_or_b32 exec_lo, exec_lo, s15
.LBB4_4926:                             ;   in Loop: Header=BB4_4466 Depth=3
	s_delay_alu instid0(SALU_CYCLE_1) | instskip(SKIP_3) | instid1(VALU_DEP_1)
	s_or_b32 exec_lo, exec_lo, s14
	v_lshrrev_b16 v8, 8, v4
	s_mov_b32 s15, 0
	s_mov_b32 s14, exec_lo
	v_cmpx_lt_i16_e32 0x7f, v8
	s_xor_b32 s14, exec_lo, s14
	s_cbranch_execz .LBB4_5041
; %bb.4927:                             ;   in Loop: Header=BB4_4466 Depth=3
	s_mov_b32 s15, -1
	s_mov_b32 s42, exec_lo
	v_cmpx_eq_u16_e32 0x80, v8
; %bb.4928:                             ;   in Loop: Header=BB4_4466 Depth=3
	s_xor_b32 s15, exec_lo, -1
; %bb.4929:                             ;   in Loop: Header=BB4_4466 Depth=3
	s_or_b32 exec_lo, exec_lo, s42
	s_delay_alu instid0(SALU_CYCLE_1)
	s_and_b32 s15, s15, exec_lo
	s_or_saveexec_b32 s14, s14
	v_bfrev_b32_e32 v2, 1
	s_xor_b32 exec_lo, exec_lo, s14
	s_cbranch_execnz .LBB4_5042
.LBB4_4930:                             ;   in Loop: Header=BB4_4466 Depth=3
	s_or_b32 exec_lo, exec_lo, s14
	s_and_saveexec_b32 s14, s15
	s_cbranch_execz .LBB4_4932
.LBB4_4931:                             ;   in Loop: Header=BB4_4466 Depth=3
	v_and_b32_e32 v2, 0xffff, v8
	s_delay_alu instid0(VALU_DEP_1) | instskip(NEXT) | instid1(VALU_DEP_1)
	v_and_b32_e32 v13, 3, v2
	v_clz_i32_u32_e32 v9, v13
	s_delay_alu instid0(VALU_DEP_1) | instskip(SKIP_1) | instid1(VALU_DEP_2)
	v_min_u32_e32 v41, 32, v9
	v_mov_b32_e32 v9, v3
	v_subrev_nc_u32_e32 v43, 29, v41
	v_sub_nc_u32_e32 v41, 30, v41
	s_delay_alu instid0(VALU_DEP_2) | instskip(SKIP_3) | instid1(VALU_DEP_3)
	v_lshlrev_b64_e32 v[44:45], v43, v[8:9]
	v_bfe_u32 v9, v2, 2, 5
	v_lshlrev_b32_e32 v8, 24, v8
	v_and_b32_e32 v2, 0x7c, v2
	v_cmp_eq_u32_e32 vcc_lo, 0, v9
	s_delay_alu instid0(VALU_DEP_3) | instskip(SKIP_1) | instid1(VALU_DEP_1)
	v_and_b32_e32 v8, 0x80000000, v8
	v_dual_cndmask_b32 v9, v9, v41, vcc_lo :: v_dual_bitop2_b32 v43, 3, v44 bitop3:0x40
	v_cndmask_b32_e32 v41, v13, v43, vcc_lo
	v_cmp_lt_i16_e32 vcc_lo, -1, v4
	s_delay_alu instid0(VALU_DEP_3) | instskip(SKIP_2) | instid1(VALU_DEP_3)
	v_lshl_add_u32 v8, v9, 23, v8
	v_cndmask_b32_e32 v4, 0xff800000, v112, vcc_lo
	v_cmp_eq_u32_e32 vcc_lo, 0, v13
	v_lshl_or_b32 v8, v41, 21, v8
	s_delay_alu instid0(VALU_DEP_3) | instskip(NEXT) | instid1(VALU_DEP_2)
	v_cndmask_b32_e32 v4, 0x7f800001, v4, vcc_lo
	v_add_nc_u32_e32 v8, 0x38000000, v8
	v_cmp_eq_u32_e32 vcc_lo, 0x7c, v2
	s_delay_alu instid0(VALU_DEP_2)
	v_cndmask_b32_e32 v2, v8, v4, vcc_lo
.LBB4_4932:                             ;   in Loop: Header=BB4_4466 Depth=3
	s_or_b32 exec_lo, exec_lo, s14
	s_delay_alu instid0(VALU_DEP_1) | instskip(SKIP_1) | instid1(VALU_DEP_1)
	v_dual_mul_f32 v4, v5, v2 :: v_dual_mov_b32 v9, v3
                                        ; implicit-def: $vgpr13
	s_mov_b32 s14, exec_lo
	v_and_b32_e32 v8, 0x7f800000, v4
	v_and_b32_e32 v2, 0x7fffff, v4
	v_lshrrev_b32_e32 v5, 24, v4
	s_delay_alu instid0(VALU_DEP_3)
	v_cmpx_ne_u64_e32 0x7f800000, v[8:9]
	s_xor_b32 s15, exec_lo, s14
	s_cbranch_execz .LBB4_4946
; %bb.4933:                             ;   in Loop: Header=BB4_4466 Depth=3
	v_and_b32_e32 v8, 0x7fffffff, v4
	v_mov_b32_e32 v9, v3
	v_and_b32_e32 v41, 0x80, v5
                                        ; implicit-def: $vgpr13
	s_mov_b32 s14, exec_lo
	s_delay_alu instid0(VALU_DEP_2)
	v_cmpx_gt_u64_e32 0x47600001, v[8:9]
	s_xor_b32 s42, exec_lo, s14
	s_cbranch_execz .LBB4_4943
; %bb.4934:                             ;   in Loop: Header=BB4_4466 Depth=3
	v_mov_b32_e32 v13, 0
	s_mov_b32 s43, exec_lo
	v_cmpx_ne_u32_e32 0, v4
	s_cbranch_execz .LBB4_4942
; %bb.4935:                             ;   in Loop: Header=BB4_4466 Depth=3
	v_bfe_u32 v13, v4, 23, 8
	v_or_b32_e32 v8, 0x800000, v2
	s_mov_b32 s75, exec_lo
	s_delay_alu instid0(VALU_DEP_2) | instskip(SKIP_1) | instid1(VALU_DEP_2)
	v_dual_mov_b32 v9, v3 :: v_dual_sub_nc_u32 v4, 0x71, v13
	v_cmp_gt_u32_e32 vcc_lo, 0x72, v13
	v_cndmask_b32_e32 v4, 0, v4, vcc_lo
	v_cmp_eq_u32_e32 vcc_lo, 0, v13
	s_delay_alu instid0(VALU_DEP_2) | instskip(NEXT) | instid1(VALU_DEP_1)
	v_cndmask_b32_e64 v43, v4, 0x70, vcc_lo
	v_dual_cndmask_b32 v8, v8, v2, vcc_lo :: v_dual_add_nc_u32 v4, 21, v43
	v_add_nc_u32_e32 v44, 20, v43
	s_delay_alu instid0(VALU_DEP_2) | instskip(NEXT) | instid1(VALU_DEP_2)
	v_lshlrev_b64_e64 v[4:5], v4, -1
	v_lshlrev_b64_e64 v[44:45], v44, 1
	s_delay_alu instid0(VALU_DEP_2) | instskip(NEXT) | instid1(VALU_DEP_3)
	v_bfi_b32 v47, v5, 0, 0
	v_bfi_b32 v46, v4, 0, v8
	v_lshrrev_b64 v[4:5], v43, v[8:9]
	s_delay_alu instid0(VALU_DEP_1) | instskip(NEXT) | instid1(VALU_DEP_3)
	v_mov_b64_e32 v[8:9], v[4:5]
	v_cmpx_eq_u64_e64 v[46:47], v[44:45]
; %bb.4936:                             ;   in Loop: Header=BB4_4466 Depth=3
	v_bfe_u32 v8, v4, 21, 1
	v_mov_b32_e32 v9, v3
	s_delay_alu instid0(VALU_DEP_1) | instskip(NEXT) | instid1(VALU_DEP_1)
	v_add_nc_u64_e32 v[8:9], v[4:5], v[8:9]
	v_add_nc_u64_e32 v[8:9], -1, v[8:9]
; %bb.4937:                             ;   in Loop: Header=BB4_4466 Depth=3
	s_or_b32 exec_lo, exec_lo, s75
	v_add_nc_u32_e32 v2, 0xffffff81, v13
	s_delay_alu instid0(VALU_DEP_2) | instskip(SKIP_2) | instid1(VALU_DEP_3)
	v_and_b32_e32 v8, 0x1fffff, v8
	v_lshrrev_b32_e32 v5, 23, v4
	s_mov_b32 s14, exec_lo
	v_cndmask_b32_e64 v2, v2, 0xffffff82, vcc_lo
	s_delay_alu instid0(VALU_DEP_1) | instskip(SKIP_1) | instid1(VALU_DEP_2)
	v_add3_u32 v9, v43, v2, v5
	v_add_nc_u32_e32 v2, v8, v4
                                        ; implicit-def: $vgpr4_vgpr5
                                        ; implicit-def: $vgpr8
	v_add_nc_u32_e32 v13, 14, v9
	s_delay_alu instid0(VALU_DEP_1)
	v_cmpx_ne_u32_e32 0, v13
	s_xor_b32 s14, exec_lo, s14
; %bb.4938:                             ;   in Loop: Header=BB4_4466 Depth=3
	s_delay_alu instid0(VALU_DEP_3) | instskip(SKIP_1) | instid1(VALU_DEP_1)
	v_cmp_lt_u64_e32 vcc_lo, 0xffffff, v[2:3]
	v_add_nc_u32_e32 v4, 15, v9
	v_cndmask_b32_e32 v8, v13, v4, vcc_lo
	v_cndmask_b32_e64 v4, 0, 1, vcc_lo
	s_delay_alu instid0(VALU_DEP_1)
	v_lshrrev_b64 v[4:5], v4, v[2:3]
; %bb.4939:                             ;   in Loop: Header=BB4_4466 Depth=3
	s_and_not1_saveexec_b32 s14, s14
; %bb.4940:                             ;   in Loop: Header=BB4_4466 Depth=3
	v_mov_b64_e32 v[4:5], v[2:3]
	v_bfe_u32 v8, v2, 23, 1
; %bb.4941:                             ;   in Loop: Header=BB4_4466 Depth=3
	s_or_b32 exec_lo, exec_lo, s14
	s_delay_alu instid0(VALU_DEP_2) | instskip(NEXT) | instid1(VALU_DEP_2)
	v_lshrrev_b64 v[4:5], 21, v[4:5]
	v_cmp_gt_i32_e32 vcc_lo, 32, v8
	v_min_i32_e32 v2, 31, v8
	v_cmp_eq_u32_e64 s14, 0, v8
	s_delay_alu instid0(VALU_DEP_2) | instskip(SKIP_1) | instid1(VALU_DEP_2)
	v_dual_cndmask_b32 v5, 0, v5 :: v_dual_lshlrev_b32 v2, 2, v2
	v_cndmask_b32_e32 v4, 3, v4, vcc_lo
	v_and_b32_e32 v2, 0xfc, v2
	s_delay_alu instid0(VALU_DEP_2) | instskip(NEXT) | instid1(VALU_DEP_2)
	v_cmp_eq_u64_e32 vcc_lo, 0, v[4:5]
	v_and_or_b32 v2, v4, 3, v2
	s_and_b32 s14, s14, vcc_lo
	s_delay_alu instid0(VALU_DEP_1) | instid1(SALU_CYCLE_1)
	v_cndmask_b32_e64 v2, v2, 0, s14
	s_delay_alu instid0(VALU_DEP_1)
	v_or_b32_e32 v13, v2, v41
.LBB4_4942:                             ;   in Loop: Header=BB4_4466 Depth=3
	s_or_b32 exec_lo, exec_lo, s43
                                        ; implicit-def: $vgpr41
.LBB4_4943:                             ;   in Loop: Header=BB4_4466 Depth=3
	s_and_not1_saveexec_b32 s14, s42
; %bb.4944:                             ;   in Loop: Header=BB4_4466 Depth=3
	v_or_b32_e32 v13, 0x7b, v41
; %bb.4945:                             ;   in Loop: Header=BB4_4466 Depth=3
	s_or_b32 exec_lo, exec_lo, s14
                                        ; implicit-def: $vgpr4
                                        ; implicit-def: $vgpr5
.LBB4_4946:                             ;   in Loop: Header=BB4_4466 Depth=3
	s_and_not1_saveexec_b32 s14, s15
	s_cbranch_execz .LBB4_4952
; %bb.4947:                             ;   in Loop: Header=BB4_4466 Depth=3
	s_mov_b32 s15, exec_lo
                                        ; implicit-def: $vgpr13
	v_cmpx_ne_u64_e32 0, v[2:3]
	s_xor_b32 s15, exec_lo, s15
; %bb.4948:                             ;   in Loop: Header=BB4_4466 Depth=3
	v_or_b32_e32 v13, 0x7f, v5
                                        ; implicit-def: $vgpr4
; %bb.4949:                             ;   in Loop: Header=BB4_4466 Depth=3
	s_and_not1_saveexec_b32 s15, s15
; %bb.4950:                             ;   in Loop: Header=BB4_4466 Depth=3
	v_cmp_lt_i32_e32 vcc_lo, -1, v4
	v_cndmask_b32_e32 v13, 0xfc, v113, vcc_lo
; %bb.4951:                             ;   in Loop: Header=BB4_4466 Depth=3
	s_or_b32 exec_lo, exec_lo, s15
.LBB4_4952:                             ;   in Loop: Header=BB4_4466 Depth=3
	s_delay_alu instid0(SALU_CYCLE_1) | instskip(SKIP_2) | instid1(VALU_DEP_1)
	s_or_b32 exec_lo, exec_lo, s14
	v_dual_lshrrev_b32 v2, 16, v15 :: v_dual_mov_b32 v4, 0
	s_mov_b32 s14, exec_lo
	v_and_b32_e32 v5, 0xff, v2
	s_delay_alu instid0(VALU_DEP_1)
	v_cmpx_ne_u16_e32 0, v5
	s_cbranch_execz .LBB4_4962
; %bb.4953:                             ;   in Loop: Header=BB4_4466 Depth=3
	v_bfrev_b32_e32 v4, 1
	s_mov_b32 s15, exec_lo
	v_cmpx_ne_u16_e32 0x80, v5
	s_cbranch_execz .LBB4_4961
; %bb.4954:                             ;   in Loop: Header=BB4_4466 Depth=3
	v_and_b32_e32 v4, 0x7c0000, v15
	v_bfe_u32 v5, v15, 16, 2
	s_delay_alu instid0(VALU_DEP_2) | instskip(SKIP_1) | instid1(SALU_CYCLE_1)
	v_cmp_ne_u32_e32 vcc_lo, 0x7c0000, v4
                                        ; implicit-def: $vgpr4
	s_and_saveexec_b32 s42, vcc_lo
	s_xor_b32 s42, exec_lo, s42
	s_cbranch_execz .LBB4_4958
; %bb.4955:                             ;   in Loop: Header=BB4_4466 Depth=3
	v_bfe_u32 v4, v15, 18, 5
	s_mov_b32 s43, exec_lo
	s_delay_alu instid0(VALU_DEP_1)
	v_cmpx_eq_u32_e32 0, v4
; %bb.4956:                             ;   in Loop: Header=BB4_4466 Depth=3
	v_clz_i32_u32_e32 v4, v5
	s_delay_alu instid0(VALU_DEP_1) | instskip(NEXT) | instid1(VALU_DEP_1)
	v_min_u32_e32 v4, 32, v4
	v_subrev_nc_u32_e32 v5, 29, v4
	v_sub_nc_u32_e32 v4, 30, v4
	s_delay_alu instid0(VALU_DEP_2) | instskip(NEXT) | instid1(VALU_DEP_1)
	v_lshlrev_b64_e32 v[8:9], v5, v[2:3]
	v_and_b32_e32 v5, 3, v8
; %bb.4957:                             ;   in Loop: Header=BB4_4466 Depth=3
	s_or_b32 exec_lo, exec_lo, s43
	v_lshlrev_b32_e32 v2, 24, v2
	s_delay_alu instid0(VALU_DEP_1) | instskip(NEXT) | instid1(VALU_DEP_1)
	v_and_b32_e32 v2, 0x80000000, v2
	v_lshl_add_u32 v2, v4, 23, v2
	s_delay_alu instid0(VALU_DEP_1) | instskip(NEXT) | instid1(VALU_DEP_1)
	v_lshl_or_b32 v2, v5, 21, v2
                                        ; implicit-def: $vgpr5
	v_add_nc_u32_e32 v4, 0x38000000, v2
                                        ; implicit-def: $vgpr2
.LBB4_4958:                             ;   in Loop: Header=BB4_4466 Depth=3
	s_and_not1_saveexec_b32 s42, s42
; %bb.4959:                             ;   in Loop: Header=BB4_4466 Depth=3
	v_bfe_i32 v2, v2, 0, 8
	s_delay_alu instid0(VALU_DEP_1) | instskip(SKIP_2) | instid1(VALU_DEP_2)
	v_cmp_lt_i16_e32 vcc_lo, -1, v2
	v_cndmask_b32_e32 v2, 0xff800000, v112, vcc_lo
	v_cmp_eq_u32_e32 vcc_lo, 0, v5
	v_cndmask_b32_e32 v4, 0x7f800001, v2, vcc_lo
; %bb.4960:                             ;   in Loop: Header=BB4_4466 Depth=3
	s_or_b32 exec_lo, exec_lo, s42
.LBB4_4961:                             ;   in Loop: Header=BB4_4466 Depth=3
	s_delay_alu instid0(SALU_CYCLE_1)
	s_or_b32 exec_lo, exec_lo, s15
.LBB4_4962:                             ;   in Loop: Header=BB4_4466 Depth=3
	s_delay_alu instid0(SALU_CYCLE_1) | instskip(SKIP_3) | instid1(VALU_DEP_1)
	s_or_b32 exec_lo, exec_lo, s14
	v_lshrrev_b32_e32 v2, 16, v11
	s_mov_b32 s15, 0
	s_mov_b32 s14, exec_lo
	v_and_b32_e32 v8, 0xff, v2
	s_delay_alu instid0(VALU_DEP_1)
	v_cmpx_lt_i16_e32 0x7f, v8
	s_xor_b32 s14, exec_lo, s14
	s_cbranch_execz .LBB4_5043
; %bb.4963:                             ;   in Loop: Header=BB4_4466 Depth=3
	s_mov_b32 s15, -1
	s_mov_b32 s42, exec_lo
	v_cmpx_eq_u16_e32 0x80, v8
; %bb.4964:                             ;   in Loop: Header=BB4_4466 Depth=3
	s_xor_b32 s15, exec_lo, -1
; %bb.4965:                             ;   in Loop: Header=BB4_4466 Depth=3
	s_or_b32 exec_lo, exec_lo, s42
	s_delay_alu instid0(SALU_CYCLE_1)
	s_and_b32 s15, s15, exec_lo
                                        ; implicit-def: $vgpr8
	s_or_saveexec_b32 s14, s14
	v_bfrev_b32_e32 v5, 1
	s_xor_b32 exec_lo, exec_lo, s14
	s_cbranch_execnz .LBB4_5044
.LBB4_4966:                             ;   in Loop: Header=BB4_4466 Depth=3
	s_or_b32 exec_lo, exec_lo, s14
	s_and_saveexec_b32 s14, s15
	s_cbranch_execz .LBB4_4968
.LBB4_4967:                             ;   in Loop: Header=BB4_4466 Depth=3
	v_and_b32_e32 v5, 3, v2
	v_bfe_u32 v43, v11, 18, 5
	s_delay_alu instid0(VALU_DEP_2) | instskip(NEXT) | instid1(VALU_DEP_2)
	v_clz_i32_u32_e32 v8, v5
	v_cmp_eq_u32_e32 vcc_lo, 0, v43
	s_delay_alu instid0(VALU_DEP_2) | instskip(NEXT) | instid1(VALU_DEP_1)
	v_min_u32_e32 v41, 32, v8
	v_subrev_nc_u32_e32 v8, 29, v41
	s_delay_alu instid0(VALU_DEP_1) | instskip(SKIP_2) | instid1(VALU_DEP_2)
	v_lshlrev_b64_e32 v[8:9], v8, v[2:3]
	v_dual_lshlrev_b32 v9, 24, v2 :: v_dual_sub_nc_u32 v41, 30, v41
	v_bfe_i32 v2, v2, 0, 8
	v_and_b32_e32 v9, 0x80000000, v9
	s_delay_alu instid0(VALU_DEP_3) | instskip(NEXT) | instid1(VALU_DEP_1)
	v_dual_cndmask_b32 v41, v43, v41, vcc_lo :: v_dual_bitop2_b32 v8, 3, v8 bitop3:0x40
	v_cndmask_b32_e32 v8, v5, v8, vcc_lo
	s_delay_alu instid0(VALU_DEP_2) | instskip(SKIP_1) | instid1(VALU_DEP_2)
	v_lshl_add_u32 v9, v41, 23, v9
	v_cmp_lt_i16_e32 vcc_lo, -1, v2
	v_lshl_or_b32 v8, v8, 21, v9
	v_cndmask_b32_e32 v2, 0xff800000, v112, vcc_lo
	v_and_b32_e32 v9, 0x7c0000, v11
	v_cmp_eq_u32_e32 vcc_lo, 0, v5
	s_delay_alu instid0(VALU_DEP_4) | instskip(NEXT) | instid1(VALU_DEP_4)
	v_add_nc_u32_e32 v5, 0x38000000, v8
	v_cndmask_b32_e32 v2, 0x7f800001, v2, vcc_lo
	s_delay_alu instid0(VALU_DEP_4) | instskip(NEXT) | instid1(VALU_DEP_2)
	v_cmp_eq_u32_e32 vcc_lo, 0x7c0000, v9
	v_cndmask_b32_e32 v5, v5, v2, vcc_lo
.LBB4_4968:                             ;   in Loop: Header=BB4_4466 Depth=3
	s_or_b32 exec_lo, exec_lo, s14
	s_delay_alu instid0(VALU_DEP_1) | instskip(SKIP_1) | instid1(VALU_DEP_1)
	v_dual_mul_f32 v4, v4, v5 :: v_dual_mov_b32 v9, v3
                                        ; implicit-def: $vgpr41
	s_mov_b32 s14, exec_lo
	v_and_b32_e32 v8, 0x7f800000, v4
	v_and_b32_e32 v2, 0x7fffff, v4
	v_lshrrev_b32_e32 v5, 24, v4
	s_delay_alu instid0(VALU_DEP_3)
	v_cmpx_ne_u64_e32 0x7f800000, v[8:9]
	s_xor_b32 s15, exec_lo, s14
	s_cbranch_execz .LBB4_4982
; %bb.4969:                             ;   in Loop: Header=BB4_4466 Depth=3
	v_and_b32_e32 v8, 0x7fffffff, v4
	v_mov_b32_e32 v9, v3
	v_and_b32_e32 v43, 0x80, v5
                                        ; implicit-def: $vgpr41
	s_mov_b32 s14, exec_lo
	s_delay_alu instid0(VALU_DEP_2)
	v_cmpx_gt_u64_e32 0x47600001, v[8:9]
	s_xor_b32 s42, exec_lo, s14
	s_cbranch_execz .LBB4_4979
; %bb.4970:                             ;   in Loop: Header=BB4_4466 Depth=3
	v_mov_b32_e32 v41, 0
	s_mov_b32 s43, exec_lo
	v_cmpx_ne_u32_e32 0, v4
	s_cbranch_execz .LBB4_4978
; %bb.4971:                             ;   in Loop: Header=BB4_4466 Depth=3
	v_bfe_u32 v41, v4, 23, 8
	v_or_b32_e32 v8, 0x800000, v2
	s_mov_b32 s75, exec_lo
	s_delay_alu instid0(VALU_DEP_2) | instskip(SKIP_1) | instid1(VALU_DEP_2)
	v_dual_mov_b32 v9, v3 :: v_dual_sub_nc_u32 v4, 0x71, v41
	v_cmp_gt_u32_e32 vcc_lo, 0x72, v41
	v_cndmask_b32_e32 v4, 0, v4, vcc_lo
	v_cmp_eq_u32_e32 vcc_lo, 0, v41
	v_cndmask_b32_e32 v8, v8, v2, vcc_lo
	s_delay_alu instid0(VALU_DEP_3) | instskip(NEXT) | instid1(VALU_DEP_1)
	v_cndmask_b32_e64 v44, v4, 0x70, vcc_lo
	v_dual_add_nc_u32 v4, 21, v44 :: v_dual_add_nc_u32 v45, 20, v44
	s_delay_alu instid0(VALU_DEP_1) | instskip(NEXT) | instid1(VALU_DEP_2)
	v_lshlrev_b64_e64 v[4:5], v4, -1
	v_lshlrev_b64_e64 v[46:47], v45, 1
	s_delay_alu instid0(VALU_DEP_2) | instskip(NEXT) | instid1(VALU_DEP_3)
	v_bfi_b32 v57, v5, 0, 0
	v_bfi_b32 v56, v4, 0, v8
	v_lshrrev_b64 v[4:5], v44, v[8:9]
	s_delay_alu instid0(VALU_DEP_1) | instskip(NEXT) | instid1(VALU_DEP_3)
	v_mov_b64_e32 v[8:9], v[4:5]
	v_cmpx_eq_u64_e64 v[56:57], v[46:47]
; %bb.4972:                             ;   in Loop: Header=BB4_4466 Depth=3
	v_bfe_u32 v8, v4, 21, 1
	v_mov_b32_e32 v9, v3
	s_delay_alu instid0(VALU_DEP_1) | instskip(NEXT) | instid1(VALU_DEP_1)
	v_add_nc_u64_e32 v[8:9], v[4:5], v[8:9]
	v_add_nc_u64_e32 v[8:9], -1, v[8:9]
; %bb.4973:                             ;   in Loop: Header=BB4_4466 Depth=3
	s_or_b32 exec_lo, exec_lo, s75
	v_add_nc_u32_e32 v2, 0xffffff81, v41
	s_delay_alu instid0(VALU_DEP_2) | instskip(SKIP_2) | instid1(VALU_DEP_3)
	v_and_b32_e32 v8, 0x1fffff, v8
	v_lshrrev_b32_e32 v5, 23, v4
	s_mov_b32 s14, exec_lo
	v_cndmask_b32_e64 v2, v2, 0xffffff82, vcc_lo
	s_delay_alu instid0(VALU_DEP_1) | instskip(SKIP_1) | instid1(VALU_DEP_2)
	v_add3_u32 v9, v44, v2, v5
	v_add_nc_u32_e32 v2, v8, v4
                                        ; implicit-def: $vgpr4_vgpr5
                                        ; implicit-def: $vgpr8
	v_add_nc_u32_e32 v41, 14, v9
	s_delay_alu instid0(VALU_DEP_1)
	v_cmpx_ne_u32_e32 0, v41
	s_xor_b32 s14, exec_lo, s14
; %bb.4974:                             ;   in Loop: Header=BB4_4466 Depth=3
	s_delay_alu instid0(VALU_DEP_3) | instskip(SKIP_1) | instid1(VALU_DEP_1)
	v_cmp_lt_u64_e32 vcc_lo, 0xffffff, v[2:3]
	v_add_nc_u32_e32 v4, 15, v9
	v_cndmask_b32_e32 v8, v41, v4, vcc_lo
	v_cndmask_b32_e64 v4, 0, 1, vcc_lo
	s_delay_alu instid0(VALU_DEP_1)
	v_lshrrev_b64 v[4:5], v4, v[2:3]
; %bb.4975:                             ;   in Loop: Header=BB4_4466 Depth=3
	s_and_not1_saveexec_b32 s14, s14
; %bb.4976:                             ;   in Loop: Header=BB4_4466 Depth=3
	v_mov_b64_e32 v[4:5], v[2:3]
	v_bfe_u32 v8, v2, 23, 1
; %bb.4977:                             ;   in Loop: Header=BB4_4466 Depth=3
	s_or_b32 exec_lo, exec_lo, s14
	s_delay_alu instid0(VALU_DEP_2) | instskip(NEXT) | instid1(VALU_DEP_2)
	v_lshrrev_b64 v[4:5], 21, v[4:5]
	v_cmp_gt_i32_e32 vcc_lo, 32, v8
	v_min_i32_e32 v2, 31, v8
	v_cmp_eq_u32_e64 s14, 0, v8
	s_delay_alu instid0(VALU_DEP_2) | instskip(SKIP_1) | instid1(VALU_DEP_2)
	v_dual_cndmask_b32 v5, 0, v5 :: v_dual_lshlrev_b32 v2, 2, v2
	v_cndmask_b32_e32 v4, 3, v4, vcc_lo
	v_and_b32_e32 v2, 0xfc, v2
	s_delay_alu instid0(VALU_DEP_2) | instskip(NEXT) | instid1(VALU_DEP_2)
	v_cmp_eq_u64_e32 vcc_lo, 0, v[4:5]
	v_and_or_b32 v2, v4, 3, v2
	s_and_b32 s14, s14, vcc_lo
	s_delay_alu instid0(VALU_DEP_1) | instid1(SALU_CYCLE_1)
	v_cndmask_b32_e64 v2, v2, 0, s14
	s_delay_alu instid0(VALU_DEP_1)
	v_or_b32_e32 v41, v2, v43
.LBB4_4978:                             ;   in Loop: Header=BB4_4466 Depth=3
	s_or_b32 exec_lo, exec_lo, s43
                                        ; implicit-def: $vgpr43
.LBB4_4979:                             ;   in Loop: Header=BB4_4466 Depth=3
	s_and_not1_saveexec_b32 s14, s42
; %bb.4980:                             ;   in Loop: Header=BB4_4466 Depth=3
	v_or_b32_e32 v41, 0x7b, v43
; %bb.4981:                             ;   in Loop: Header=BB4_4466 Depth=3
	s_or_b32 exec_lo, exec_lo, s14
                                        ; implicit-def: $vgpr4
                                        ; implicit-def: $vgpr5
.LBB4_4982:                             ;   in Loop: Header=BB4_4466 Depth=3
	s_and_not1_saveexec_b32 s14, s15
	s_cbranch_execz .LBB4_4988
; %bb.4983:                             ;   in Loop: Header=BB4_4466 Depth=3
	s_mov_b32 s15, exec_lo
                                        ; implicit-def: $vgpr41
	v_cmpx_ne_u64_e32 0, v[2:3]
	s_xor_b32 s15, exec_lo, s15
; %bb.4984:                             ;   in Loop: Header=BB4_4466 Depth=3
	v_or_b32_e32 v41, 0x7f, v5
                                        ; implicit-def: $vgpr4
; %bb.4985:                             ;   in Loop: Header=BB4_4466 Depth=3
	s_and_not1_saveexec_b32 s15, s15
; %bb.4986:                             ;   in Loop: Header=BB4_4466 Depth=3
	v_cmp_lt_i32_e32 vcc_lo, -1, v4
	v_cndmask_b32_e32 v41, 0xfc, v113, vcc_lo
; %bb.4987:                             ;   in Loop: Header=BB4_4466 Depth=3
	s_or_b32 exec_lo, exec_lo, s15
.LBB4_4988:                             ;   in Loop: Header=BB4_4466 Depth=3
	s_delay_alu instid0(SALU_CYCLE_1)
	s_or_b32 exec_lo, exec_lo, s14
	v_mov_b32_e32 v4, 0
	s_mov_b32 s14, exec_lo
	v_cmpx_lt_u64_e64 s[22:23], v[14:15]
	s_cbranch_execz .LBB4_4998
; %bb.4989:                             ;   in Loop: Header=BB4_4466 Depth=3
	v_lshrrev_b32_e32 v2, 24, v15
	v_bfrev_b32_e32 v4, 1
	s_mov_b32 s15, exec_lo
	s_delay_alu instid0(VALU_DEP_2)
	v_cmpx_ne_u32_e32 0x80, v2
	s_cbranch_execz .LBB4_4997
; %bb.4990:                             ;   in Loop: Header=BB4_4466 Depth=3
	v_and_b32_e32 v4, 0x7c000000, v15
	v_bfe_u32 v5, v15, 24, 2
	s_delay_alu instid0(VALU_DEP_2) | instskip(SKIP_1) | instid1(SALU_CYCLE_1)
	v_cmp_ne_u32_e32 vcc_lo, 0x7c000000, v4
                                        ; implicit-def: $vgpr4
	s_and_saveexec_b32 s42, vcc_lo
	s_xor_b32 s42, exec_lo, s42
	s_cbranch_execz .LBB4_4994
; %bb.4991:                             ;   in Loop: Header=BB4_4466 Depth=3
	v_bfe_u32 v4, v15, 26, 5
	s_mov_b32 s43, exec_lo
	s_delay_alu instid0(VALU_DEP_1)
	v_cmpx_eq_u32_e32 0, v4
; %bb.4992:                             ;   in Loop: Header=BB4_4466 Depth=3
	v_clz_i32_u32_e32 v4, v5
	s_delay_alu instid0(VALU_DEP_1) | instskip(NEXT) | instid1(VALU_DEP_1)
	v_min_u32_e32 v4, 32, v4
	v_subrev_nc_u32_e32 v5, 29, v4
	v_sub_nc_u32_e32 v4, 30, v4
	s_delay_alu instid0(VALU_DEP_2) | instskip(NEXT) | instid1(VALU_DEP_1)
	v_lshlrev_b64_e32 v[8:9], v5, v[2:3]
	v_and_b32_e32 v5, 3, v8
; %bb.4993:                             ;   in Loop: Header=BB4_4466 Depth=3
	s_or_b32 exec_lo, exec_lo, s43
	v_and_b32_e32 v2, 0x80000000, v15
                                        ; implicit-def: $vgpr14_vgpr15
	s_delay_alu instid0(VALU_DEP_1) | instskip(NEXT) | instid1(VALU_DEP_1)
	v_lshl_add_u32 v2, v4, 23, v2
	v_lshl_or_b32 v2, v5, 21, v2
                                        ; implicit-def: $vgpr5
	s_delay_alu instid0(VALU_DEP_1)
	v_add_nc_u32_e32 v4, 0x38000000, v2
.LBB4_4994:                             ;   in Loop: Header=BB4_4466 Depth=3
	s_and_not1_saveexec_b32 s42, s42
; %bb.4995:                             ;   in Loop: Header=BB4_4466 Depth=3
	v_cmp_lt_i64_e32 vcc_lo, -1, v[14:15]
	v_cndmask_b32_e32 v2, 0xff800000, v112, vcc_lo
	v_cmp_eq_u32_e32 vcc_lo, 0, v5
	s_delay_alu instid0(VALU_DEP_2)
	v_cndmask_b32_e32 v4, 0x7f800001, v2, vcc_lo
; %bb.4996:                             ;   in Loop: Header=BB4_4466 Depth=3
	s_or_b32 exec_lo, exec_lo, s42
.LBB4_4997:                             ;   in Loop: Header=BB4_4466 Depth=3
	s_delay_alu instid0(SALU_CYCLE_1)
	s_or_b32 exec_lo, exec_lo, s15
.LBB4_4998:                             ;   in Loop: Header=BB4_4466 Depth=3
	s_delay_alu instid0(SALU_CYCLE_1) | instskip(SKIP_2) | instid1(VALU_DEP_2)
	s_or_b32 exec_lo, exec_lo, s14
	v_bfe_u32 v5, v11, 24, 2
	v_bfe_u32 v15, v11, 26, 5
	v_clz_i32_u32_e32 v2, v5
	s_delay_alu instid0(VALU_DEP_2) | instskip(NEXT) | instid1(VALU_DEP_2)
	v_cmp_eq_u32_e32 vcc_lo, 0, v15
	v_min_u32_e32 v14, 32, v2
	v_lshrrev_b32_e32 v2, 24, v11
	s_delay_alu instid0(VALU_DEP_2) | instskip(NEXT) | instid1(VALU_DEP_1)
	v_subrev_nc_u32_e32 v8, 29, v14
	v_lshlrev_b64_e32 v[8:9], v8, v[2:3]
	v_sub_nc_u32_e32 v9, 30, v14
	v_and_b32_e32 v14, 0x80000000, v11
	s_delay_alu instid0(VALU_DEP_2) | instskip(NEXT) | instid1(VALU_DEP_1)
	v_dual_cndmask_b32 v9, v15, v9, vcc_lo :: v_dual_bitop2_b32 v8, 3, v8 bitop3:0x40
	v_lshl_add_u32 v9, v9, 23, v14
	s_delay_alu instid0(VALU_DEP_2) | instskip(SKIP_1) | instid1(VALU_DEP_2)
	v_cndmask_b32_e32 v8, v5, v8, vcc_lo
	v_cmp_lt_i64_e32 vcc_lo, -1, v[10:11]
	v_lshl_or_b32 v8, v8, 21, v9
	v_and_b32_e32 v9, 0x7c000000, v11
	v_cndmask_b32_e32 v14, 0xff800000, v112, vcc_lo
	v_cmp_eq_u32_e32 vcc_lo, 0, v5
	s_delay_alu instid0(VALU_DEP_4) | instskip(NEXT) | instid1(VALU_DEP_3)
	v_add_nc_u32_e32 v8, 0x38000000, v8
	v_cndmask_b32_e32 v5, 0x7f800001, v14, vcc_lo
	v_cmp_eq_u32_e32 vcc_lo, 0x7c000000, v9
	s_delay_alu instid0(VALU_DEP_2) | instskip(SKIP_1) | instid1(VALU_DEP_2)
	v_dual_mov_b32 v9, v3 :: v_dual_cndmask_b32 v5, v8, v5, vcc_lo
	v_cmp_ne_u32_e32 vcc_lo, 0x80, v2
	v_cndmask_b32_e32 v2, 0x80000000, v5, vcc_lo
	v_cmp_lt_u64_e32 vcc_lo, s[22:23], v[10:11]
	s_delay_alu instid0(VALU_DEP_2) | instskip(NEXT) | instid1(VALU_DEP_1)
	v_cndmask_b32_e32 v2, 0, v2, vcc_lo
	v_mul_f32_e32 v5, v2, v4
                                        ; implicit-def: $vgpr4
	s_delay_alu instid0(VALU_DEP_1) | instskip(SKIP_1) | instid1(VALU_DEP_2)
	v_and_b32_e32 v8, 0x7f800000, v5
	v_and_b32_e32 v2, 0x7fffff, v5
	v_cmp_ne_u64_e32 vcc_lo, 0x7f800000, v[8:9]
	v_lshrrev_b32_e32 v8, 24, v5
	s_and_saveexec_b32 s14, vcc_lo
	s_delay_alu instid0(SALU_CYCLE_1)
	s_xor_b32 s15, exec_lo, s14
	s_cbranch_execz .LBB4_5012
; %bb.4999:                             ;   in Loop: Header=BB4_4466 Depth=3
	v_and_b32_e32 v10, 0x7fffffff, v5
	v_mov_b32_e32 v11, v3
                                        ; implicit-def: $vgpr4
	s_delay_alu instid0(VALU_DEP_1) | instskip(SKIP_2) | instid1(SALU_CYCLE_1)
	v_cmp_gt_u64_e32 vcc_lo, 0x47600001, v[10:11]
	v_and_b32_e32 v10, 0x80, v8
	s_and_saveexec_b32 s14, vcc_lo
	s_xor_b32 s42, exec_lo, s14
	s_cbranch_execz .LBB4_5009
; %bb.5000:                             ;   in Loop: Header=BB4_4466 Depth=3
	v_mov_b32_e32 v4, 0
	s_mov_b32 s43, exec_lo
	v_cmpx_ne_u32_e32 0, v5
	s_cbranch_execz .LBB4_5008
; %bb.5001:                             ;   in Loop: Header=BB4_4466 Depth=3
	v_bfe_u32 v11, v5, 23, 8
	v_or_b32_e32 v8, 0x800000, v2
	s_mov_b32 s75, exec_lo
	s_delay_alu instid0(VALU_DEP_2) | instskip(SKIP_1) | instid1(VALU_DEP_2)
	v_dual_mov_b32 v9, v3 :: v_dual_sub_nc_u32 v4, 0x71, v11
	v_cmp_gt_u32_e32 vcc_lo, 0x72, v11
	v_cndmask_b32_e32 v4, 0, v4, vcc_lo
	v_cmp_eq_u32_e32 vcc_lo, 0, v11
	s_delay_alu instid0(VALU_DEP_2) | instskip(SKIP_1) | instid1(VALU_DEP_2)
	v_cndmask_b32_e64 v14, v4, 0x70, vcc_lo
	v_cndmask_b32_e32 v8, v8, v2, vcc_lo
	v_dual_add_nc_u32 v4, 21, v14 :: v_dual_add_nc_u32 v15, 20, v14
	s_delay_alu instid0(VALU_DEP_1) | instskip(NEXT) | instid1(VALU_DEP_2)
	v_lshlrev_b64_e64 v[4:5], v4, -1
	v_lshlrev_b64_e64 v[44:45], v15, 1
	s_delay_alu instid0(VALU_DEP_2) | instskip(NEXT) | instid1(VALU_DEP_3)
	v_bfi_b32 v47, v5, 0, 0
	v_bfi_b32 v46, v4, 0, v8
	v_lshrrev_b64 v[4:5], v14, v[8:9]
	s_delay_alu instid0(VALU_DEP_1) | instskip(NEXT) | instid1(VALU_DEP_3)
	v_mov_b64_e32 v[8:9], v[4:5]
	v_cmpx_eq_u64_e64 v[46:47], v[44:45]
; %bb.5002:                             ;   in Loop: Header=BB4_4466 Depth=3
	v_bfe_u32 v8, v4, 21, 1
	v_mov_b32_e32 v9, v3
	s_delay_alu instid0(VALU_DEP_1) | instskip(NEXT) | instid1(VALU_DEP_1)
	v_add_nc_u64_e32 v[8:9], v[4:5], v[8:9]
	v_add_nc_u64_e32 v[8:9], -1, v[8:9]
; %bb.5003:                             ;   in Loop: Header=BB4_4466 Depth=3
	s_or_b32 exec_lo, exec_lo, s75
	v_add_nc_u32_e32 v2, 0xffffff81, v11
	s_delay_alu instid0(VALU_DEP_2) | instskip(SKIP_2) | instid1(VALU_DEP_3)
	v_and_b32_e32 v8, 0x1fffff, v8
	v_lshrrev_b32_e32 v5, 23, v4
	s_mov_b32 s14, exec_lo
	v_cndmask_b32_e64 v2, v2, 0xffffff82, vcc_lo
	s_delay_alu instid0(VALU_DEP_1) | instskip(SKIP_1) | instid1(VALU_DEP_2)
	v_add3_u32 v9, v14, v2, v5
	v_add_nc_u32_e32 v2, v8, v4
                                        ; implicit-def: $vgpr4_vgpr5
                                        ; implicit-def: $vgpr8
	v_add_nc_u32_e32 v11, 14, v9
	s_delay_alu instid0(VALU_DEP_1)
	v_cmpx_ne_u32_e32 0, v11
	s_xor_b32 s14, exec_lo, s14
; %bb.5004:                             ;   in Loop: Header=BB4_4466 Depth=3
	s_delay_alu instid0(VALU_DEP_3) | instskip(SKIP_1) | instid1(VALU_DEP_1)
	v_cmp_lt_u64_e32 vcc_lo, 0xffffff, v[2:3]
	v_add_nc_u32_e32 v4, 15, v9
	v_cndmask_b32_e32 v8, v11, v4, vcc_lo
	v_cndmask_b32_e64 v4, 0, 1, vcc_lo
	s_delay_alu instid0(VALU_DEP_1)
	v_lshrrev_b64 v[4:5], v4, v[2:3]
; %bb.5005:                             ;   in Loop: Header=BB4_4466 Depth=3
	s_and_not1_saveexec_b32 s14, s14
; %bb.5006:                             ;   in Loop: Header=BB4_4466 Depth=3
	v_mov_b64_e32 v[4:5], v[2:3]
	v_bfe_u32 v8, v2, 23, 1
; %bb.5007:                             ;   in Loop: Header=BB4_4466 Depth=3
	s_or_b32 exec_lo, exec_lo, s14
	s_delay_alu instid0(VALU_DEP_2) | instskip(NEXT) | instid1(VALU_DEP_2)
	v_lshrrev_b64 v[4:5], 21, v[4:5]
	v_cmp_gt_i32_e32 vcc_lo, 32, v8
	v_min_i32_e32 v2, 31, v8
	v_cmp_eq_u32_e64 s14, 0, v8
	s_delay_alu instid0(VALU_DEP_2) | instskip(SKIP_1) | instid1(VALU_DEP_2)
	v_dual_cndmask_b32 v5, 0, v5 :: v_dual_lshlrev_b32 v2, 2, v2
	v_cndmask_b32_e32 v4, 3, v4, vcc_lo
	v_and_b32_e32 v2, 0xfc, v2
	s_delay_alu instid0(VALU_DEP_2) | instskip(NEXT) | instid1(VALU_DEP_2)
	v_cmp_eq_u64_e32 vcc_lo, 0, v[4:5]
	v_and_or_b32 v2, v4, 3, v2
	s_and_b32 s14, s14, vcc_lo
	s_delay_alu instid0(VALU_DEP_1) | instid1(SALU_CYCLE_1)
	v_cndmask_b32_e64 v2, v2, 0, s14
	s_delay_alu instid0(VALU_DEP_1)
	v_or_b32_e32 v4, v2, v10
.LBB4_5008:                             ;   in Loop: Header=BB4_4466 Depth=3
	s_or_b32 exec_lo, exec_lo, s43
                                        ; implicit-def: $vgpr10
.LBB4_5009:                             ;   in Loop: Header=BB4_4466 Depth=3
	s_and_not1_saveexec_b32 s14, s42
; %bb.5010:                             ;   in Loop: Header=BB4_4466 Depth=3
	v_or_b32_e32 v4, 0x7b, v10
; %bb.5011:                             ;   in Loop: Header=BB4_4466 Depth=3
	s_or_b32 exec_lo, exec_lo, s14
                                        ; implicit-def: $vgpr5
                                        ; implicit-def: $vgpr8
.LBB4_5012:                             ;   in Loop: Header=BB4_4466 Depth=3
	s_and_not1_saveexec_b32 s14, s15
	s_cbranch_execz .LBB4_5018
; %bb.5013:                             ;   in Loop: Header=BB4_4466 Depth=3
	s_mov_b32 s15, exec_lo
                                        ; implicit-def: $vgpr4
	v_cmpx_ne_u64_e32 0, v[2:3]
	s_xor_b32 s15, exec_lo, s15
; %bb.5014:                             ;   in Loop: Header=BB4_4466 Depth=3
	v_or_b32_e32 v4, 0x7f, v8
                                        ; implicit-def: $vgpr5
; %bb.5015:                             ;   in Loop: Header=BB4_4466 Depth=3
	s_and_not1_saveexec_b32 s15, s15
; %bb.5016:                             ;   in Loop: Header=BB4_4466 Depth=3
	v_cmp_lt_i32_e32 vcc_lo, -1, v5
	v_cndmask_b32_e32 v4, 0xfc, v113, vcc_lo
; %bb.5017:                             ;   in Loop: Header=BB4_4466 Depth=3
	s_or_b32 exec_lo, exec_lo, s15
.LBB4_5018:                             ;   in Loop: Header=BB4_4466 Depth=3
	s_delay_alu instid0(SALU_CYCLE_1)
	s_or_b32 exec_lo, exec_lo, s14
	v_lshl_or_b32 v2, v27, 8, v26
	v_dual_lshlrev_b32 v5, 16, v24 :: v_dual_lshlrev_b32 v8, 24, v25
	v_lshl_or_b32 v10, v85, 8, v84
	v_dual_lshlrev_b32 v11, 16, v100 :: v_dual_lshlrev_b32 v14, 24, v101
	;; [unrolled: 2-line block ×3, first 2 shown]
	v_dual_lshlrev_b32 v4, 24, v4 :: v_dual_lshlrev_b32 v26, 16, v41
	v_lshl_or_b32 v12, v13, 8, v12
	v_or3_b32 v9, v2, v5, v8
	v_or3_b32 v8, v10, v11, v14
	;; [unrolled: 1-line block ×3, first 2 shown]
	s_mov_b64 s[42:43], 0
	v_or3_b32 v11, v12, v26, v4
	s_mov_b32 s75, -1
.LBB4_5019:                             ;   Parent Loop BB4_47 Depth=1
                                        ;     Parent Loop BB4_3099 Depth=2
                                        ;       Parent Loop BB4_4466 Depth=3
                                        ; =>      This Inner Loop Header: Depth=4
	s_cmp_eq_u32 s42, 1
	s_cselect_b32 vcc_lo, -1, 0
	s_cmp_eq_u32 s42, 0
	s_wait_xcnt 0x0
	v_dual_cndmask_b32 v5, v17, v19 :: v_dual_cndmask_b32 v4, v16, v18
	s_cselect_b32 s14, -1, 0
	s_and_b32 s15, exec_lo, s75
	s_mov_b64 s[42:43], 1
	s_mov_b32 s75, 0
	v_add_nc_u64_e32 v[12:13], 0x200, v[4:5]
	global_store_b128 v[4:5], v[8:11], off th:TH_STORE_NT
	v_dual_cndmask_b32 v19, v19, v13 :: v_dual_cndmask_b32 v18, v18, v12
	v_dual_cndmask_b32 v17, v17, v13, s14 :: v_dual_cndmask_b32 v16, v16, v12, s14
	s_mov_b32 vcc_lo, s15
	s_cbranch_vccnz .LBB4_5019
; %bb.5020:                             ;   in Loop: Header=BB4_4466 Depth=3
	v_dual_sub_nc_u32 v67, v67, v70 :: v_dual_sub_nc_u32 v66, v66, v52
	v_add_nc_u64_e32 v[20:21], v[20:21], v[62:63]
	v_add_nc_u64_e32 v[22:23], v[22:23], v[62:63]
	;; [unrolled: 1-line block ×3, first 2 shown]
	s_delay_alu instid0(VALU_DEP_4)
	v_cmp_gt_i32_e32 vcc_lo, 16, v67
	v_add_nc_u64_e32 v[18:19], v[18:19], v[86:87]
	s_or_b32 s74, vcc_lo, s74
	s_wait_xcnt 0x0
	s_and_not1_b32 exec_lo, exec_lo, s74
	s_cbranch_execnz .LBB4_4466
	s_branch .LBB4_5045
.LBB4_5021:                             ;   in Loop: Header=BB4_4466 Depth=3
	s_or_saveexec_b32 s14, s14
	v_bfrev_b32_e32 v4, 1
	s_xor_b32 exec_lo, exec_lo, s14
	s_cbranch_execz .LBB4_4480
.LBB4_5022:                             ;   in Loop: Header=BB4_4466 Depth=3
	v_cmp_ne_u16_e32 vcc_lo, 0, v5
	v_mov_b32_e32 v4, 0
	s_and_not1_b32 s15, s15, exec_lo
	s_and_b32 s42, vcc_lo, exec_lo
	s_delay_alu instid0(SALU_CYCLE_1)
	s_or_b32 s15, s15, s42
	s_or_b32 exec_lo, exec_lo, s14
	s_and_saveexec_b32 s14, s15
	s_cbranch_execnz .LBB4_4481
	s_branch .LBB4_4482
.LBB4_5023:                             ;   in Loop: Header=BB4_4466 Depth=3
	s_or_saveexec_b32 s14, s14
	v_bfrev_b32_e32 v5, 1
	s_xor_b32 exec_lo, exec_lo, s14
	s_cbranch_execz .LBB4_4516
.LBB4_5024:                             ;   in Loop: Header=BB4_4466 Depth=3
	v_cmp_ne_u16_e32 vcc_lo, 0, v4
	v_mov_b32_e32 v5, 0
	s_and_not1_b32 s15, s15, exec_lo
	s_and_b32 s42, vcc_lo, exec_lo
	s_delay_alu instid0(SALU_CYCLE_1)
	s_or_b32 s15, s15, s42
	s_or_b32 exec_lo, exec_lo, s14
	s_and_saveexec_b32 s14, s15
	s_cbranch_execnz .LBB4_4517
	s_branch .LBB4_4518
.LBB4_5025:                             ;   in Loop: Header=BB4_4466 Depth=3
	s_or_saveexec_b32 s14, s14
	v_bfrev_b32_e32 v5, 1
	s_xor_b32 exec_lo, exec_lo, s14
	s_cbranch_execz .LBB4_4552
.LBB4_5026:                             ;   in Loop: Header=BB4_4466 Depth=3
	v_cmp_ne_u16_e32 vcc_lo, 0, v24
	v_mov_b32_e32 v5, 0
	s_and_not1_b32 s15, s15, exec_lo
	s_and_b32 s42, vcc_lo, exec_lo
	s_delay_alu instid0(SALU_CYCLE_1)
	s_or_b32 s15, s15, s42
	s_or_b32 exec_lo, exec_lo, s14
	s_and_saveexec_b32 s14, s15
	s_cbranch_execnz .LBB4_4553
	s_branch .LBB4_4554
.LBB4_5027:                             ;   in Loop: Header=BB4_4466 Depth=3
	s_or_saveexec_b32 s14, s14
	v_bfrev_b32_e32 v25, 1
	s_xor_b32 exec_lo, exec_lo, s14
	s_cbranch_execz .LBB4_4618
.LBB4_5028:                             ;   in Loop: Header=BB4_4466 Depth=3
	v_cmp_ne_u16_e32 vcc_lo, 0, v5
	v_mov_b32_e32 v25, 0
	s_and_not1_b32 s15, s15, exec_lo
	s_and_b32 s42, vcc_lo, exec_lo
	s_delay_alu instid0(SALU_CYCLE_1)
	s_or_b32 s15, s15, s42
	s_or_b32 exec_lo, exec_lo, s14
	v_mov_b32_e32 v5, v3
	s_and_saveexec_b32 s14, s15
	s_cbranch_execnz .LBB4_4619
	s_branch .LBB4_4620
.LBB4_5029:                             ;   in Loop: Header=BB4_4466 Depth=3
	s_or_saveexec_b32 s14, s14
	v_bfrev_b32_e32 v2, 1
	s_xor_b32 exec_lo, exec_lo, s14
	s_cbranch_execz .LBB4_4654
.LBB4_5030:                             ;   in Loop: Header=BB4_4466 Depth=3
	v_cmp_ne_u16_e32 vcc_lo, 0, v24
	v_mov_b32_e32 v2, 0
	s_and_not1_b32 s15, s15, exec_lo
	s_and_b32 s42, vcc_lo, exec_lo
	s_delay_alu instid0(SALU_CYCLE_1)
	s_or_b32 s15, s15, s42
	s_or_b32 exec_lo, exec_lo, s14
	s_and_saveexec_b32 s14, s15
	s_cbranch_execnz .LBB4_4655
	s_branch .LBB4_4656
.LBB4_5031:                             ;   in Loop: Header=BB4_4466 Depth=3
	s_or_saveexec_b32 s14, s14
	v_bfrev_b32_e32 v5, 1
	s_xor_b32 exec_lo, exec_lo, s14
	s_cbranch_execz .LBB4_4690
.LBB4_5032:                             ;   in Loop: Header=BB4_4466 Depth=3
	v_cmp_ne_u16_e32 vcc_lo, 0, v24
	v_mov_b32_e32 v5, 0
	s_and_not1_b32 s15, s15, exec_lo
	s_and_b32 s42, vcc_lo, exec_lo
	s_delay_alu instid0(SALU_CYCLE_1)
	s_or_b32 s15, s15, s42
	s_or_b32 exec_lo, exec_lo, s14
	s_and_saveexec_b32 s14, s15
	s_cbranch_execnz .LBB4_4691
	s_branch .LBB4_4692
.LBB4_5033:                             ;   in Loop: Header=BB4_4466 Depth=3
	s_or_saveexec_b32 s14, s14
	v_bfrev_b32_e32 v4, 1
	s_xor_b32 exec_lo, exec_lo, s14
	s_cbranch_execz .LBB4_4756
.LBB4_5034:                             ;   in Loop: Header=BB4_4466 Depth=3
	v_cmp_ne_u16_e32 vcc_lo, 0, v5
	v_mov_b32_e32 v4, 0
	s_and_not1_b32 s15, s15, exec_lo
	s_and_b32 s42, vcc_lo, exec_lo
	s_delay_alu instid0(SALU_CYCLE_1)
	s_or_b32 s15, s15, s42
	s_or_b32 exec_lo, exec_lo, s14
	s_and_saveexec_b32 s14, s15
	s_cbranch_execnz .LBB4_4757
	s_branch .LBB4_4758
.LBB4_5035:                             ;   in Loop: Header=BB4_4466 Depth=3
	s_or_saveexec_b32 s14, s14
	v_bfrev_b32_e32 v5, 1
	s_xor_b32 exec_lo, exec_lo, s14
	s_cbranch_execz .LBB4_4792
.LBB4_5036:                             ;   in Loop: Header=BB4_4466 Depth=3
	v_cmp_ne_u16_e32 vcc_lo, 0, v4
	v_mov_b32_e32 v5, 0
	s_and_not1_b32 s15, s15, exec_lo
	s_and_b32 s42, vcc_lo, exec_lo
	s_delay_alu instid0(SALU_CYCLE_1)
	s_or_b32 s15, s15, s42
	s_or_b32 exec_lo, exec_lo, s14
	s_and_saveexec_b32 s14, s15
	s_cbranch_execnz .LBB4_4793
	s_branch .LBB4_4794
.LBB4_5037:                             ;   in Loop: Header=BB4_4466 Depth=3
	s_or_saveexec_b32 s14, s14
	v_bfrev_b32_e32 v5, 1
	s_xor_b32 exec_lo, exec_lo, s14
	s_cbranch_execz .LBB4_4828
.LBB4_5038:                             ;   in Loop: Header=BB4_4466 Depth=3
	v_cmp_ne_u16_e32 vcc_lo, 0, v8
	v_mov_b32_e32 v5, 0
	s_and_not1_b32 s15, s15, exec_lo
	s_and_b32 s42, vcc_lo, exec_lo
	s_delay_alu instid0(SALU_CYCLE_1)
	s_or_b32 s15, s15, s42
	s_or_b32 exec_lo, exec_lo, s14
	s_and_saveexec_b32 s14, s15
	s_cbranch_execnz .LBB4_4829
	s_branch .LBB4_4830
.LBB4_5039:                             ;   in Loop: Header=BB4_4466 Depth=3
	s_or_saveexec_b32 s14, s14
	v_bfrev_b32_e32 v9, 1
	s_xor_b32 exec_lo, exec_lo, s14
	s_cbranch_execz .LBB4_4894
.LBB4_5040:                             ;   in Loop: Header=BB4_4466 Depth=3
	v_cmp_ne_u16_e32 vcc_lo, 0, v5
	v_mov_b32_e32 v9, 0
	s_and_not1_b32 s15, s15, exec_lo
	s_and_b32 s42, vcc_lo, exec_lo
	s_delay_alu instid0(SALU_CYCLE_1)
	s_or_b32 s15, s15, s42
	s_or_b32 exec_lo, exec_lo, s14
	v_mov_b32_e32 v5, v3
	s_and_saveexec_b32 s14, s15
	s_cbranch_execnz .LBB4_4895
	s_branch .LBB4_4896
.LBB4_5041:                             ;   in Loop: Header=BB4_4466 Depth=3
	s_or_saveexec_b32 s14, s14
	v_bfrev_b32_e32 v2, 1
	s_xor_b32 exec_lo, exec_lo, s14
	s_cbranch_execz .LBB4_4930
.LBB4_5042:                             ;   in Loop: Header=BB4_4466 Depth=3
	v_cmp_ne_u16_e32 vcc_lo, 0, v8
	v_mov_b32_e32 v2, 0
	s_and_not1_b32 s15, s15, exec_lo
	s_and_b32 s42, vcc_lo, exec_lo
	s_delay_alu instid0(SALU_CYCLE_1)
	s_or_b32 s15, s15, s42
	s_or_b32 exec_lo, exec_lo, s14
	s_and_saveexec_b32 s14, s15
	s_cbranch_execnz .LBB4_4931
	s_branch .LBB4_4932
.LBB4_5043:                             ;   in Loop: Header=BB4_4466 Depth=3
	s_or_saveexec_b32 s14, s14
	v_bfrev_b32_e32 v5, 1
	s_xor_b32 exec_lo, exec_lo, s14
	s_cbranch_execz .LBB4_4966
.LBB4_5044:                             ;   in Loop: Header=BB4_4466 Depth=3
	v_cmp_ne_u16_e32 vcc_lo, 0, v8
	v_mov_b32_e32 v5, 0
	s_and_not1_b32 s15, s15, exec_lo
	s_and_b32 s42, vcc_lo, exec_lo
	s_delay_alu instid0(SALU_CYCLE_1)
	s_or_b32 s15, s15, s42
	s_or_b32 exec_lo, exec_lo, s14
	s_and_saveexec_b32 s14, s15
	s_cbranch_execnz .LBB4_4967
	s_branch .LBB4_4968
.LBB4_5045:                             ;   in Loop: Header=BB4_3099 Depth=2
	s_or_b32 exec_lo, exec_lo, s74
.LBB4_5046:                             ;   in Loop: Header=BB4_3099 Depth=2
	s_delay_alu instid0(SALU_CYCLE_1) | instskip(SKIP_3) | instid1(VALU_DEP_1)
	s_or_b32 exec_lo, exec_lo, s73
	v_dual_mov_b32 v43, 0 :: v_dual_bitop2_b32 v4, 15, v88 bitop3:0x40
	s_mov_b32 s14, 0
	s_mov_b32 s15, exec_lo
                                        ; implicit-def: $vgpr46
                                        ; implicit-def: $vgpr2
	v_cndmask_b32_e64 v41, v31, v4, s13
	s_delay_alu instid0(VALU_DEP_1)
	v_cmpx_ne_u32_e32 0, v41
	s_cbranch_execz .LBB4_5048
; %bb.5047:                             ;   in Loop: Header=BB4_3099 Depth=2
	v_cmp_lt_i32_e32 vcc_lo, 0, v66
	s_mov_b32 s14, exec_lo
	v_sub_nc_u32_e32 v4, v31, v4
	v_cndmask_b32_e32 v2, 0, v52, vcc_lo
	s_delay_alu instid0(VALU_DEP_1) | instskip(NEXT) | instid1(VALU_DEP_1)
	v_dual_cndmask_b32 v4, 0, v4, s13 :: v_dual_sub_nc_u32 v2, v2, v66
	v_add3_u32 v43, v29, v28, v4
	s_delay_alu instid0(VALU_DEP_2) | instskip(NEXT) | instid1(VALU_DEP_1)
	v_lshl_add_u32 v46, v2, 5, v30
	v_ashrrev_i32_e32 v2, 31, v46
	s_delay_alu instid0(VALU_DEP_1) | instskip(NEXT) | instid1(VALU_DEP_1)
	v_lshrrev_b32_e32 v2, 27, v2
	v_add_nc_u32_e32 v2, v46, v2
	s_delay_alu instid0(VALU_DEP_1)
	v_ashrrev_i32_e32 v2, 5, v2
.LBB4_5048:                             ;   in Loop: Header=BB4_3099 Depth=2
	s_or_b32 exec_lo, exec_lo, s15
	s_delay_alu instid0(SALU_CYCLE_1)
	s_and_b32 s13, s14, exec_lo
.LBB4_5049:                             ;   in Loop: Header=BB4_3099 Depth=2
	s_or_b32 exec_lo, exec_lo, s72
	s_and_saveexec_b32 s15, s13
	s_cbranch_execz .LBB4_5808
.LBB4_5050:                             ;   in Loop: Header=BB4_3099 Depth=2
	v_ashrrev_i32_e32 v4, 31, v41
	s_mov_b32 s14, exec_lo
	s_delay_alu instid0(VALU_DEP_1) | instskip(NEXT) | instid1(VALU_DEP_1)
	v_lshrrev_b32_e32 v4, 23, v4
	v_add_nc_u32_e32 v4, v41, v4
	s_delay_alu instid0(VALU_DEP_1) | instskip(NEXT) | instid1(VALU_DEP_1)
	v_dual_ashrrev_i32 v5, 9, v4 :: v_dual_ashrrev_i32 v4, 31, v46
	v_dual_sub_nc_u32 v47, v5, v2 :: v_dual_lshrrev_b32 v4, 27, v4
	s_delay_alu instid0(VALU_DEP_1)
	v_cmpx_lt_i32_e32 0, v47
	s_cbranch_execz .LBB4_5758
; %bb.5051:                             ;   in Loop: Header=BB4_3099 Depth=2
	s_clause 0x2
	scratch_store_b32 off, v5, s33 offset:272
	scratch_store_b32 off, v88, s33 offset:264
	scratch_store_b32 off, v4, s33 offset:268
	s_wait_xcnt 0x0
	v_dual_add_nc_u32 v4, v46, v4 :: v_dual_lshlrev_b32 v2, 9, v2
	s_trap 2
	s_mov_b32 s42, 0
	scratch_load_b64 v[12:13], off, s33 offset:248 ; 8-byte Folded Reload
	v_and_b32_e32 v8, 0xffffffe0, v4
	ds_load_b64 v[4:5], v0
	v_sub_nc_u32_e32 v8, v46, v8
	s_delay_alu instid0(VALU_DEP_1) | instskip(SKIP_2) | instid1(VALU_DEP_1)
	v_add3_u32 v14, v43, v8, v2
	scratch_load_b64 v[8:9], off, s33 offset:224 ; 8-byte Folded Reload
	v_ashrrev_i32_e32 v15, 31, v14
	v_add_nc_u64_e32 v[10:11], v[14:15], v[58:59]
	s_wait_loadcnt 0x1
	v_add_nc_u64_e32 v[12:13], v[14:15], v[12:13]
	s_wait_loadcnt 0x0
	v_add_nc_u64_e32 v[8:9], v[14:15], v[8:9]
	s_wait_dscnt 0x0
	v_add_nc_u64_e32 v[14:15], v[4:5], v[14:15]
	s_branch .LBB4_5054
.LBB4_5052:                             ;   in Loop: Header=BB4_5054 Depth=3
	s_or_b32 exec_lo, exec_lo, s43
.LBB4_5053:                             ;   in Loop: Header=BB4_5054 Depth=3
	s_delay_alu instid0(SALU_CYCLE_1)
	s_or_b32 exec_lo, exec_lo, s13
	v_sub_nc_u32_e32 v47, v47, v52
	s_clause 0xf
	flat_store_b8 v[8:9], v100 th:TH_STORE_NT
	flat_store_b8 v[8:9], v101 offset:32 th:TH_STORE_NT
	flat_store_b8 v[8:9], v66 offset:64 th:TH_STORE_NT
	;; [unrolled: 1-line block ×15, first 2 shown]
	s_clause 0xf
	flat_store_b8 v[10:11], v100 th:TH_STORE_NT
	flat_store_b8 v[10:11], v101 offset:32 th:TH_STORE_NT
	flat_store_b8 v[10:11], v66 offset:64 th:TH_STORE_NT
	;; [unrolled: 1-line block ×15, first 2 shown]
	v_add_nc_u64_e32 v[12:13], v[12:13], v[70:71]
	v_add_nc_u64_e32 v[14:15], v[14:15], v[70:71]
	s_wait_xcnt 0x10
	v_add_nc_u64_e32 v[8:9], v[8:9], v[70:71]
	v_cmp_gt_i32_e32 vcc_lo, 1, v47
	s_wait_xcnt 0x0
	v_add_nc_u64_e32 v[10:11], v[10:11], v[70:71]
	s_or_b32 s42, vcc_lo, s42
	s_delay_alu instid0(SALU_CYCLE_1)
	s_and_not1_b32 exec_lo, exec_lo, s42
	s_cbranch_execz .LBB4_5757
.LBB4_5054:                             ;   Parent Loop BB4_47 Depth=1
                                        ;     Parent Loop BB4_3099 Depth=2
                                        ; =>    This Inner Loop Header: Depth=3
	s_clause 0xf
	flat_load_i8 v56, v[12:13] th:TH_LOAD_NT
	flat_load_i8 v116, v[12:13] offset:32 th:TH_LOAD_NT
	flat_load_i8 v4, v[12:13] offset:64 th:TH_LOAD_NT
	;; [unrolled: 1-line block ×15, first 2 shown]
	s_clause 0xf
	flat_load_i8 v44, v[14:15] th:TH_LOAD_NT
	flat_load_i8 v66, v[14:15] offset:32 th:TH_LOAD_NT
	flat_load_i8 v84, v[14:15] offset:64 th:TH_LOAD_NT
	;; [unrolled: 1-line block ×15, first 2 shown]
	v_dual_mov_b32 v2, 0 :: v_dual_mov_b32 v5, 0
	s_mov_b32 s43, exec_lo
	s_wait_loadcnt_dscnt 0x1f1f
	s_wait_xcnt 0x0
	v_cmpx_ne_u16_e32 0, v56
	s_cbranch_execz .LBB4_5064
; %bb.5055:                             ;   in Loop: Header=BB4_5054 Depth=3
	v_bfrev_b32_e32 v5, 1
	s_mov_b32 s72, exec_lo
	v_cmpx_ne_u16_e32 0xff80, v56
	s_cbranch_execz .LBB4_5063
; %bb.5056:                             ;   in Loop: Header=BB4_5054 Depth=3
	v_and_b32_e32 v5, 0x7c, v56
	v_and_b32_e32 v17, 3, v56
	s_delay_alu instid0(VALU_DEP_2) | instskip(SKIP_1) | instid1(SALU_CYCLE_1)
	v_cmp_ne_u32_e32 vcc_lo, 0x7c, v5
                                        ; implicit-def: $vgpr5
	s_and_saveexec_b32 s13, vcc_lo
	s_xor_b32 s13, exec_lo, s13
	s_cbranch_execz .LBB4_5060
; %bb.5057:                             ;   in Loop: Header=BB4_5054 Depth=3
	v_and_b32_e32 v5, 0xff, v56
	s_mov_b32 s73, exec_lo
	s_delay_alu instid0(VALU_DEP_1) | instskip(NEXT) | instid1(VALU_DEP_1)
	v_bfe_u32 v5, v5, 2, 5
	v_cmpx_eq_u32_e32 0, v5
	s_cbranch_execz .LBB4_5059
; %bb.5058:                             ;   in Loop: Header=BB4_5054 Depth=3
	v_clz_i32_u32_e32 v5, v17
	s_delay_alu instid0(VALU_DEP_1) | instskip(SKIP_1) | instid1(VALU_DEP_2)
	v_min_u32_e32 v5, 32, v5
	v_mov_b32_e32 v57, v3
	v_subrev_nc_u32_e32 v17, 29, v5
	v_sub_nc_u32_e32 v5, 30, v5
	s_delay_alu instid0(VALU_DEP_2) | instskip(NEXT) | instid1(VALU_DEP_1)
	v_lshlrev_b64_e32 v[100:101], v17, v[56:57]
	v_and_b32_e32 v17, 3, v100
.LBB4_5059:                             ;   in Loop: Header=BB4_5054 Depth=3
	s_or_b32 exec_lo, exec_lo, s73
	v_bfe_i32 v19, v56, 0, 16
                                        ; implicit-def: $vgpr56
	s_delay_alu instid0(VALU_DEP_1) | instskip(NEXT) | instid1(VALU_DEP_1)
	v_and_b32_e32 v19, 0x80000000, v19
	v_lshl_add_u32 v5, v5, 23, v19
	s_delay_alu instid0(VALU_DEP_1) | instskip(NEXT) | instid1(VALU_DEP_1)
	v_lshl_or_b32 v5, v17, 21, v5
                                        ; implicit-def: $vgpr17
	v_add_nc_u32_e32 v5, 0x38000000, v5
.LBB4_5060:                             ;   in Loop: Header=BB4_5054 Depth=3
	s_and_not1_saveexec_b32 s73, s13
; %bb.5061:                             ;   in Loop: Header=BB4_5054 Depth=3
	v_cmp_lt_i16_e64 s13, -1, v56
	v_cmp_eq_u32_e32 vcc_lo, 0, v17
	s_delay_alu instid0(VALU_DEP_2) | instskip(NEXT) | instid1(VALU_DEP_1)
	v_cndmask_b32_e64 v5, 0xff800000, v112, s13
	v_cndmask_b32_e32 v5, 0x7f800001, v5, vcc_lo
; %bb.5062:                             ;   in Loop: Header=BB4_5054 Depth=3
	s_or_b32 exec_lo, exec_lo, s73
.LBB4_5063:                             ;   in Loop: Header=BB4_5054 Depth=3
	s_delay_alu instid0(SALU_CYCLE_1)
	s_or_b32 exec_lo, exec_lo, s72
.LBB4_5064:                             ;   in Loop: Header=BB4_5054 Depth=3
	s_delay_alu instid0(SALU_CYCLE_1) | instskip(NEXT) | instid1(SALU_CYCLE_1)
	s_or_b32 exec_lo, exec_lo, s43
	s_mov_b32 s43, exec_lo
	s_wait_loadcnt_dscnt 0xf0f
	v_cmpx_ne_u16_e32 0, v44
	s_cbranch_execz .LBB4_5074
; %bb.5065:                             ;   in Loop: Header=BB4_5054 Depth=3
	v_bfrev_b32_e32 v2, 1
	s_mov_b32 s72, exec_lo
	v_cmpx_ne_u16_e32 0xff80, v44
	s_cbranch_execz .LBB4_5073
; %bb.5066:                             ;   in Loop: Header=BB4_5054 Depth=3
	v_and_b32_e32 v2, 0x7c, v44
	v_and_b32_e32 v17, 3, v44
	s_delay_alu instid0(VALU_DEP_2) | instskip(SKIP_1) | instid1(SALU_CYCLE_1)
	v_cmp_ne_u32_e32 vcc_lo, 0x7c, v2
                                        ; implicit-def: $vgpr2
	s_and_saveexec_b32 s13, vcc_lo
	s_xor_b32 s13, exec_lo, s13
	s_cbranch_execz .LBB4_5070
; %bb.5067:                             ;   in Loop: Header=BB4_5054 Depth=3
	v_and_b32_e32 v2, 0xff, v44
	s_mov_b32 s73, exec_lo
	s_delay_alu instid0(VALU_DEP_1) | instskip(NEXT) | instid1(VALU_DEP_1)
	v_bfe_u32 v2, v2, 2, 5
	v_cmpx_eq_u32_e32 0, v2
	s_cbranch_execz .LBB4_5069
; %bb.5068:                             ;   in Loop: Header=BB4_5054 Depth=3
	v_clz_i32_u32_e32 v2, v17
	s_delay_alu instid0(VALU_DEP_1) | instskip(SKIP_1) | instid1(VALU_DEP_2)
	v_min_u32_e32 v2, 32, v2
	v_mov_b32_e32 v45, v3
	v_subrev_nc_u32_e32 v17, 29, v2
	v_sub_nc_u32_e32 v2, 30, v2
	s_delay_alu instid0(VALU_DEP_2) | instskip(NEXT) | instid1(VALU_DEP_1)
	v_lshlrev_b64_e32 v[100:101], v17, v[44:45]
	v_and_b32_e32 v17, 3, v100
.LBB4_5069:                             ;   in Loop: Header=BB4_5054 Depth=3
	s_or_b32 exec_lo, exec_lo, s73
	v_bfe_i32 v19, v44, 0, 16
                                        ; implicit-def: $vgpr44
	s_delay_alu instid0(VALU_DEP_1) | instskip(NEXT) | instid1(VALU_DEP_1)
	v_and_b32_e32 v19, 0x80000000, v19
	v_lshl_add_u32 v2, v2, 23, v19
	s_delay_alu instid0(VALU_DEP_1) | instskip(NEXT) | instid1(VALU_DEP_1)
	v_lshl_or_b32 v2, v17, 21, v2
                                        ; implicit-def: $vgpr17
	v_add_nc_u32_e32 v2, 0x38000000, v2
.LBB4_5070:                             ;   in Loop: Header=BB4_5054 Depth=3
	s_and_not1_saveexec_b32 s73, s13
; %bb.5071:                             ;   in Loop: Header=BB4_5054 Depth=3
	v_cmp_lt_i16_e64 s13, -1, v44
	v_cmp_eq_u32_e32 vcc_lo, 0, v17
	s_delay_alu instid0(VALU_DEP_2) | instskip(NEXT) | instid1(VALU_DEP_1)
	v_cndmask_b32_e64 v2, 0xff800000, v112, s13
	v_cndmask_b32_e32 v2, 0x7f800001, v2, vcc_lo
; %bb.5072:                             ;   in Loop: Header=BB4_5054 Depth=3
	s_or_b32 exec_lo, exec_lo, s73
.LBB4_5073:                             ;   in Loop: Header=BB4_5054 Depth=3
	s_delay_alu instid0(SALU_CYCLE_1)
	s_or_b32 exec_lo, exec_lo, s72
.LBB4_5074:                             ;   in Loop: Header=BB4_5054 Depth=3
	s_delay_alu instid0(SALU_CYCLE_1) | instskip(NEXT) | instid1(VALU_DEP_1)
	s_or_b32 exec_lo, exec_lo, s43
	v_dual_mul_f32 v17, v5, v2 :: v_dual_mov_b32 v101, v3
	s_delay_alu instid0(VALU_DEP_1) | instskip(SKIP_1) | instid1(VALU_DEP_2)
	v_and_b32_e32 v100, 0x7f800000, v17
	v_and_b32_e32 v2, 0x7fffff, v17
	v_cmp_ne_u64_e32 vcc_lo, 0x7f800000, v[100:101]
                                        ; implicit-def: $vgpr100
	s_and_saveexec_b32 s13, vcc_lo
	s_delay_alu instid0(SALU_CYCLE_1)
	s_xor_b32 s43, exec_lo, s13
	s_cbranch_execz .LBB4_5092
; %bb.5075:                             ;   in Loop: Header=BB4_5054 Depth=3
	v_and_b32_e32 v100, 0x7fffffff, v17
	v_dual_mov_b32 v101, v3 :: v_dual_lshrrev_b32 v5, 24, v17
	s_delay_alu instid0(VALU_DEP_1) | instskip(NEXT) | instid1(VALU_DEP_2)
	v_cmp_gt_u64_e32 vcc_lo, 0x47600001, v[100:101]
	v_and_b32_e32 v5, 0x80, v5
                                        ; implicit-def: $vgpr100
	s_and_saveexec_b32 s13, vcc_lo
	s_delay_alu instid0(SALU_CYCLE_1)
	s_xor_b32 s72, exec_lo, s13
	s_cbranch_execz .LBB4_5089
; %bb.5076:                             ;   in Loop: Header=BB4_5054 Depth=3
	v_mov_b32_e32 v100, 0
	s_mov_b32 s73, exec_lo
	v_cmpx_ne_u32_e32 0, v17
	s_cbranch_execz .LBB4_5088
; %bb.5077:                             ;   in Loop: Header=BB4_5054 Depth=3
	v_bfe_u32 v17, v17, 23, 8
	v_or_b32_e32 v21, 0x800000, v2
	v_mov_b32_e32 v101, v3
	s_delay_alu instid0(VALU_DEP_3) | instskip(SKIP_1) | instid1(VALU_DEP_4)
	v_cmp_eq_u32_e32 vcc_lo, 0, v17
	v_cmp_gt_u32_e64 s13, 0x72, v17
	v_dual_cndmask_b32 v100, v21, v2 :: v_dual_sub_nc_u32 v19, 0x71, v17
	s_delay_alu instid0(VALU_DEP_1) | instskip(NEXT) | instid1(VALU_DEP_1)
	v_cndmask_b32_e64 v19, 0, v19, s13
	v_cndmask_b32_e64 v19, v19, 0x70, vcc_lo
	s_delay_alu instid0(VALU_DEP_1) | instskip(NEXT) | instid1(VALU_DEP_1)
	v_add_nc_u32_e32 v2, 21, v19
	v_lshlrev_b64_e64 v[102:103], v2, -1
	v_add_nc_u32_e32 v2, 20, v19
	s_delay_alu instid0(VALU_DEP_1) | instskip(NEXT) | instid1(VALU_DEP_3)
	v_lshlrev_b64_e64 v[44:45], v2, 1
	v_bfi_b32 v103, v103, 0, 0
	s_delay_alu instid0(VALU_DEP_4) | instskip(NEXT) | instid1(VALU_DEP_1)
	v_bfi_b32 v102, v102, 0, v100
	v_cmp_eq_u64_e64 s13, v[102:103], v[44:45]
	v_lshrrev_b64 v[44:45], v19, v[100:101]
	s_delay_alu instid0(VALU_DEP_1)
	v_mov_b64_e32 v[56:57], v[44:45]
	s_and_saveexec_b32 s74, s13
; %bb.5078:                             ;   in Loop: Header=BB4_5054 Depth=3
	v_bfe_u32 v100, v44, 21, 1
	v_mov_b32_e32 v101, v3
	s_delay_alu instid0(VALU_DEP_1) | instskip(NEXT) | instid1(VALU_DEP_1)
	v_add_nc_u64_e32 v[100:101], v[44:45], v[100:101]
	v_add_nc_u64_e32 v[56:57], -1, v[100:101]
; %bb.5079:                             ;   in Loop: Header=BB4_5054 Depth=3
	s_or_b32 exec_lo, exec_lo, s74
	v_add_nc_u32_e32 v2, 0xffffff81, v17
	s_delay_alu instid0(VALU_DEP_2) | instskip(SKIP_2) | instid1(VALU_DEP_3)
	v_and_b32_e32 v23, 0x1fffff, v56
	v_lshrrev_b32_e32 v17, 23, v44
	s_mov_b32 s13, exec_lo
	v_cndmask_b32_e64 v2, v2, 0xffffff82, vcc_lo
	s_delay_alu instid0(VALU_DEP_1) | instskip(SKIP_1) | instid1(VALU_DEP_2)
	v_add3_u32 v21, v19, v2, v17
	v_add_nc_u32_e32 v2, v23, v44
                                        ; implicit-def: $vgpr44_vgpr45
                                        ; implicit-def: $vgpr17
	v_add_nc_u32_e32 v19, 14, v21
	s_delay_alu instid0(VALU_DEP_1)
	v_cmpx_ne_u32_e32 0, v19
	s_xor_b32 s13, exec_lo, s13
; %bb.5080:                             ;   in Loop: Header=BB4_5054 Depth=3
	s_delay_alu instid0(VALU_DEP_3) | instskip(SKIP_1) | instid1(VALU_DEP_1)
	v_cmp_lt_u64_e32 vcc_lo, 0xffffff, v[2:3]
	v_add_nc_u32_e32 v17, 15, v21
	v_cndmask_b32_e32 v17, v19, v17, vcc_lo
	v_cndmask_b32_e64 v19, 0, 1, vcc_lo
	s_delay_alu instid0(VALU_DEP_1)
	v_lshrrev_b64 v[44:45], v19, v[2:3]
; %bb.5081:                             ;   in Loop: Header=BB4_5054 Depth=3
	s_and_not1_saveexec_b32 s13, s13
; %bb.5082:                             ;   in Loop: Header=BB4_5054 Depth=3
	v_mov_b64_e32 v[44:45], v[2:3]
	v_bfe_u32 v17, v2, 23, 1
; %bb.5083:                             ;   in Loop: Header=BB4_5054 Depth=3
	s_or_b32 exec_lo, exec_lo, s13
	s_delay_alu instid0(VALU_DEP_2) | instskip(NEXT) | instid1(VALU_DEP_2)
	v_lshrrev_b64 v[100:101], 21, v[44:45]
	v_cmp_gt_i32_e32 vcc_lo, 32, v17
	v_cmp_ne_u32_e64 s13, 0, v17
	s_delay_alu instid0(VALU_DEP_3) | instskip(NEXT) | instid1(VALU_DEP_1)
	v_dual_cndmask_b32 v45, 0, v101 :: v_dual_cndmask_b32 v44, 3, v100
                                        ; implicit-def: $vgpr100
	v_cmp_ne_u64_e32 vcc_lo, 0, v[44:45]
	s_or_b32 s13, s13, vcc_lo
	s_delay_alu instid0(SALU_CYCLE_1) | instskip(NEXT) | instid1(SALU_CYCLE_1)
	s_and_saveexec_b32 s74, s13
	s_xor_b32 s13, exec_lo, s74
; %bb.5084:                             ;   in Loop: Header=BB4_5054 Depth=3
	v_min_i32_e32 v2, 31, v17
	s_delay_alu instid0(VALU_DEP_1) | instskip(NEXT) | instid1(VALU_DEP_1)
	v_lshl_or_b32 v2, v2, 2, v5
                                        ; implicit-def: $vgpr5
	v_and_or_b32 v100, v44, 3, v2
; %bb.5085:                             ;   in Loop: Header=BB4_5054 Depth=3
	s_and_not1_saveexec_b32 s13, s13
; %bb.5086:                             ;   in Loop: Header=BB4_5054 Depth=3
	v_mov_b32_e32 v100, v5
; %bb.5087:                             ;   in Loop: Header=BB4_5054 Depth=3
	s_or_b32 exec_lo, exec_lo, s13
.LBB4_5088:                             ;   in Loop: Header=BB4_5054 Depth=3
	s_delay_alu instid0(SALU_CYCLE_1)
	s_or_b32 exec_lo, exec_lo, s73
                                        ; implicit-def: $vgpr5
.LBB4_5089:                             ;   in Loop: Header=BB4_5054 Depth=3
	s_and_not1_saveexec_b32 s13, s72
; %bb.5090:                             ;   in Loop: Header=BB4_5054 Depth=3
	v_or_b32_e32 v100, 0x7b, v5
; %bb.5091:                             ;   in Loop: Header=BB4_5054 Depth=3
	s_or_b32 exec_lo, exec_lo, s13
                                        ; implicit-def: $vgpr17
.LBB4_5092:                             ;   in Loop: Header=BB4_5054 Depth=3
	s_and_not1_saveexec_b32 s13, s43
	s_cbranch_execz .LBB4_5098
; %bb.5093:                             ;   in Loop: Header=BB4_5054 Depth=3
	s_mov_b32 s43, exec_lo
                                        ; implicit-def: $vgpr100
	v_cmpx_ne_u64_e32 0, v[2:3]
	s_xor_b32 s43, exec_lo, s43
; %bb.5094:                             ;   in Loop: Header=BB4_5054 Depth=3
	v_lshrrev_b32_e32 v2, 24, v17
                                        ; implicit-def: $vgpr17
	s_delay_alu instid0(VALU_DEP_1)
	v_or_b32_e32 v100, 0x7f, v2
; %bb.5095:                             ;   in Loop: Header=BB4_5054 Depth=3
	s_and_not1_saveexec_b32 s43, s43
; %bb.5096:                             ;   in Loop: Header=BB4_5054 Depth=3
	v_cmp_lt_i32_e32 vcc_lo, -1, v17
	v_cndmask_b32_e64 v100, -4, 0x7c, vcc_lo
; %bb.5097:                             ;   in Loop: Header=BB4_5054 Depth=3
	s_or_b32 exec_lo, exec_lo, s43
.LBB4_5098:                             ;   in Loop: Header=BB4_5054 Depth=3
	s_delay_alu instid0(SALU_CYCLE_1)
	s_or_b32 exec_lo, exec_lo, s13
	v_dual_mov_b32 v2, 0 :: v_dual_mov_b32 v5, 0
	s_mov_b32 s43, exec_lo
	v_cmpx_ne_u16_e32 0, v116
	s_cbranch_execz .LBB4_5108
; %bb.5099:                             ;   in Loop: Header=BB4_5054 Depth=3
	v_bfrev_b32_e32 v5, 1
	s_mov_b32 s72, exec_lo
	v_cmpx_ne_u16_e32 0xff80, v116
	s_cbranch_execz .LBB4_5107
; %bb.5100:                             ;   in Loop: Header=BB4_5054 Depth=3
	v_and_b32_e32 v5, 0x7c, v116
	v_and_b32_e32 v17, 3, v116
	s_delay_alu instid0(VALU_DEP_2) | instskip(SKIP_1) | instid1(SALU_CYCLE_1)
	v_cmp_ne_u32_e32 vcc_lo, 0x7c, v5
                                        ; implicit-def: $vgpr5
	s_and_saveexec_b32 s13, vcc_lo
	s_xor_b32 s13, exec_lo, s13
	s_cbranch_execz .LBB4_5104
; %bb.5101:                             ;   in Loop: Header=BB4_5054 Depth=3
	v_and_b32_e32 v5, 0xff, v116
	s_mov_b32 s73, exec_lo
	s_delay_alu instid0(VALU_DEP_1) | instskip(NEXT) | instid1(VALU_DEP_1)
	v_bfe_u32 v5, v5, 2, 5
	v_cmpx_eq_u32_e32 0, v5
	s_cbranch_execz .LBB4_5103
; %bb.5102:                             ;   in Loop: Header=BB4_5054 Depth=3
	v_clz_i32_u32_e32 v5, v17
	s_delay_alu instid0(VALU_DEP_1) | instskip(SKIP_1) | instid1(VALU_DEP_2)
	v_min_u32_e32 v5, 32, v5
	v_mov_b32_e32 v117, v3
	v_subrev_nc_u32_e32 v17, 29, v5
	v_sub_nc_u32_e32 v5, 30, v5
	s_delay_alu instid0(VALU_DEP_2) | instskip(NEXT) | instid1(VALU_DEP_1)
	v_lshlrev_b64_e32 v[102:103], v17, v[116:117]
	v_and_b32_e32 v17, 3, v102
.LBB4_5103:                             ;   in Loop: Header=BB4_5054 Depth=3
	s_or_b32 exec_lo, exec_lo, s73
	v_bfe_i32 v19, v116, 0, 16
                                        ; implicit-def: $vgpr116
	s_delay_alu instid0(VALU_DEP_1) | instskip(NEXT) | instid1(VALU_DEP_1)
	v_and_b32_e32 v19, 0x80000000, v19
	v_lshl_add_u32 v5, v5, 23, v19
	s_delay_alu instid0(VALU_DEP_1) | instskip(NEXT) | instid1(VALU_DEP_1)
	v_lshl_or_b32 v5, v17, 21, v5
                                        ; implicit-def: $vgpr17
	v_add_nc_u32_e32 v5, 0x38000000, v5
.LBB4_5104:                             ;   in Loop: Header=BB4_5054 Depth=3
	s_and_not1_saveexec_b32 s73, s13
; %bb.5105:                             ;   in Loop: Header=BB4_5054 Depth=3
	v_cmp_lt_i16_e64 s13, -1, v116
	v_cmp_eq_u32_e32 vcc_lo, 0, v17
	s_delay_alu instid0(VALU_DEP_2) | instskip(NEXT) | instid1(VALU_DEP_1)
	v_cndmask_b32_e64 v5, 0xff800000, v112, s13
	v_cndmask_b32_e32 v5, 0x7f800001, v5, vcc_lo
; %bb.5106:                             ;   in Loop: Header=BB4_5054 Depth=3
	s_or_b32 exec_lo, exec_lo, s73
.LBB4_5107:                             ;   in Loop: Header=BB4_5054 Depth=3
	s_delay_alu instid0(SALU_CYCLE_1)
	s_or_b32 exec_lo, exec_lo, s72
.LBB4_5108:                             ;   in Loop: Header=BB4_5054 Depth=3
	s_delay_alu instid0(SALU_CYCLE_1) | instskip(NEXT) | instid1(SALU_CYCLE_1)
	s_or_b32 exec_lo, exec_lo, s43
	s_mov_b32 s13, exec_lo
	s_wait_loadcnt_dscnt 0xe0e
	v_cmpx_ne_u16_e32 0, v66
	s_cbranch_execz .LBB4_5118
; %bb.5109:                             ;   in Loop: Header=BB4_5054 Depth=3
	v_bfrev_b32_e32 v2, 1
	s_mov_b32 s43, exec_lo
	v_cmpx_ne_u16_e32 0xff80, v66
	s_cbranch_execz .LBB4_5117
; %bb.5110:                             ;   in Loop: Header=BB4_5054 Depth=3
	v_and_b32_e32 v2, 0x7c, v66
	v_and_b32_e32 v17, 3, v66
	s_delay_alu instid0(VALU_DEP_2) | instskip(SKIP_1) | instid1(SALU_CYCLE_1)
	v_cmp_ne_u32_e32 vcc_lo, 0x7c, v2
                                        ; implicit-def: $vgpr2
	s_and_saveexec_b32 s72, vcc_lo
	s_xor_b32 s72, exec_lo, s72
	s_cbranch_execz .LBB4_5114
; %bb.5111:                             ;   in Loop: Header=BB4_5054 Depth=3
	v_and_b32_e32 v2, 0xff, v66
	s_mov_b32 s73, exec_lo
	s_delay_alu instid0(VALU_DEP_1) | instskip(NEXT) | instid1(VALU_DEP_1)
	v_bfe_u32 v2, v2, 2, 5
	v_cmpx_eq_u32_e32 0, v2
	s_cbranch_execz .LBB4_5113
; %bb.5112:                             ;   in Loop: Header=BB4_5054 Depth=3
	v_clz_i32_u32_e32 v2, v17
	s_delay_alu instid0(VALU_DEP_1) | instskip(SKIP_1) | instid1(VALU_DEP_2)
	v_min_u32_e32 v2, 32, v2
	v_mov_b32_e32 v67, v3
	v_subrev_nc_u32_e32 v17, 29, v2
	v_sub_nc_u32_e32 v2, 30, v2
	s_delay_alu instid0(VALU_DEP_2) | instskip(NEXT) | instid1(VALU_DEP_1)
	v_lshlrev_b64_e32 v[102:103], v17, v[66:67]
	v_and_b32_e32 v17, 3, v102
.LBB4_5113:                             ;   in Loop: Header=BB4_5054 Depth=3
	s_or_b32 exec_lo, exec_lo, s73
	v_bfe_i32 v19, v66, 0, 16
                                        ; implicit-def: $vgpr66
	s_delay_alu instid0(VALU_DEP_1) | instskip(NEXT) | instid1(VALU_DEP_1)
	v_and_b32_e32 v19, 0x80000000, v19
	v_lshl_add_u32 v2, v2, 23, v19
	s_delay_alu instid0(VALU_DEP_1) | instskip(NEXT) | instid1(VALU_DEP_1)
	v_lshl_or_b32 v2, v17, 21, v2
                                        ; implicit-def: $vgpr17
	v_add_nc_u32_e32 v2, 0x38000000, v2
.LBB4_5114:                             ;   in Loop: Header=BB4_5054 Depth=3
	s_and_not1_saveexec_b32 s72, s72
; %bb.5115:                             ;   in Loop: Header=BB4_5054 Depth=3
	v_cmp_lt_i16_e32 vcc_lo, -1, v66
	v_cndmask_b32_e32 v2, 0xff800000, v112, vcc_lo
	v_cmp_eq_u32_e32 vcc_lo, 0, v17
	s_delay_alu instid0(VALU_DEP_2)
	v_cndmask_b32_e32 v2, 0x7f800001, v2, vcc_lo
; %bb.5116:                             ;   in Loop: Header=BB4_5054 Depth=3
	s_or_b32 exec_lo, exec_lo, s72
.LBB4_5117:                             ;   in Loop: Header=BB4_5054 Depth=3
	s_delay_alu instid0(SALU_CYCLE_1)
	s_or_b32 exec_lo, exec_lo, s43
.LBB4_5118:                             ;   in Loop: Header=BB4_5054 Depth=3
	s_delay_alu instid0(SALU_CYCLE_1) | instskip(NEXT) | instid1(VALU_DEP_1)
	s_or_b32 exec_lo, exec_lo, s13
	v_dual_mul_f32 v17, v5, v2 :: v_dual_mov_b32 v67, v3
                                        ; implicit-def: $vgpr101
	s_mov_b32 s13, exec_lo
	s_delay_alu instid0(VALU_DEP_1) | instskip(SKIP_1) | instid1(VALU_DEP_2)
	v_and_b32_e32 v66, 0x7f800000, v17
	v_and_b32_e32 v2, 0x7fffff, v17
	v_cmpx_ne_u64_e32 0x7f800000, v[66:67]
	s_xor_b32 s43, exec_lo, s13
	s_cbranch_execz .LBB4_5136
; %bb.5119:                             ;   in Loop: Header=BB4_5054 Depth=3
	v_dual_mov_b32 v67, v3 :: v_dual_lshrrev_b32 v5, 24, v17
	v_and_b32_e32 v66, 0x7fffffff, v17
                                        ; implicit-def: $vgpr101
	s_mov_b32 s13, exec_lo
	s_delay_alu instid0(VALU_DEP_2) | instskip(NEXT) | instid1(VALU_DEP_2)
	v_and_b32_e32 v5, 0x80, v5
	v_cmpx_gt_u64_e32 0x47600001, v[66:67]
	s_xor_b32 s72, exec_lo, s13
	s_cbranch_execz .LBB4_5133
; %bb.5120:                             ;   in Loop: Header=BB4_5054 Depth=3
	v_mov_b32_e32 v101, 0
	s_mov_b32 s73, exec_lo
	v_cmpx_ne_u32_e32 0, v17
	s_cbranch_execz .LBB4_5132
; %bb.5121:                             ;   in Loop: Header=BB4_5054 Depth=3
	v_bfe_u32 v17, v17, 23, 8
	v_or_b32_e32 v21, 0x800000, v2
	v_mov_b32_e32 v67, v3
	s_delay_alu instid0(VALU_DEP_3) | instskip(SKIP_1) | instid1(VALU_DEP_4)
	v_cmp_eq_u32_e32 vcc_lo, 0, v17
	v_cmp_gt_u32_e64 s13, 0x72, v17
	v_dual_cndmask_b32 v66, v21, v2 :: v_dual_sub_nc_u32 v19, 0x71, v17
	s_delay_alu instid0(VALU_DEP_1) | instskip(NEXT) | instid1(VALU_DEP_1)
	v_cndmask_b32_e64 v19, 0, v19, s13
	v_cndmask_b32_e64 v19, v19, 0x70, vcc_lo
	s_delay_alu instid0(VALU_DEP_1) | instskip(NEXT) | instid1(VALU_DEP_1)
	v_add_nc_u32_e32 v2, 21, v19
	v_lshlrev_b64_e64 v[102:103], v2, -1
	v_add_nc_u32_e32 v2, 20, v19
	s_delay_alu instid0(VALU_DEP_1) | instskip(NEXT) | instid1(VALU_DEP_3)
	v_lshlrev_b64_e64 v[116:117], v2, 1
	v_bfi_b32 v102, v102, 0, v66
	v_lshrrev_b64 v[66:67], v19, v[66:67]
	v_bfi_b32 v103, v103, 0, 0
	s_delay_alu instid0(VALU_DEP_1) | instskip(NEXT) | instid1(VALU_DEP_3)
	v_cmp_eq_u64_e64 s13, v[102:103], v[116:117]
	v_mov_b64_e32 v[116:117], v[66:67]
	s_and_saveexec_b32 s74, s13
; %bb.5122:                             ;   in Loop: Header=BB4_5054 Depth=3
	v_bfe_u32 v102, v66, 21, 1
	v_mov_b32_e32 v103, v3
	s_delay_alu instid0(VALU_DEP_1) | instskip(NEXT) | instid1(VALU_DEP_1)
	v_add_nc_u64_e32 v[102:103], v[66:67], v[102:103]
	v_add_nc_u64_e32 v[116:117], -1, v[102:103]
; %bb.5123:                             ;   in Loop: Header=BB4_5054 Depth=3
	s_or_b32 exec_lo, exec_lo, s74
	v_add_nc_u32_e32 v2, 0xffffff81, v17
	s_delay_alu instid0(VALU_DEP_2) | instskip(SKIP_2) | instid1(VALU_DEP_3)
	v_and_b32_e32 v23, 0x1fffff, v116
	v_lshrrev_b32_e32 v17, 23, v66
	s_mov_b32 s13, exec_lo
	v_cndmask_b32_e64 v2, v2, 0xffffff82, vcc_lo
	s_delay_alu instid0(VALU_DEP_1) | instskip(SKIP_1) | instid1(VALU_DEP_2)
	v_add3_u32 v21, v19, v2, v17
	v_add_nc_u32_e32 v2, v23, v66
                                        ; implicit-def: $vgpr66_vgpr67
                                        ; implicit-def: $vgpr17
	v_add_nc_u32_e32 v19, 14, v21
	s_delay_alu instid0(VALU_DEP_1)
	v_cmpx_ne_u32_e32 0, v19
	s_xor_b32 s13, exec_lo, s13
; %bb.5124:                             ;   in Loop: Header=BB4_5054 Depth=3
	s_delay_alu instid0(VALU_DEP_3) | instskip(SKIP_1) | instid1(VALU_DEP_1)
	v_cmp_lt_u64_e32 vcc_lo, 0xffffff, v[2:3]
	v_add_nc_u32_e32 v17, 15, v21
	v_cndmask_b32_e32 v17, v19, v17, vcc_lo
	v_cndmask_b32_e64 v19, 0, 1, vcc_lo
	s_delay_alu instid0(VALU_DEP_1)
	v_lshrrev_b64 v[66:67], v19, v[2:3]
; %bb.5125:                             ;   in Loop: Header=BB4_5054 Depth=3
	s_and_not1_saveexec_b32 s13, s13
; %bb.5126:                             ;   in Loop: Header=BB4_5054 Depth=3
	v_mov_b64_e32 v[66:67], v[2:3]
	v_bfe_u32 v17, v2, 23, 1
; %bb.5127:                             ;   in Loop: Header=BB4_5054 Depth=3
	s_or_b32 exec_lo, exec_lo, s13
	s_delay_alu instid0(VALU_DEP_2) | instskip(NEXT) | instid1(VALU_DEP_2)
	v_lshrrev_b64 v[66:67], 21, v[66:67]
	v_cmp_gt_i32_e32 vcc_lo, 32, v17
	v_cmp_ne_u32_e64 s13, 0, v17
                                        ; implicit-def: $vgpr101
	s_delay_alu instid0(VALU_DEP_3) | instskip(NEXT) | instid1(VALU_DEP_1)
	v_dual_cndmask_b32 v67, 0, v67 :: v_dual_cndmask_b32 v66, 3, v66
	v_cmp_ne_u64_e32 vcc_lo, 0, v[66:67]
	s_or_b32 s13, s13, vcc_lo
	s_delay_alu instid0(SALU_CYCLE_1) | instskip(NEXT) | instid1(SALU_CYCLE_1)
	s_and_saveexec_b32 s74, s13
	s_xor_b32 s13, exec_lo, s74
; %bb.5128:                             ;   in Loop: Header=BB4_5054 Depth=3
	v_min_i32_e32 v2, 31, v17
	s_delay_alu instid0(VALU_DEP_1) | instskip(NEXT) | instid1(VALU_DEP_1)
	v_lshl_or_b32 v2, v2, 2, v5
                                        ; implicit-def: $vgpr5
	v_and_or_b32 v101, v66, 3, v2
; %bb.5129:                             ;   in Loop: Header=BB4_5054 Depth=3
	s_and_not1_saveexec_b32 s13, s13
; %bb.5130:                             ;   in Loop: Header=BB4_5054 Depth=3
	v_mov_b32_e32 v101, v5
; %bb.5131:                             ;   in Loop: Header=BB4_5054 Depth=3
	s_or_b32 exec_lo, exec_lo, s13
.LBB4_5132:                             ;   in Loop: Header=BB4_5054 Depth=3
	s_delay_alu instid0(SALU_CYCLE_1)
	s_or_b32 exec_lo, exec_lo, s73
                                        ; implicit-def: $vgpr5
.LBB4_5133:                             ;   in Loop: Header=BB4_5054 Depth=3
	s_and_not1_saveexec_b32 s13, s72
; %bb.5134:                             ;   in Loop: Header=BB4_5054 Depth=3
	v_or_b32_e32 v101, 0x7b, v5
; %bb.5135:                             ;   in Loop: Header=BB4_5054 Depth=3
	s_or_b32 exec_lo, exec_lo, s13
                                        ; implicit-def: $vgpr17
.LBB4_5136:                             ;   in Loop: Header=BB4_5054 Depth=3
	s_and_not1_saveexec_b32 s13, s43
	s_cbranch_execz .LBB4_5142
; %bb.5137:                             ;   in Loop: Header=BB4_5054 Depth=3
	s_mov_b32 s43, exec_lo
                                        ; implicit-def: $vgpr101
	v_cmpx_ne_u64_e32 0, v[2:3]
	s_xor_b32 s43, exec_lo, s43
; %bb.5138:                             ;   in Loop: Header=BB4_5054 Depth=3
	v_lshrrev_b32_e32 v2, 24, v17
                                        ; implicit-def: $vgpr17
	s_delay_alu instid0(VALU_DEP_1)
	v_or_b32_e32 v101, 0x7f, v2
; %bb.5139:                             ;   in Loop: Header=BB4_5054 Depth=3
	s_and_not1_saveexec_b32 s43, s43
; %bb.5140:                             ;   in Loop: Header=BB4_5054 Depth=3
	v_cmp_lt_i32_e32 vcc_lo, -1, v17
	v_cndmask_b32_e64 v101, -4, 0x7c, vcc_lo
; %bb.5141:                             ;   in Loop: Header=BB4_5054 Depth=3
	s_or_b32 exec_lo, exec_lo, s43
.LBB4_5142:                             ;   in Loop: Header=BB4_5054 Depth=3
	s_delay_alu instid0(SALU_CYCLE_1)
	s_or_b32 exec_lo, exec_lo, s13
	v_dual_mov_b32 v2, 0 :: v_dual_mov_b32 v5, 0
	s_mov_b32 s13, exec_lo
	v_cmpx_ne_u16_e32 0, v4
	s_cbranch_execz .LBB4_5152
; %bb.5143:                             ;   in Loop: Header=BB4_5054 Depth=3
	v_bfrev_b32_e32 v5, 1
	s_mov_b32 s43, exec_lo
	v_cmpx_ne_u16_e32 0xff80, v4
	s_cbranch_execz .LBB4_5151
; %bb.5144:                             ;   in Loop: Header=BB4_5054 Depth=3
	v_and_b32_e32 v5, 0x7c, v4
	v_and_b32_e32 v17, 3, v4
	s_delay_alu instid0(VALU_DEP_2) | instskip(SKIP_1) | instid1(SALU_CYCLE_1)
	v_cmp_ne_u32_e32 vcc_lo, 0x7c, v5
                                        ; implicit-def: $vgpr5
	s_and_saveexec_b32 s72, vcc_lo
	s_xor_b32 s72, exec_lo, s72
	s_cbranch_execz .LBB4_5148
; %bb.5145:                             ;   in Loop: Header=BB4_5054 Depth=3
	v_and_b32_e32 v5, 0xff, v4
	s_mov_b32 s73, exec_lo
	s_delay_alu instid0(VALU_DEP_1) | instskip(NEXT) | instid1(VALU_DEP_1)
	v_bfe_u32 v5, v5, 2, 5
	v_cmpx_eq_u32_e32 0, v5
; %bb.5146:                             ;   in Loop: Header=BB4_5054 Depth=3
	v_clz_i32_u32_e32 v5, v17
	s_delay_alu instid0(VALU_DEP_1) | instskip(SKIP_1) | instid1(VALU_DEP_2)
	v_min_u32_e32 v17, 32, v5
	v_mov_b32_e32 v5, v3
	v_subrev_nc_u32_e32 v19, 29, v17
	s_delay_alu instid0(VALU_DEP_1) | instskip(NEXT) | instid1(VALU_DEP_1)
	v_lshlrev_b64_e32 v[66:67], v19, v[4:5]
	v_dual_sub_nc_u32 v5, 30, v17 :: v_dual_bitop2_b32 v17, 3, v66 bitop3:0x40
; %bb.5147:                             ;   in Loop: Header=BB4_5054 Depth=3
	s_or_b32 exec_lo, exec_lo, s73
	v_bfe_i32 v4, v4, 0, 16
	s_delay_alu instid0(VALU_DEP_1) | instskip(NEXT) | instid1(VALU_DEP_1)
	v_and_b32_e32 v4, 0x80000000, v4
	v_lshl_add_u32 v4, v5, 23, v4
	s_delay_alu instid0(VALU_DEP_1) | instskip(NEXT) | instid1(VALU_DEP_1)
	v_lshl_or_b32 v4, v17, 21, v4
                                        ; implicit-def: $vgpr17
	v_add_nc_u32_e32 v5, 0x38000000, v4
                                        ; implicit-def: $vgpr4
.LBB4_5148:                             ;   in Loop: Header=BB4_5054 Depth=3
	s_and_not1_saveexec_b32 s72, s72
; %bb.5149:                             ;   in Loop: Header=BB4_5054 Depth=3
	v_cmp_lt_i16_e32 vcc_lo, -1, v4
	v_cndmask_b32_e32 v4, 0xff800000, v112, vcc_lo
	v_cmp_eq_u32_e32 vcc_lo, 0, v17
	s_delay_alu instid0(VALU_DEP_2)
	v_cndmask_b32_e32 v5, 0x7f800001, v4, vcc_lo
; %bb.5150:                             ;   in Loop: Header=BB4_5054 Depth=3
	s_or_b32 exec_lo, exec_lo, s72
.LBB4_5151:                             ;   in Loop: Header=BB4_5054 Depth=3
	s_delay_alu instid0(SALU_CYCLE_1)
	s_or_b32 exec_lo, exec_lo, s43
.LBB4_5152:                             ;   in Loop: Header=BB4_5054 Depth=3
	s_delay_alu instid0(SALU_CYCLE_1) | instskip(NEXT) | instid1(SALU_CYCLE_1)
	s_or_b32 exec_lo, exec_lo, s13
	s_mov_b32 s13, exec_lo
	s_wait_loadcnt_dscnt 0xd0d
	v_cmpx_ne_u16_e32 0, v84
	s_cbranch_execz .LBB4_5162
; %bb.5153:                             ;   in Loop: Header=BB4_5054 Depth=3
	v_bfrev_b32_e32 v2, 1
	s_mov_b32 s43, exec_lo
	v_cmpx_ne_u16_e32 0xff80, v84
	s_cbranch_execz .LBB4_5161
; %bb.5154:                             ;   in Loop: Header=BB4_5054 Depth=3
	v_and_b32_e32 v2, 0x7c, v84
	v_and_b32_e32 v4, 3, v84
	s_delay_alu instid0(VALU_DEP_2) | instskip(SKIP_1) | instid1(SALU_CYCLE_1)
	v_cmp_ne_u32_e32 vcc_lo, 0x7c, v2
                                        ; implicit-def: $vgpr2
	s_and_saveexec_b32 s72, vcc_lo
	s_xor_b32 s72, exec_lo, s72
	s_cbranch_execz .LBB4_5158
; %bb.5155:                             ;   in Loop: Header=BB4_5054 Depth=3
	v_and_b32_e32 v2, 0xff, v84
	s_mov_b32 s73, exec_lo
	s_delay_alu instid0(VALU_DEP_1) | instskip(NEXT) | instid1(VALU_DEP_1)
	v_bfe_u32 v2, v2, 2, 5
	v_cmpx_eq_u32_e32 0, v2
	s_cbranch_execz .LBB4_5157
; %bb.5156:                             ;   in Loop: Header=BB4_5054 Depth=3
	v_clz_i32_u32_e32 v2, v4
	s_delay_alu instid0(VALU_DEP_1) | instskip(SKIP_1) | instid1(VALU_DEP_2)
	v_min_u32_e32 v2, 32, v2
	v_mov_b32_e32 v85, v3
	v_subrev_nc_u32_e32 v4, 29, v2
	v_sub_nc_u32_e32 v2, 30, v2
	s_delay_alu instid0(VALU_DEP_2) | instskip(NEXT) | instid1(VALU_DEP_1)
	v_lshlrev_b64_e32 v[66:67], v4, v[84:85]
	v_and_b32_e32 v4, 3, v66
.LBB4_5157:                             ;   in Loop: Header=BB4_5054 Depth=3
	s_or_b32 exec_lo, exec_lo, s73
	v_bfe_i32 v17, v84, 0, 16
                                        ; implicit-def: $vgpr84
	s_delay_alu instid0(VALU_DEP_1) | instskip(NEXT) | instid1(VALU_DEP_1)
	v_and_b32_e32 v17, 0x80000000, v17
	v_lshl_add_u32 v2, v2, 23, v17
	s_delay_alu instid0(VALU_DEP_1) | instskip(NEXT) | instid1(VALU_DEP_1)
	v_lshl_or_b32 v2, v4, 21, v2
                                        ; implicit-def: $vgpr4
	v_add_nc_u32_e32 v2, 0x38000000, v2
.LBB4_5158:                             ;   in Loop: Header=BB4_5054 Depth=3
	s_and_not1_saveexec_b32 s72, s72
; %bb.5159:                             ;   in Loop: Header=BB4_5054 Depth=3
	v_cmp_lt_i16_e32 vcc_lo, -1, v84
	v_cndmask_b32_e32 v2, 0xff800000, v112, vcc_lo
	v_cmp_eq_u32_e32 vcc_lo, 0, v4
	s_delay_alu instid0(VALU_DEP_2)
	v_cndmask_b32_e32 v2, 0x7f800001, v2, vcc_lo
; %bb.5160:                             ;   in Loop: Header=BB4_5054 Depth=3
	s_or_b32 exec_lo, exec_lo, s72
.LBB4_5161:                             ;   in Loop: Header=BB4_5054 Depth=3
	s_delay_alu instid0(SALU_CYCLE_1)
	s_or_b32 exec_lo, exec_lo, s43
.LBB4_5162:                             ;   in Loop: Header=BB4_5054 Depth=3
	s_delay_alu instid0(SALU_CYCLE_1) | instskip(NEXT) | instid1(VALU_DEP_1)
	s_or_b32 exec_lo, exec_lo, s13
	v_dual_mul_f32 v4, v5, v2 :: v_dual_mov_b32 v67, v3
	s_delay_alu instid0(VALU_DEP_1) | instskip(SKIP_1) | instid1(VALU_DEP_2)
	v_and_b32_e32 v66, 0x7f800000, v4
	v_and_b32_e32 v2, 0x7fffff, v4
	v_cmp_ne_u64_e32 vcc_lo, 0x7f800000, v[66:67]
                                        ; implicit-def: $vgpr66
	s_and_saveexec_b32 s13, vcc_lo
	s_delay_alu instid0(SALU_CYCLE_1)
	s_xor_b32 s43, exec_lo, s13
	s_cbranch_execz .LBB4_5180
; %bb.5163:                             ;   in Loop: Header=BB4_5054 Depth=3
	v_and_b32_e32 v66, 0x7fffffff, v4
	v_dual_mov_b32 v67, v3 :: v_dual_lshrrev_b32 v5, 24, v4
	s_delay_alu instid0(VALU_DEP_1) | instskip(NEXT) | instid1(VALU_DEP_2)
	v_cmp_gt_u64_e32 vcc_lo, 0x47600001, v[66:67]
	v_and_b32_e32 v17, 0x80, v5
                                        ; implicit-def: $vgpr66
	s_and_saveexec_b32 s13, vcc_lo
	s_delay_alu instid0(SALU_CYCLE_1)
	s_xor_b32 s72, exec_lo, s13
	s_cbranch_execz .LBB4_5177
; %bb.5164:                             ;   in Loop: Header=BB4_5054 Depth=3
	v_mov_b32_e32 v66, 0
	s_mov_b32 s73, exec_lo
	v_cmpx_ne_u32_e32 0, v4
	s_cbranch_execz .LBB4_5176
; %bb.5165:                             ;   in Loop: Header=BB4_5054 Depth=3
	v_bfe_u32 v19, v4, 23, 8
	v_or_b32_e32 v5, 0x800000, v2
	s_delay_alu instid0(VALU_DEP_2) | instskip(SKIP_2) | instid1(VALU_DEP_2)
	v_cmp_gt_u32_e64 s13, 0x72, v19
	v_sub_nc_u32_e32 v4, 0x71, v19
	v_cmp_eq_u32_e32 vcc_lo, 0, v19
	v_cndmask_b32_e64 v4, 0, v4, s13
	s_delay_alu instid0(VALU_DEP_1) | instskip(SKIP_1) | instid1(VALU_DEP_2)
	v_cndmask_b32_e64 v21, v4, 0x70, vcc_lo
	v_dual_cndmask_b32 v4, v5, v2 :: v_dual_mov_b32 v5, v3
	v_add_nc_u32_e32 v2, 21, v21
	s_delay_alu instid0(VALU_DEP_1) | instskip(SKIP_1) | instid1(VALU_DEP_1)
	v_lshlrev_b64_e64 v[66:67], v2, -1
	v_add_nc_u32_e32 v2, 20, v21
	v_lshlrev_b64_e64 v[84:85], v2, 1
	s_delay_alu instid0(VALU_DEP_3) | instskip(SKIP_2) | instid1(VALU_DEP_1)
	v_bfi_b32 v66, v66, 0, v4
	v_lshrrev_b64 v[4:5], v21, v[4:5]
	v_bfi_b32 v67, v67, 0, 0
	v_cmp_eq_u64_e64 s13, v[66:67], v[84:85]
	s_delay_alu instid0(VALU_DEP_3)
	v_mov_b64_e32 v[66:67], v[4:5]
	s_and_saveexec_b32 s74, s13
; %bb.5166:                             ;   in Loop: Header=BB4_5054 Depth=3
	v_bfe_u32 v66, v4, 21, 1
	v_mov_b32_e32 v67, v3
	s_delay_alu instid0(VALU_DEP_1) | instskip(NEXT) | instid1(VALU_DEP_1)
	v_add_nc_u64_e32 v[66:67], v[4:5], v[66:67]
	v_add_nc_u64_e32 v[66:67], -1, v[66:67]
; %bb.5167:                             ;   in Loop: Header=BB4_5054 Depth=3
	s_or_b32 exec_lo, exec_lo, s74
	v_add_nc_u32_e32 v2, 0xffffff81, v19
	s_delay_alu instid0(VALU_DEP_2) | instskip(SKIP_2) | instid1(VALU_DEP_3)
	v_and_b32_e32 v19, 0x1fffff, v66
	v_lshrrev_b32_e32 v5, 23, v4
	s_mov_b32 s13, exec_lo
	v_cndmask_b32_e64 v2, v2, 0xffffff82, vcc_lo
	s_delay_alu instid0(VALU_DEP_1) | instskip(SKIP_1) | instid1(VALU_DEP_2)
	v_add3_u32 v23, v21, v2, v5
	v_add_nc_u32_e32 v2, v19, v4
                                        ; implicit-def: $vgpr4_vgpr5
                                        ; implicit-def: $vgpr19
	v_add_nc_u32_e32 v21, 14, v23
	s_delay_alu instid0(VALU_DEP_1)
	v_cmpx_ne_u32_e32 0, v21
	s_xor_b32 s13, exec_lo, s13
; %bb.5168:                             ;   in Loop: Header=BB4_5054 Depth=3
	s_delay_alu instid0(VALU_DEP_3) | instskip(SKIP_1) | instid1(VALU_DEP_1)
	v_cmp_lt_u64_e32 vcc_lo, 0xffffff, v[2:3]
	v_add_nc_u32_e32 v4, 15, v23
	v_cndmask_b32_e32 v19, v21, v4, vcc_lo
	v_cndmask_b32_e64 v4, 0, 1, vcc_lo
	s_delay_alu instid0(VALU_DEP_1)
	v_lshrrev_b64 v[4:5], v4, v[2:3]
; %bb.5169:                             ;   in Loop: Header=BB4_5054 Depth=3
	s_and_not1_saveexec_b32 s13, s13
; %bb.5170:                             ;   in Loop: Header=BB4_5054 Depth=3
	v_mov_b64_e32 v[4:5], v[2:3]
	v_bfe_u32 v19, v2, 23, 1
; %bb.5171:                             ;   in Loop: Header=BB4_5054 Depth=3
	s_or_b32 exec_lo, exec_lo, s13
	s_delay_alu instid0(VALU_DEP_2) | instskip(NEXT) | instid1(VALU_DEP_2)
	v_lshrrev_b64 v[4:5], 21, v[4:5]
	v_cmp_gt_i32_e32 vcc_lo, 32, v19
	v_cmp_ne_u32_e64 s13, 0, v19
                                        ; implicit-def: $vgpr66
	s_delay_alu instid0(VALU_DEP_3) | instskip(NEXT) | instid1(VALU_DEP_1)
	v_dual_cndmask_b32 v5, 0, v5 :: v_dual_cndmask_b32 v4, 3, v4
	v_cmp_ne_u64_e32 vcc_lo, 0, v[4:5]
	s_or_b32 s13, s13, vcc_lo
	s_delay_alu instid0(SALU_CYCLE_1) | instskip(NEXT) | instid1(SALU_CYCLE_1)
	s_and_saveexec_b32 s74, s13
	s_xor_b32 s13, exec_lo, s74
; %bb.5172:                             ;   in Loop: Header=BB4_5054 Depth=3
	v_min_i32_e32 v2, 31, v19
	s_delay_alu instid0(VALU_DEP_1) | instskip(NEXT) | instid1(VALU_DEP_1)
	v_lshl_or_b32 v2, v2, 2, v17
                                        ; implicit-def: $vgpr17
	v_and_or_b32 v66, v4, 3, v2
; %bb.5173:                             ;   in Loop: Header=BB4_5054 Depth=3
	s_and_not1_saveexec_b32 s13, s13
; %bb.5174:                             ;   in Loop: Header=BB4_5054 Depth=3
	v_mov_b32_e32 v66, v17
; %bb.5175:                             ;   in Loop: Header=BB4_5054 Depth=3
	s_or_b32 exec_lo, exec_lo, s13
.LBB4_5176:                             ;   in Loop: Header=BB4_5054 Depth=3
	s_delay_alu instid0(SALU_CYCLE_1)
	s_or_b32 exec_lo, exec_lo, s73
                                        ; implicit-def: $vgpr17
.LBB4_5177:                             ;   in Loop: Header=BB4_5054 Depth=3
	s_and_not1_saveexec_b32 s13, s72
; %bb.5178:                             ;   in Loop: Header=BB4_5054 Depth=3
	v_or_b32_e32 v66, 0x7b, v17
; %bb.5179:                             ;   in Loop: Header=BB4_5054 Depth=3
	s_or_b32 exec_lo, exec_lo, s13
                                        ; implicit-def: $vgpr4
.LBB4_5180:                             ;   in Loop: Header=BB4_5054 Depth=3
	s_and_not1_saveexec_b32 s13, s43
	s_cbranch_execz .LBB4_5186
; %bb.5181:                             ;   in Loop: Header=BB4_5054 Depth=3
	s_mov_b32 s43, exec_lo
                                        ; implicit-def: $vgpr66
	v_cmpx_ne_u64_e32 0, v[2:3]
	s_xor_b32 s43, exec_lo, s43
; %bb.5182:                             ;   in Loop: Header=BB4_5054 Depth=3
	v_lshrrev_b32_e32 v2, 24, v4
                                        ; implicit-def: $vgpr4
	s_delay_alu instid0(VALU_DEP_1)
	v_or_b32_e32 v66, 0x7f, v2
; %bb.5183:                             ;   in Loop: Header=BB4_5054 Depth=3
	s_and_not1_saveexec_b32 s43, s43
; %bb.5184:                             ;   in Loop: Header=BB4_5054 Depth=3
	v_cmp_lt_i32_e32 vcc_lo, -1, v4
	v_cndmask_b32_e64 v66, -4, 0x7c, vcc_lo
; %bb.5185:                             ;   in Loop: Header=BB4_5054 Depth=3
	s_or_b32 exec_lo, exec_lo, s43
.LBB4_5186:                             ;   in Loop: Header=BB4_5054 Depth=3
	s_delay_alu instid0(SALU_CYCLE_1)
	s_or_b32 exec_lo, exec_lo, s13
	v_dual_mov_b32 v2, 0 :: v_dual_mov_b32 v4, 0
	s_mov_b32 s13, exec_lo
	v_cmpx_ne_u16_e32 0, v24
	s_cbranch_execz .LBB4_5196
; %bb.5187:                             ;   in Loop: Header=BB4_5054 Depth=3
	v_bfrev_b32_e32 v4, 1
	s_mov_b32 s43, exec_lo
	v_cmpx_ne_u16_e32 0xff80, v24
	s_cbranch_execz .LBB4_5195
; %bb.5188:                             ;   in Loop: Header=BB4_5054 Depth=3
	v_and_b32_e32 v4, 0x7c, v24
	v_and_b32_e32 v5, 3, v24
	s_delay_alu instid0(VALU_DEP_2) | instskip(SKIP_1) | instid1(SALU_CYCLE_1)
	v_cmp_ne_u32_e32 vcc_lo, 0x7c, v4
                                        ; implicit-def: $vgpr4
	s_and_saveexec_b32 s72, vcc_lo
	s_xor_b32 s72, exec_lo, s72
	s_cbranch_execz .LBB4_5192
; %bb.5189:                             ;   in Loop: Header=BB4_5054 Depth=3
	v_and_b32_e32 v4, 0xff, v24
	s_mov_b32 s73, exec_lo
	s_delay_alu instid0(VALU_DEP_1) | instskip(NEXT) | instid1(VALU_DEP_1)
	v_bfe_u32 v4, v4, 2, 5
	v_cmpx_eq_u32_e32 0, v4
	s_cbranch_execz .LBB4_5191
; %bb.5190:                             ;   in Loop: Header=BB4_5054 Depth=3
	v_clz_i32_u32_e32 v4, v5
	s_delay_alu instid0(VALU_DEP_1) | instskip(SKIP_1) | instid1(VALU_DEP_2)
	v_min_u32_e32 v4, 32, v4
	v_mov_b32_e32 v25, v3
	v_subrev_nc_u32_e32 v5, 29, v4
	v_sub_nc_u32_e32 v4, 30, v4
	s_delay_alu instid0(VALU_DEP_2) | instskip(NEXT) | instid1(VALU_DEP_1)
	v_lshlrev_b64_e32 v[84:85], v5, v[24:25]
	v_and_b32_e32 v5, 3, v84
.LBB4_5191:                             ;   in Loop: Header=BB4_5054 Depth=3
	s_or_b32 exec_lo, exec_lo, s73
	v_bfe_i32 v17, v24, 0, 16
                                        ; implicit-def: $vgpr24
	s_delay_alu instid0(VALU_DEP_1) | instskip(NEXT) | instid1(VALU_DEP_1)
	v_and_b32_e32 v17, 0x80000000, v17
	v_lshl_add_u32 v4, v4, 23, v17
	s_delay_alu instid0(VALU_DEP_1) | instskip(NEXT) | instid1(VALU_DEP_1)
	v_lshl_or_b32 v4, v5, 21, v4
                                        ; implicit-def: $vgpr5
	v_add_nc_u32_e32 v4, 0x38000000, v4
.LBB4_5192:                             ;   in Loop: Header=BB4_5054 Depth=3
	s_and_not1_saveexec_b32 s72, s72
; %bb.5193:                             ;   in Loop: Header=BB4_5054 Depth=3
	v_cmp_lt_i16_e32 vcc_lo, -1, v24
	v_cndmask_b32_e32 v4, 0xff800000, v112, vcc_lo
	v_cmp_eq_u32_e32 vcc_lo, 0, v5
	s_delay_alu instid0(VALU_DEP_2)
	v_cndmask_b32_e32 v4, 0x7f800001, v4, vcc_lo
; %bb.5194:                             ;   in Loop: Header=BB4_5054 Depth=3
	s_or_b32 exec_lo, exec_lo, s72
.LBB4_5195:                             ;   in Loop: Header=BB4_5054 Depth=3
	s_delay_alu instid0(SALU_CYCLE_1)
	s_or_b32 exec_lo, exec_lo, s43
.LBB4_5196:                             ;   in Loop: Header=BB4_5054 Depth=3
	s_delay_alu instid0(SALU_CYCLE_1) | instskip(NEXT) | instid1(SALU_CYCLE_1)
	s_or_b32 exec_lo, exec_lo, s13
	s_mov_b32 s13, exec_lo
	s_wait_loadcnt_dscnt 0xc0c
	v_cmpx_ne_u16_e32 0, v30
	s_cbranch_execz .LBB4_5206
; %bb.5197:                             ;   in Loop: Header=BB4_5054 Depth=3
	v_bfrev_b32_e32 v2, 1
	s_mov_b32 s43, exec_lo
	v_cmpx_ne_u16_e32 0xff80, v30
	s_cbranch_execz .LBB4_5205
; %bb.5198:                             ;   in Loop: Header=BB4_5054 Depth=3
	v_and_b32_e32 v2, 0x7c, v30
	v_and_b32_e32 v5, 3, v30
	s_delay_alu instid0(VALU_DEP_2) | instskip(SKIP_1) | instid1(SALU_CYCLE_1)
	v_cmp_ne_u32_e32 vcc_lo, 0x7c, v2
                                        ; implicit-def: $vgpr2
	s_and_saveexec_b32 s72, vcc_lo
	s_xor_b32 s72, exec_lo, s72
	s_cbranch_execz .LBB4_5202
; %bb.5199:                             ;   in Loop: Header=BB4_5054 Depth=3
	v_and_b32_e32 v2, 0xff, v30
	s_mov_b32 s73, exec_lo
	s_delay_alu instid0(VALU_DEP_1) | instskip(NEXT) | instid1(VALU_DEP_1)
	v_bfe_u32 v2, v2, 2, 5
	v_cmpx_eq_u32_e32 0, v2
	s_cbranch_execz .LBB4_5201
; %bb.5200:                             ;   in Loop: Header=BB4_5054 Depth=3
	v_clz_i32_u32_e32 v2, v5
	s_delay_alu instid0(VALU_DEP_1) | instskip(SKIP_1) | instid1(VALU_DEP_2)
	v_min_u32_e32 v2, 32, v2
	v_mov_b32_e32 v31, v3
	v_subrev_nc_u32_e32 v5, 29, v2
	v_sub_nc_u32_e32 v2, 30, v2
	s_delay_alu instid0(VALU_DEP_2) | instskip(NEXT) | instid1(VALU_DEP_1)
	v_lshlrev_b64_e32 v[24:25], v5, v[30:31]
	v_and_b32_e32 v5, 3, v24
.LBB4_5201:                             ;   in Loop: Header=BB4_5054 Depth=3
	s_or_b32 exec_lo, exec_lo, s73
	v_bfe_i32 v17, v30, 0, 16
                                        ; implicit-def: $vgpr30
	s_delay_alu instid0(VALU_DEP_1) | instskip(NEXT) | instid1(VALU_DEP_1)
	v_and_b32_e32 v17, 0x80000000, v17
	v_lshl_add_u32 v2, v2, 23, v17
	s_delay_alu instid0(VALU_DEP_1) | instskip(NEXT) | instid1(VALU_DEP_1)
	v_lshl_or_b32 v2, v5, 21, v2
                                        ; implicit-def: $vgpr5
	v_add_nc_u32_e32 v2, 0x38000000, v2
.LBB4_5202:                             ;   in Loop: Header=BB4_5054 Depth=3
	s_and_not1_saveexec_b32 s72, s72
; %bb.5203:                             ;   in Loop: Header=BB4_5054 Depth=3
	v_cmp_lt_i16_e32 vcc_lo, -1, v30
	v_cndmask_b32_e32 v2, 0xff800000, v112, vcc_lo
	v_cmp_eq_u32_e32 vcc_lo, 0, v5
	s_delay_alu instid0(VALU_DEP_2)
	v_cndmask_b32_e32 v2, 0x7f800001, v2, vcc_lo
; %bb.5204:                             ;   in Loop: Header=BB4_5054 Depth=3
	s_or_b32 exec_lo, exec_lo, s72
.LBB4_5205:                             ;   in Loop: Header=BB4_5054 Depth=3
	s_delay_alu instid0(SALU_CYCLE_1)
	s_or_b32 exec_lo, exec_lo, s43
.LBB4_5206:                             ;   in Loop: Header=BB4_5054 Depth=3
	s_delay_alu instid0(SALU_CYCLE_1) | instskip(NEXT) | instid1(VALU_DEP_1)
	s_or_b32 exec_lo, exec_lo, s13
	v_dual_mul_f32 v4, v4, v2 :: v_dual_mov_b32 v25, v3
                                        ; implicit-def: $vgpr30
	s_mov_b32 s13, exec_lo
	s_delay_alu instid0(VALU_DEP_1) | instskip(SKIP_1) | instid1(VALU_DEP_2)
	v_and_b32_e32 v24, 0x7f800000, v4
	v_and_b32_e32 v2, 0x7fffff, v4
	v_cmpx_ne_u64_e32 0x7f800000, v[24:25]
	s_xor_b32 s43, exec_lo, s13
	s_cbranch_execz .LBB4_5224
; %bb.5207:                             ;   in Loop: Header=BB4_5054 Depth=3
	v_dual_mov_b32 v25, v3 :: v_dual_lshrrev_b32 v5, 24, v4
	v_and_b32_e32 v24, 0x7fffffff, v4
                                        ; implicit-def: $vgpr30
	s_mov_b32 s13, exec_lo
	s_delay_alu instid0(VALU_DEP_2) | instskip(NEXT) | instid1(VALU_DEP_2)
	v_and_b32_e32 v17, 0x80, v5
	v_cmpx_gt_u64_e32 0x47600001, v[24:25]
	s_xor_b32 s72, exec_lo, s13
	s_cbranch_execz .LBB4_5221
; %bb.5208:                             ;   in Loop: Header=BB4_5054 Depth=3
	v_mov_b32_e32 v30, 0
	s_mov_b32 s73, exec_lo
	v_cmpx_ne_u32_e32 0, v4
	s_cbranch_execz .LBB4_5220
; %bb.5209:                             ;   in Loop: Header=BB4_5054 Depth=3
	v_bfe_u32 v19, v4, 23, 8
	v_or_b32_e32 v5, 0x800000, v2
	s_delay_alu instid0(VALU_DEP_2) | instskip(SKIP_2) | instid1(VALU_DEP_2)
	v_cmp_gt_u32_e64 s13, 0x72, v19
	v_sub_nc_u32_e32 v4, 0x71, v19
	v_cmp_eq_u32_e32 vcc_lo, 0, v19
	v_cndmask_b32_e64 v4, 0, v4, s13
	s_delay_alu instid0(VALU_DEP_1) | instskip(SKIP_1) | instid1(VALU_DEP_2)
	v_cndmask_b32_e64 v21, v4, 0x70, vcc_lo
	v_dual_cndmask_b32 v4, v5, v2 :: v_dual_mov_b32 v5, v3
	v_add_nc_u32_e32 v2, 21, v21
	s_delay_alu instid0(VALU_DEP_1) | instskip(SKIP_1) | instid1(VALU_DEP_1)
	v_lshlrev_b64_e64 v[24:25], v2, -1
	v_add_nc_u32_e32 v2, 20, v21
	v_lshlrev_b64_e64 v[30:31], v2, 1
	s_delay_alu instid0(VALU_DEP_3) | instskip(SKIP_2) | instid1(VALU_DEP_1)
	v_bfi_b32 v24, v24, 0, v4
	v_lshrrev_b64 v[4:5], v21, v[4:5]
	v_bfi_b32 v25, v25, 0, 0
	v_cmp_eq_u64_e64 s13, v[24:25], v[30:31]
	s_delay_alu instid0(VALU_DEP_3)
	v_mov_b64_e32 v[24:25], v[4:5]
	s_and_saveexec_b32 s74, s13
; %bb.5210:                             ;   in Loop: Header=BB4_5054 Depth=3
	v_bfe_u32 v24, v4, 21, 1
	v_mov_b32_e32 v25, v3
	s_delay_alu instid0(VALU_DEP_1) | instskip(NEXT) | instid1(VALU_DEP_1)
	v_add_nc_u64_e32 v[24:25], v[4:5], v[24:25]
	v_add_nc_u64_e32 v[24:25], -1, v[24:25]
; %bb.5211:                             ;   in Loop: Header=BB4_5054 Depth=3
	s_or_b32 exec_lo, exec_lo, s74
	v_add_nc_u32_e32 v2, 0xffffff81, v19
	s_delay_alu instid0(VALU_DEP_2) | instskip(SKIP_2) | instid1(VALU_DEP_3)
	v_and_b32_e32 v19, 0x1fffff, v24
	v_lshrrev_b32_e32 v5, 23, v4
	s_mov_b32 s13, exec_lo
	v_cndmask_b32_e64 v2, v2, 0xffffff82, vcc_lo
	s_delay_alu instid0(VALU_DEP_1) | instskip(SKIP_1) | instid1(VALU_DEP_2)
	v_add3_u32 v23, v21, v2, v5
	v_add_nc_u32_e32 v2, v19, v4
                                        ; implicit-def: $vgpr4_vgpr5
                                        ; implicit-def: $vgpr19
	v_add_nc_u32_e32 v21, 14, v23
	s_delay_alu instid0(VALU_DEP_1)
	v_cmpx_ne_u32_e32 0, v21
	s_xor_b32 s13, exec_lo, s13
; %bb.5212:                             ;   in Loop: Header=BB4_5054 Depth=3
	s_delay_alu instid0(VALU_DEP_3) | instskip(SKIP_1) | instid1(VALU_DEP_1)
	v_cmp_lt_u64_e32 vcc_lo, 0xffffff, v[2:3]
	v_add_nc_u32_e32 v4, 15, v23
	v_cndmask_b32_e32 v19, v21, v4, vcc_lo
	v_cndmask_b32_e64 v4, 0, 1, vcc_lo
	s_delay_alu instid0(VALU_DEP_1)
	v_lshrrev_b64 v[4:5], v4, v[2:3]
; %bb.5213:                             ;   in Loop: Header=BB4_5054 Depth=3
	s_and_not1_saveexec_b32 s13, s13
; %bb.5214:                             ;   in Loop: Header=BB4_5054 Depth=3
	v_mov_b64_e32 v[4:5], v[2:3]
	v_bfe_u32 v19, v2, 23, 1
; %bb.5215:                             ;   in Loop: Header=BB4_5054 Depth=3
	s_or_b32 exec_lo, exec_lo, s13
	s_delay_alu instid0(VALU_DEP_2) | instskip(NEXT) | instid1(VALU_DEP_2)
	v_lshrrev_b64 v[4:5], 21, v[4:5]
	v_cmp_gt_i32_e32 vcc_lo, 32, v19
	v_cmp_ne_u32_e64 s13, 0, v19
                                        ; implicit-def: $vgpr30
	s_delay_alu instid0(VALU_DEP_3) | instskip(NEXT) | instid1(VALU_DEP_1)
	v_dual_cndmask_b32 v5, 0, v5 :: v_dual_cndmask_b32 v4, 3, v4
	v_cmp_ne_u64_e32 vcc_lo, 0, v[4:5]
	s_or_b32 s13, s13, vcc_lo
	s_delay_alu instid0(SALU_CYCLE_1) | instskip(NEXT) | instid1(SALU_CYCLE_1)
	s_and_saveexec_b32 s74, s13
	s_xor_b32 s13, exec_lo, s74
; %bb.5216:                             ;   in Loop: Header=BB4_5054 Depth=3
	v_min_i32_e32 v2, 31, v19
	s_delay_alu instid0(VALU_DEP_1) | instskip(NEXT) | instid1(VALU_DEP_1)
	v_lshl_or_b32 v2, v2, 2, v17
                                        ; implicit-def: $vgpr17
	v_and_or_b32 v30, v4, 3, v2
; %bb.5217:                             ;   in Loop: Header=BB4_5054 Depth=3
	s_and_not1_saveexec_b32 s13, s13
; %bb.5218:                             ;   in Loop: Header=BB4_5054 Depth=3
	v_mov_b32_e32 v30, v17
; %bb.5219:                             ;   in Loop: Header=BB4_5054 Depth=3
	s_or_b32 exec_lo, exec_lo, s13
.LBB4_5220:                             ;   in Loop: Header=BB4_5054 Depth=3
	s_delay_alu instid0(SALU_CYCLE_1)
	s_or_b32 exec_lo, exec_lo, s73
                                        ; implicit-def: $vgpr17
.LBB4_5221:                             ;   in Loop: Header=BB4_5054 Depth=3
	s_and_not1_saveexec_b32 s13, s72
; %bb.5222:                             ;   in Loop: Header=BB4_5054 Depth=3
	v_or_b32_e32 v30, 0x7b, v17
; %bb.5223:                             ;   in Loop: Header=BB4_5054 Depth=3
	s_or_b32 exec_lo, exec_lo, s13
                                        ; implicit-def: $vgpr4
.LBB4_5224:                             ;   in Loop: Header=BB4_5054 Depth=3
	s_and_not1_saveexec_b32 s13, s43
	s_cbranch_execz .LBB4_5230
; %bb.5225:                             ;   in Loop: Header=BB4_5054 Depth=3
	s_mov_b32 s43, exec_lo
                                        ; implicit-def: $vgpr30
	v_cmpx_ne_u64_e32 0, v[2:3]
	s_xor_b32 s43, exec_lo, s43
; %bb.5226:                             ;   in Loop: Header=BB4_5054 Depth=3
	v_lshrrev_b32_e32 v2, 24, v4
                                        ; implicit-def: $vgpr4
	s_delay_alu instid0(VALU_DEP_1)
	v_or_b32_e32 v30, 0x7f, v2
; %bb.5227:                             ;   in Loop: Header=BB4_5054 Depth=3
	s_and_not1_saveexec_b32 s43, s43
; %bb.5228:                             ;   in Loop: Header=BB4_5054 Depth=3
	v_cmp_lt_i32_e32 vcc_lo, -1, v4
	v_cndmask_b32_e64 v30, -4, 0x7c, vcc_lo
; %bb.5229:                             ;   in Loop: Header=BB4_5054 Depth=3
	s_or_b32 exec_lo, exec_lo, s43
.LBB4_5230:                             ;   in Loop: Header=BB4_5054 Depth=3
	s_delay_alu instid0(SALU_CYCLE_1)
	s_or_b32 exec_lo, exec_lo, s13
	v_dual_mov_b32 v2, 0 :: v_dual_mov_b32 v4, 0
	s_mov_b32 s13, exec_lo
	v_cmpx_ne_u16_e32 0, v28
	s_cbranch_execz .LBB4_5240
; %bb.5231:                             ;   in Loop: Header=BB4_5054 Depth=3
	v_bfrev_b32_e32 v4, 1
	s_mov_b32 s43, exec_lo
	v_cmpx_ne_u16_e32 0xff80, v28
	s_cbranch_execz .LBB4_5239
; %bb.5232:                             ;   in Loop: Header=BB4_5054 Depth=3
	v_and_b32_e32 v4, 0x7c, v28
	v_and_b32_e32 v5, 3, v28
	s_delay_alu instid0(VALU_DEP_2) | instskip(SKIP_1) | instid1(SALU_CYCLE_1)
	v_cmp_ne_u32_e32 vcc_lo, 0x7c, v4
                                        ; implicit-def: $vgpr4
	s_and_saveexec_b32 s72, vcc_lo
	s_xor_b32 s72, exec_lo, s72
	s_cbranch_execz .LBB4_5236
; %bb.5233:                             ;   in Loop: Header=BB4_5054 Depth=3
	v_and_b32_e32 v4, 0xff, v28
	s_mov_b32 s73, exec_lo
	s_delay_alu instid0(VALU_DEP_1) | instskip(NEXT) | instid1(VALU_DEP_1)
	v_bfe_u32 v4, v4, 2, 5
	v_cmpx_eq_u32_e32 0, v4
	s_cbranch_execz .LBB4_5235
; %bb.5234:                             ;   in Loop: Header=BB4_5054 Depth=3
	v_clz_i32_u32_e32 v4, v5
	s_delay_alu instid0(VALU_DEP_1) | instskip(SKIP_1) | instid1(VALU_DEP_2)
	v_min_u32_e32 v4, 32, v4
	v_mov_b32_e32 v29, v3
	v_subrev_nc_u32_e32 v5, 29, v4
	v_sub_nc_u32_e32 v4, 30, v4
	s_delay_alu instid0(VALU_DEP_2) | instskip(NEXT) | instid1(VALU_DEP_1)
	v_lshlrev_b64_e32 v[24:25], v5, v[28:29]
	v_and_b32_e32 v5, 3, v24
.LBB4_5235:                             ;   in Loop: Header=BB4_5054 Depth=3
	s_or_b32 exec_lo, exec_lo, s73
	v_bfe_i32 v17, v28, 0, 16
                                        ; implicit-def: $vgpr28
	s_delay_alu instid0(VALU_DEP_1) | instskip(NEXT) | instid1(VALU_DEP_1)
	v_and_b32_e32 v17, 0x80000000, v17
	v_lshl_add_u32 v4, v4, 23, v17
	s_delay_alu instid0(VALU_DEP_1) | instskip(NEXT) | instid1(VALU_DEP_1)
	v_lshl_or_b32 v4, v5, 21, v4
                                        ; implicit-def: $vgpr5
	v_add_nc_u32_e32 v4, 0x38000000, v4
.LBB4_5236:                             ;   in Loop: Header=BB4_5054 Depth=3
	s_and_not1_saveexec_b32 s72, s72
; %bb.5237:                             ;   in Loop: Header=BB4_5054 Depth=3
	v_cmp_lt_i16_e32 vcc_lo, -1, v28
	v_cndmask_b32_e32 v4, 0xff800000, v112, vcc_lo
	v_cmp_eq_u32_e32 vcc_lo, 0, v5
	s_delay_alu instid0(VALU_DEP_2)
	v_cndmask_b32_e32 v4, 0x7f800001, v4, vcc_lo
; %bb.5238:                             ;   in Loop: Header=BB4_5054 Depth=3
	s_or_b32 exec_lo, exec_lo, s72
.LBB4_5239:                             ;   in Loop: Header=BB4_5054 Depth=3
	s_delay_alu instid0(SALU_CYCLE_1)
	s_or_b32 exec_lo, exec_lo, s43
.LBB4_5240:                             ;   in Loop: Header=BB4_5054 Depth=3
	s_delay_alu instid0(SALU_CYCLE_1) | instskip(NEXT) | instid1(SALU_CYCLE_1)
	s_or_b32 exec_lo, exec_lo, s13
	s_mov_b32 s13, exec_lo
	s_wait_loadcnt_dscnt 0xb0b
	v_cmpx_ne_u16_e32 0, v26
	s_cbranch_execz .LBB4_5250
; %bb.5241:                             ;   in Loop: Header=BB4_5054 Depth=3
	v_bfrev_b32_e32 v2, 1
	s_mov_b32 s43, exec_lo
	v_cmpx_ne_u16_e32 0xff80, v26
	s_cbranch_execz .LBB4_5249
; %bb.5242:                             ;   in Loop: Header=BB4_5054 Depth=3
	v_and_b32_e32 v2, 0x7c, v26
	v_and_b32_e32 v5, 3, v26
	s_delay_alu instid0(VALU_DEP_2) | instskip(SKIP_1) | instid1(SALU_CYCLE_1)
	v_cmp_ne_u32_e32 vcc_lo, 0x7c, v2
                                        ; implicit-def: $vgpr2
	s_and_saveexec_b32 s72, vcc_lo
	s_xor_b32 s72, exec_lo, s72
	s_cbranch_execz .LBB4_5246
; %bb.5243:                             ;   in Loop: Header=BB4_5054 Depth=3
	v_and_b32_e32 v2, 0xff, v26
	s_mov_b32 s73, exec_lo
	s_delay_alu instid0(VALU_DEP_1) | instskip(NEXT) | instid1(VALU_DEP_1)
	v_bfe_u32 v2, v2, 2, 5
	v_cmpx_eq_u32_e32 0, v2
	s_cbranch_execz .LBB4_5245
; %bb.5244:                             ;   in Loop: Header=BB4_5054 Depth=3
	v_clz_i32_u32_e32 v2, v5
	s_delay_alu instid0(VALU_DEP_1) | instskip(SKIP_1) | instid1(VALU_DEP_2)
	v_min_u32_e32 v2, 32, v2
	v_mov_b32_e32 v27, v3
	v_subrev_nc_u32_e32 v5, 29, v2
	v_sub_nc_u32_e32 v2, 30, v2
	s_delay_alu instid0(VALU_DEP_2) | instskip(NEXT) | instid1(VALU_DEP_1)
	v_lshlrev_b64_e32 v[24:25], v5, v[26:27]
	v_and_b32_e32 v5, 3, v24
.LBB4_5245:                             ;   in Loop: Header=BB4_5054 Depth=3
	s_or_b32 exec_lo, exec_lo, s73
	v_bfe_i32 v17, v26, 0, 16
                                        ; implicit-def: $vgpr26
	s_delay_alu instid0(VALU_DEP_1) | instskip(NEXT) | instid1(VALU_DEP_1)
	v_and_b32_e32 v17, 0x80000000, v17
	v_lshl_add_u32 v2, v2, 23, v17
	s_delay_alu instid0(VALU_DEP_1) | instskip(NEXT) | instid1(VALU_DEP_1)
	v_lshl_or_b32 v2, v5, 21, v2
                                        ; implicit-def: $vgpr5
	v_add_nc_u32_e32 v2, 0x38000000, v2
.LBB4_5246:                             ;   in Loop: Header=BB4_5054 Depth=3
	s_and_not1_saveexec_b32 s72, s72
; %bb.5247:                             ;   in Loop: Header=BB4_5054 Depth=3
	v_cmp_lt_i16_e32 vcc_lo, -1, v26
	v_cndmask_b32_e32 v2, 0xff800000, v112, vcc_lo
	v_cmp_eq_u32_e32 vcc_lo, 0, v5
	s_delay_alu instid0(VALU_DEP_2)
	v_cndmask_b32_e32 v2, 0x7f800001, v2, vcc_lo
; %bb.5248:                             ;   in Loop: Header=BB4_5054 Depth=3
	s_or_b32 exec_lo, exec_lo, s72
.LBB4_5249:                             ;   in Loop: Header=BB4_5054 Depth=3
	s_delay_alu instid0(SALU_CYCLE_1)
	s_or_b32 exec_lo, exec_lo, s43
.LBB4_5250:                             ;   in Loop: Header=BB4_5054 Depth=3
	s_delay_alu instid0(SALU_CYCLE_1) | instskip(NEXT) | instid1(VALU_DEP_1)
	s_or_b32 exec_lo, exec_lo, s13
	v_dual_mul_f32 v4, v4, v2 :: v_dual_mov_b32 v25, v3
                                        ; implicit-def: $vgpr26
	s_mov_b32 s13, exec_lo
	s_delay_alu instid0(VALU_DEP_1) | instskip(SKIP_1) | instid1(VALU_DEP_2)
	v_and_b32_e32 v24, 0x7f800000, v4
	v_and_b32_e32 v2, 0x7fffff, v4
	v_cmpx_ne_u64_e32 0x7f800000, v[24:25]
	s_xor_b32 s43, exec_lo, s13
	s_cbranch_execz .LBB4_5268
; %bb.5251:                             ;   in Loop: Header=BB4_5054 Depth=3
	v_dual_mov_b32 v25, v3 :: v_dual_lshrrev_b32 v5, 24, v4
	v_and_b32_e32 v24, 0x7fffffff, v4
                                        ; implicit-def: $vgpr26
	s_mov_b32 s13, exec_lo
	s_delay_alu instid0(VALU_DEP_2) | instskip(NEXT) | instid1(VALU_DEP_2)
	v_and_b32_e32 v17, 0x80, v5
	v_cmpx_gt_u64_e32 0x47600001, v[24:25]
	s_xor_b32 s72, exec_lo, s13
	s_cbranch_execz .LBB4_5265
; %bb.5252:                             ;   in Loop: Header=BB4_5054 Depth=3
	v_mov_b32_e32 v26, 0
	s_mov_b32 s73, exec_lo
	v_cmpx_ne_u32_e32 0, v4
	s_cbranch_execz .LBB4_5264
; %bb.5253:                             ;   in Loop: Header=BB4_5054 Depth=3
	v_bfe_u32 v19, v4, 23, 8
	v_or_b32_e32 v5, 0x800000, v2
	s_delay_alu instid0(VALU_DEP_2) | instskip(SKIP_2) | instid1(VALU_DEP_2)
	v_cmp_gt_u32_e64 s13, 0x72, v19
	v_sub_nc_u32_e32 v4, 0x71, v19
	v_cmp_eq_u32_e32 vcc_lo, 0, v19
	v_cndmask_b32_e64 v4, 0, v4, s13
	s_delay_alu instid0(VALU_DEP_1) | instskip(SKIP_1) | instid1(VALU_DEP_2)
	v_cndmask_b32_e64 v21, v4, 0x70, vcc_lo
	v_dual_cndmask_b32 v4, v5, v2 :: v_dual_mov_b32 v5, v3
	v_add_nc_u32_e32 v2, 21, v21
	s_delay_alu instid0(VALU_DEP_1) | instskip(SKIP_1) | instid1(VALU_DEP_1)
	v_lshlrev_b64_e64 v[24:25], v2, -1
	v_add_nc_u32_e32 v2, 20, v21
	v_lshlrev_b64_e64 v[26:27], v2, 1
	s_delay_alu instid0(VALU_DEP_3) | instskip(SKIP_2) | instid1(VALU_DEP_1)
	v_bfi_b32 v24, v24, 0, v4
	v_lshrrev_b64 v[4:5], v21, v[4:5]
	v_bfi_b32 v25, v25, 0, 0
	v_cmp_eq_u64_e64 s13, v[24:25], v[26:27]
	s_delay_alu instid0(VALU_DEP_3)
	v_mov_b64_e32 v[24:25], v[4:5]
	s_and_saveexec_b32 s74, s13
; %bb.5254:                             ;   in Loop: Header=BB4_5054 Depth=3
	v_bfe_u32 v24, v4, 21, 1
	v_mov_b32_e32 v25, v3
	s_delay_alu instid0(VALU_DEP_1) | instskip(NEXT) | instid1(VALU_DEP_1)
	v_add_nc_u64_e32 v[24:25], v[4:5], v[24:25]
	v_add_nc_u64_e32 v[24:25], -1, v[24:25]
; %bb.5255:                             ;   in Loop: Header=BB4_5054 Depth=3
	s_or_b32 exec_lo, exec_lo, s74
	v_add_nc_u32_e32 v2, 0xffffff81, v19
	s_delay_alu instid0(VALU_DEP_2) | instskip(SKIP_2) | instid1(VALU_DEP_3)
	v_and_b32_e32 v19, 0x1fffff, v24
	v_lshrrev_b32_e32 v5, 23, v4
	s_mov_b32 s13, exec_lo
	v_cndmask_b32_e64 v2, v2, 0xffffff82, vcc_lo
	s_delay_alu instid0(VALU_DEP_1) | instskip(SKIP_1) | instid1(VALU_DEP_2)
	v_add3_u32 v21, v21, v2, v5
	v_add_nc_u32_e32 v2, v19, v4
                                        ; implicit-def: $vgpr4_vgpr5
                                        ; implicit-def: $vgpr19
	v_add_nc_u32_e32 v23, 14, v21
	s_delay_alu instid0(VALU_DEP_1)
	v_cmpx_ne_u32_e32 0, v23
	s_xor_b32 s13, exec_lo, s13
; %bb.5256:                             ;   in Loop: Header=BB4_5054 Depth=3
	s_delay_alu instid0(VALU_DEP_3) | instskip(SKIP_1) | instid1(VALU_DEP_1)
	v_cmp_lt_u64_e32 vcc_lo, 0xffffff, v[2:3]
	v_add_nc_u32_e32 v4, 15, v21
	v_cndmask_b32_e32 v19, v23, v4, vcc_lo
	v_cndmask_b32_e64 v4, 0, 1, vcc_lo
	s_delay_alu instid0(VALU_DEP_1)
	v_lshrrev_b64 v[4:5], v4, v[2:3]
; %bb.5257:                             ;   in Loop: Header=BB4_5054 Depth=3
	s_and_not1_saveexec_b32 s13, s13
; %bb.5258:                             ;   in Loop: Header=BB4_5054 Depth=3
	v_mov_b64_e32 v[4:5], v[2:3]
	v_bfe_u32 v19, v2, 23, 1
; %bb.5259:                             ;   in Loop: Header=BB4_5054 Depth=3
	s_or_b32 exec_lo, exec_lo, s13
	s_delay_alu instid0(VALU_DEP_2) | instskip(NEXT) | instid1(VALU_DEP_2)
	v_lshrrev_b64 v[4:5], 21, v[4:5]
	v_cmp_gt_i32_e32 vcc_lo, 32, v19
	v_cmp_ne_u32_e64 s13, 0, v19
                                        ; implicit-def: $vgpr26
	s_delay_alu instid0(VALU_DEP_3) | instskip(NEXT) | instid1(VALU_DEP_1)
	v_dual_cndmask_b32 v5, 0, v5 :: v_dual_cndmask_b32 v4, 3, v4
	v_cmp_ne_u64_e32 vcc_lo, 0, v[4:5]
	s_or_b32 s13, s13, vcc_lo
	s_delay_alu instid0(SALU_CYCLE_1) | instskip(NEXT) | instid1(SALU_CYCLE_1)
	s_and_saveexec_b32 s74, s13
	s_xor_b32 s13, exec_lo, s74
; %bb.5260:                             ;   in Loop: Header=BB4_5054 Depth=3
	v_min_i32_e32 v2, 31, v19
	s_delay_alu instid0(VALU_DEP_1) | instskip(NEXT) | instid1(VALU_DEP_1)
	v_lshl_or_b32 v2, v2, 2, v17
                                        ; implicit-def: $vgpr17
	v_and_or_b32 v26, v4, 3, v2
; %bb.5261:                             ;   in Loop: Header=BB4_5054 Depth=3
	s_and_not1_saveexec_b32 s13, s13
; %bb.5262:                             ;   in Loop: Header=BB4_5054 Depth=3
	v_mov_b32_e32 v26, v17
; %bb.5263:                             ;   in Loop: Header=BB4_5054 Depth=3
	s_or_b32 exec_lo, exec_lo, s13
.LBB4_5264:                             ;   in Loop: Header=BB4_5054 Depth=3
	s_delay_alu instid0(SALU_CYCLE_1)
	s_or_b32 exec_lo, exec_lo, s73
                                        ; implicit-def: $vgpr17
.LBB4_5265:                             ;   in Loop: Header=BB4_5054 Depth=3
	s_and_not1_saveexec_b32 s13, s72
; %bb.5266:                             ;   in Loop: Header=BB4_5054 Depth=3
	v_or_b32_e32 v26, 0x7b, v17
; %bb.5267:                             ;   in Loop: Header=BB4_5054 Depth=3
	s_or_b32 exec_lo, exec_lo, s13
                                        ; implicit-def: $vgpr4
.LBB4_5268:                             ;   in Loop: Header=BB4_5054 Depth=3
	s_and_not1_saveexec_b32 s13, s43
	s_cbranch_execz .LBB4_5274
; %bb.5269:                             ;   in Loop: Header=BB4_5054 Depth=3
	s_mov_b32 s43, exec_lo
                                        ; implicit-def: $vgpr26
	v_cmpx_ne_u64_e32 0, v[2:3]
	s_xor_b32 s43, exec_lo, s43
; %bb.5270:                             ;   in Loop: Header=BB4_5054 Depth=3
	v_lshrrev_b32_e32 v2, 24, v4
                                        ; implicit-def: $vgpr4
	s_delay_alu instid0(VALU_DEP_1)
	v_or_b32_e32 v26, 0x7f, v2
; %bb.5271:                             ;   in Loop: Header=BB4_5054 Depth=3
	s_and_not1_saveexec_b32 s43, s43
; %bb.5272:                             ;   in Loop: Header=BB4_5054 Depth=3
	v_cmp_lt_i32_e32 vcc_lo, -1, v4
	v_cndmask_b32_e64 v26, -4, 0x7c, vcc_lo
; %bb.5273:                             ;   in Loop: Header=BB4_5054 Depth=3
	s_or_b32 exec_lo, exec_lo, s43
.LBB4_5274:                             ;   in Loop: Header=BB4_5054 Depth=3
	s_delay_alu instid0(SALU_CYCLE_1)
	s_or_b32 exec_lo, exec_lo, s13
	v_dual_mov_b32 v2, 0 :: v_dual_mov_b32 v4, 0
	s_mov_b32 s13, exec_lo
	v_cmpx_ne_u16_e32 0, v124
	s_cbranch_execz .LBB4_5284
; %bb.5275:                             ;   in Loop: Header=BB4_5054 Depth=3
	v_bfrev_b32_e32 v4, 1
	s_mov_b32 s43, exec_lo
	v_cmpx_ne_u16_e32 0xff80, v124
	s_cbranch_execz .LBB4_5283
; %bb.5276:                             ;   in Loop: Header=BB4_5054 Depth=3
	v_and_b32_e32 v4, 0x7c, v124
	v_and_b32_e32 v5, 3, v124
	s_delay_alu instid0(VALU_DEP_2) | instskip(SKIP_1) | instid1(SALU_CYCLE_1)
	v_cmp_ne_u32_e32 vcc_lo, 0x7c, v4
                                        ; implicit-def: $vgpr4
	s_and_saveexec_b32 s72, vcc_lo
	s_xor_b32 s72, exec_lo, s72
	s_cbranch_execz .LBB4_5280
; %bb.5277:                             ;   in Loop: Header=BB4_5054 Depth=3
	v_and_b32_e32 v4, 0xff, v124
	s_mov_b32 s73, exec_lo
	s_delay_alu instid0(VALU_DEP_1) | instskip(NEXT) | instid1(VALU_DEP_1)
	v_bfe_u32 v4, v4, 2, 5
	v_cmpx_eq_u32_e32 0, v4
	s_cbranch_execz .LBB4_5279
; %bb.5278:                             ;   in Loop: Header=BB4_5054 Depth=3
	v_clz_i32_u32_e32 v4, v5
	s_delay_alu instid0(VALU_DEP_1) | instskip(SKIP_1) | instid1(VALU_DEP_2)
	v_min_u32_e32 v4, 32, v4
	v_mov_b32_e32 v125, v3
	v_subrev_nc_u32_e32 v5, 29, v4
	v_sub_nc_u32_e32 v4, 30, v4
	s_delay_alu instid0(VALU_DEP_2) | instskip(NEXT) | instid1(VALU_DEP_1)
	v_lshlrev_b64_e32 v[24:25], v5, v[124:125]
	v_and_b32_e32 v5, 3, v24
.LBB4_5279:                             ;   in Loop: Header=BB4_5054 Depth=3
	s_or_b32 exec_lo, exec_lo, s73
	v_bfe_i32 v17, v124, 0, 16
                                        ; implicit-def: $vgpr124
	s_delay_alu instid0(VALU_DEP_1) | instskip(NEXT) | instid1(VALU_DEP_1)
	v_and_b32_e32 v17, 0x80000000, v17
	v_lshl_add_u32 v4, v4, 23, v17
	s_delay_alu instid0(VALU_DEP_1) | instskip(NEXT) | instid1(VALU_DEP_1)
	v_lshl_or_b32 v4, v5, 21, v4
                                        ; implicit-def: $vgpr5
	v_add_nc_u32_e32 v4, 0x38000000, v4
.LBB4_5280:                             ;   in Loop: Header=BB4_5054 Depth=3
	s_and_not1_saveexec_b32 s72, s72
; %bb.5281:                             ;   in Loop: Header=BB4_5054 Depth=3
	v_cmp_lt_i16_e32 vcc_lo, -1, v124
	v_cndmask_b32_e32 v4, 0xff800000, v112, vcc_lo
	v_cmp_eq_u32_e32 vcc_lo, 0, v5
	s_delay_alu instid0(VALU_DEP_2)
	v_cndmask_b32_e32 v4, 0x7f800001, v4, vcc_lo
; %bb.5282:                             ;   in Loop: Header=BB4_5054 Depth=3
	s_or_b32 exec_lo, exec_lo, s72
.LBB4_5283:                             ;   in Loop: Header=BB4_5054 Depth=3
	s_delay_alu instid0(SALU_CYCLE_1)
	s_or_b32 exec_lo, exec_lo, s43
.LBB4_5284:                             ;   in Loop: Header=BB4_5054 Depth=3
	s_delay_alu instid0(SALU_CYCLE_1) | instskip(NEXT) | instid1(SALU_CYCLE_1)
	s_or_b32 exec_lo, exec_lo, s13
	s_mov_b32 s13, exec_lo
	s_wait_loadcnt_dscnt 0xa0a
	v_cmpx_ne_u16_e32 0, v122
	s_cbranch_execz .LBB4_5294
; %bb.5285:                             ;   in Loop: Header=BB4_5054 Depth=3
	v_bfrev_b32_e32 v2, 1
	s_mov_b32 s43, exec_lo
	v_cmpx_ne_u16_e32 0xff80, v122
	s_cbranch_execz .LBB4_5293
; %bb.5286:                             ;   in Loop: Header=BB4_5054 Depth=3
	v_and_b32_e32 v2, 0x7c, v122
	v_and_b32_e32 v5, 3, v122
	s_delay_alu instid0(VALU_DEP_2) | instskip(SKIP_1) | instid1(SALU_CYCLE_1)
	v_cmp_ne_u32_e32 vcc_lo, 0x7c, v2
                                        ; implicit-def: $vgpr2
	s_and_saveexec_b32 s72, vcc_lo
	s_xor_b32 s72, exec_lo, s72
	s_cbranch_execz .LBB4_5290
; %bb.5287:                             ;   in Loop: Header=BB4_5054 Depth=3
	v_and_b32_e32 v2, 0xff, v122
	s_mov_b32 s73, exec_lo
	s_delay_alu instid0(VALU_DEP_1) | instskip(NEXT) | instid1(VALU_DEP_1)
	v_bfe_u32 v2, v2, 2, 5
	v_cmpx_eq_u32_e32 0, v2
	s_cbranch_execz .LBB4_5289
; %bb.5288:                             ;   in Loop: Header=BB4_5054 Depth=3
	v_clz_i32_u32_e32 v2, v5
	s_delay_alu instid0(VALU_DEP_1) | instskip(SKIP_1) | instid1(VALU_DEP_2)
	v_min_u32_e32 v2, 32, v2
	v_mov_b32_e32 v123, v3
	v_subrev_nc_u32_e32 v5, 29, v2
	v_sub_nc_u32_e32 v2, 30, v2
	s_delay_alu instid0(VALU_DEP_2) | instskip(NEXT) | instid1(VALU_DEP_1)
	v_lshlrev_b64_e32 v[24:25], v5, v[122:123]
	v_and_b32_e32 v5, 3, v24
.LBB4_5289:                             ;   in Loop: Header=BB4_5054 Depth=3
	s_or_b32 exec_lo, exec_lo, s73
	v_bfe_i32 v17, v122, 0, 16
                                        ; implicit-def: $vgpr122
	s_delay_alu instid0(VALU_DEP_1) | instskip(NEXT) | instid1(VALU_DEP_1)
	v_and_b32_e32 v17, 0x80000000, v17
	v_lshl_add_u32 v2, v2, 23, v17
	s_delay_alu instid0(VALU_DEP_1) | instskip(NEXT) | instid1(VALU_DEP_1)
	v_lshl_or_b32 v2, v5, 21, v2
                                        ; implicit-def: $vgpr5
	v_add_nc_u32_e32 v2, 0x38000000, v2
.LBB4_5290:                             ;   in Loop: Header=BB4_5054 Depth=3
	s_and_not1_saveexec_b32 s72, s72
; %bb.5291:                             ;   in Loop: Header=BB4_5054 Depth=3
	v_cmp_lt_i16_e32 vcc_lo, -1, v122
	v_cndmask_b32_e32 v2, 0xff800000, v112, vcc_lo
	v_cmp_eq_u32_e32 vcc_lo, 0, v5
	s_delay_alu instid0(VALU_DEP_2)
	v_cndmask_b32_e32 v2, 0x7f800001, v2, vcc_lo
; %bb.5292:                             ;   in Loop: Header=BB4_5054 Depth=3
	s_or_b32 exec_lo, exec_lo, s72
.LBB4_5293:                             ;   in Loop: Header=BB4_5054 Depth=3
	s_delay_alu instid0(SALU_CYCLE_1)
	s_or_b32 exec_lo, exec_lo, s43
.LBB4_5294:                             ;   in Loop: Header=BB4_5054 Depth=3
	s_delay_alu instid0(SALU_CYCLE_1) | instskip(NEXT) | instid1(VALU_DEP_1)
	s_or_b32 exec_lo, exec_lo, s13
	v_dual_mul_f32 v4, v4, v2 :: v_dual_mov_b32 v25, v3
                                        ; implicit-def: $vgpr27
	s_mov_b32 s13, exec_lo
	s_delay_alu instid0(VALU_DEP_1) | instskip(SKIP_1) | instid1(VALU_DEP_2)
	v_and_b32_e32 v24, 0x7f800000, v4
	v_and_b32_e32 v2, 0x7fffff, v4
	v_cmpx_ne_u64_e32 0x7f800000, v[24:25]
	s_xor_b32 s43, exec_lo, s13
	s_cbranch_execz .LBB4_5312
; %bb.5295:                             ;   in Loop: Header=BB4_5054 Depth=3
	v_dual_mov_b32 v25, v3 :: v_dual_lshrrev_b32 v5, 24, v4
	v_and_b32_e32 v24, 0x7fffffff, v4
                                        ; implicit-def: $vgpr27
	s_mov_b32 s13, exec_lo
	s_delay_alu instid0(VALU_DEP_2) | instskip(NEXT) | instid1(VALU_DEP_2)
	v_and_b32_e32 v17, 0x80, v5
	v_cmpx_gt_u64_e32 0x47600001, v[24:25]
	s_xor_b32 s72, exec_lo, s13
	s_cbranch_execz .LBB4_5309
; %bb.5296:                             ;   in Loop: Header=BB4_5054 Depth=3
	v_mov_b32_e32 v27, 0
	s_mov_b32 s73, exec_lo
	v_cmpx_ne_u32_e32 0, v4
	s_cbranch_execz .LBB4_5308
; %bb.5297:                             ;   in Loop: Header=BB4_5054 Depth=3
	v_bfe_u32 v19, v4, 23, 8
	v_or_b32_e32 v5, 0x800000, v2
	s_delay_alu instid0(VALU_DEP_2) | instskip(SKIP_2) | instid1(VALU_DEP_2)
	v_cmp_gt_u32_e64 s13, 0x72, v19
	v_sub_nc_u32_e32 v4, 0x71, v19
	v_cmp_eq_u32_e32 vcc_lo, 0, v19
	v_cndmask_b32_e64 v4, 0, v4, s13
	s_delay_alu instid0(VALU_DEP_1) | instskip(SKIP_1) | instid1(VALU_DEP_2)
	v_cndmask_b32_e64 v21, v4, 0x70, vcc_lo
	v_dual_cndmask_b32 v4, v5, v2 :: v_dual_mov_b32 v5, v3
	v_add_nc_u32_e32 v2, 21, v21
	s_delay_alu instid0(VALU_DEP_1) | instskip(SKIP_1) | instid1(VALU_DEP_1)
	v_lshlrev_b64_e64 v[24:25], v2, -1
	v_add_nc_u32_e32 v2, 20, v21
	v_lshlrev_b64_e64 v[28:29], v2, 1
	s_delay_alu instid0(VALU_DEP_3) | instskip(SKIP_2) | instid1(VALU_DEP_1)
	v_bfi_b32 v24, v24, 0, v4
	v_lshrrev_b64 v[4:5], v21, v[4:5]
	v_bfi_b32 v25, v25, 0, 0
	v_cmp_eq_u64_e64 s13, v[24:25], v[28:29]
	s_delay_alu instid0(VALU_DEP_3)
	v_mov_b64_e32 v[24:25], v[4:5]
	s_and_saveexec_b32 s74, s13
; %bb.5298:                             ;   in Loop: Header=BB4_5054 Depth=3
	v_bfe_u32 v24, v4, 21, 1
	v_mov_b32_e32 v25, v3
	s_delay_alu instid0(VALU_DEP_1) | instskip(NEXT) | instid1(VALU_DEP_1)
	v_add_nc_u64_e32 v[24:25], v[4:5], v[24:25]
	v_add_nc_u64_e32 v[24:25], -1, v[24:25]
; %bb.5299:                             ;   in Loop: Header=BB4_5054 Depth=3
	s_or_b32 exec_lo, exec_lo, s74
	v_add_nc_u32_e32 v2, 0xffffff81, v19
	s_delay_alu instid0(VALU_DEP_2) | instskip(SKIP_2) | instid1(VALU_DEP_3)
	v_and_b32_e32 v19, 0x1fffff, v24
	v_lshrrev_b32_e32 v5, 23, v4
	s_mov_b32 s13, exec_lo
	v_cndmask_b32_e64 v2, v2, 0xffffff82, vcc_lo
	s_delay_alu instid0(VALU_DEP_1) | instskip(SKIP_1) | instid1(VALU_DEP_2)
	v_add3_u32 v21, v21, v2, v5
	v_add_nc_u32_e32 v2, v19, v4
                                        ; implicit-def: $vgpr4_vgpr5
                                        ; implicit-def: $vgpr19
	v_add_nc_u32_e32 v23, 14, v21
	s_delay_alu instid0(VALU_DEP_1)
	v_cmpx_ne_u32_e32 0, v23
	s_xor_b32 s13, exec_lo, s13
; %bb.5300:                             ;   in Loop: Header=BB4_5054 Depth=3
	s_delay_alu instid0(VALU_DEP_3) | instskip(SKIP_1) | instid1(VALU_DEP_1)
	v_cmp_lt_u64_e32 vcc_lo, 0xffffff, v[2:3]
	v_add_nc_u32_e32 v4, 15, v21
	v_cndmask_b32_e32 v19, v23, v4, vcc_lo
	v_cndmask_b32_e64 v4, 0, 1, vcc_lo
	s_delay_alu instid0(VALU_DEP_1)
	v_lshrrev_b64 v[4:5], v4, v[2:3]
; %bb.5301:                             ;   in Loop: Header=BB4_5054 Depth=3
	s_and_not1_saveexec_b32 s13, s13
; %bb.5302:                             ;   in Loop: Header=BB4_5054 Depth=3
	v_mov_b64_e32 v[4:5], v[2:3]
	v_bfe_u32 v19, v2, 23, 1
; %bb.5303:                             ;   in Loop: Header=BB4_5054 Depth=3
	s_or_b32 exec_lo, exec_lo, s13
	s_delay_alu instid0(VALU_DEP_2) | instskip(NEXT) | instid1(VALU_DEP_2)
	v_lshrrev_b64 v[4:5], 21, v[4:5]
	v_cmp_gt_i32_e32 vcc_lo, 32, v19
	v_cmp_ne_u32_e64 s13, 0, v19
                                        ; implicit-def: $vgpr27
	s_delay_alu instid0(VALU_DEP_3) | instskip(NEXT) | instid1(VALU_DEP_1)
	v_dual_cndmask_b32 v5, 0, v5 :: v_dual_cndmask_b32 v4, 3, v4
	v_cmp_ne_u64_e32 vcc_lo, 0, v[4:5]
	s_or_b32 s13, s13, vcc_lo
	s_delay_alu instid0(SALU_CYCLE_1) | instskip(NEXT) | instid1(SALU_CYCLE_1)
	s_and_saveexec_b32 s74, s13
	s_xor_b32 s13, exec_lo, s74
; %bb.5304:                             ;   in Loop: Header=BB4_5054 Depth=3
	v_min_i32_e32 v2, 31, v19
	s_delay_alu instid0(VALU_DEP_1) | instskip(NEXT) | instid1(VALU_DEP_1)
	v_lshl_or_b32 v2, v2, 2, v17
                                        ; implicit-def: $vgpr17
	v_and_or_b32 v27, v4, 3, v2
; %bb.5305:                             ;   in Loop: Header=BB4_5054 Depth=3
	s_and_not1_saveexec_b32 s13, s13
; %bb.5306:                             ;   in Loop: Header=BB4_5054 Depth=3
	v_mov_b32_e32 v27, v17
; %bb.5307:                             ;   in Loop: Header=BB4_5054 Depth=3
	s_or_b32 exec_lo, exec_lo, s13
.LBB4_5308:                             ;   in Loop: Header=BB4_5054 Depth=3
	s_delay_alu instid0(SALU_CYCLE_1)
	s_or_b32 exec_lo, exec_lo, s73
                                        ; implicit-def: $vgpr17
.LBB4_5309:                             ;   in Loop: Header=BB4_5054 Depth=3
	s_and_not1_saveexec_b32 s13, s72
; %bb.5310:                             ;   in Loop: Header=BB4_5054 Depth=3
	v_or_b32_e32 v27, 0x7b, v17
; %bb.5311:                             ;   in Loop: Header=BB4_5054 Depth=3
	s_or_b32 exec_lo, exec_lo, s13
                                        ; implicit-def: $vgpr4
.LBB4_5312:                             ;   in Loop: Header=BB4_5054 Depth=3
	s_and_not1_saveexec_b32 s13, s43
	s_cbranch_execz .LBB4_5318
; %bb.5313:                             ;   in Loop: Header=BB4_5054 Depth=3
	s_mov_b32 s43, exec_lo
                                        ; implicit-def: $vgpr27
	v_cmpx_ne_u64_e32 0, v[2:3]
	s_xor_b32 s43, exec_lo, s43
; %bb.5314:                             ;   in Loop: Header=BB4_5054 Depth=3
	v_lshrrev_b32_e32 v2, 24, v4
                                        ; implicit-def: $vgpr4
	s_delay_alu instid0(VALU_DEP_1)
	v_or_b32_e32 v27, 0x7f, v2
; %bb.5315:                             ;   in Loop: Header=BB4_5054 Depth=3
	s_and_not1_saveexec_b32 s43, s43
; %bb.5316:                             ;   in Loop: Header=BB4_5054 Depth=3
	v_cmp_lt_i32_e32 vcc_lo, -1, v4
	v_cndmask_b32_e64 v27, -4, 0x7c, vcc_lo
; %bb.5317:                             ;   in Loop: Header=BB4_5054 Depth=3
	s_or_b32 exec_lo, exec_lo, s43
.LBB4_5318:                             ;   in Loop: Header=BB4_5054 Depth=3
	s_delay_alu instid0(SALU_CYCLE_1)
	s_or_b32 exec_lo, exec_lo, s13
	v_dual_mov_b32 v2, 0 :: v_dual_mov_b32 v4, 0
	s_mov_b32 s13, exec_lo
	v_cmpx_ne_u16_e32 0, v120
	s_cbranch_execz .LBB4_5328
; %bb.5319:                             ;   in Loop: Header=BB4_5054 Depth=3
	v_bfrev_b32_e32 v4, 1
	s_mov_b32 s43, exec_lo
	v_cmpx_ne_u16_e32 0xff80, v120
	s_cbranch_execz .LBB4_5327
; %bb.5320:                             ;   in Loop: Header=BB4_5054 Depth=3
	v_and_b32_e32 v4, 0x7c, v120
	v_and_b32_e32 v5, 3, v120
	s_delay_alu instid0(VALU_DEP_2) | instskip(SKIP_1) | instid1(SALU_CYCLE_1)
	v_cmp_ne_u32_e32 vcc_lo, 0x7c, v4
                                        ; implicit-def: $vgpr4
	s_and_saveexec_b32 s72, vcc_lo
	s_xor_b32 s72, exec_lo, s72
	s_cbranch_execz .LBB4_5324
; %bb.5321:                             ;   in Loop: Header=BB4_5054 Depth=3
	v_and_b32_e32 v4, 0xff, v120
	s_mov_b32 s73, exec_lo
	s_delay_alu instid0(VALU_DEP_1) | instskip(NEXT) | instid1(VALU_DEP_1)
	v_bfe_u32 v4, v4, 2, 5
	v_cmpx_eq_u32_e32 0, v4
	s_cbranch_execz .LBB4_5323
; %bb.5322:                             ;   in Loop: Header=BB4_5054 Depth=3
	v_clz_i32_u32_e32 v4, v5
	s_delay_alu instid0(VALU_DEP_1) | instskip(SKIP_1) | instid1(VALU_DEP_2)
	v_min_u32_e32 v4, 32, v4
	v_mov_b32_e32 v121, v3
	v_subrev_nc_u32_e32 v5, 29, v4
	v_sub_nc_u32_e32 v4, 30, v4
	s_delay_alu instid0(VALU_DEP_2) | instskip(NEXT) | instid1(VALU_DEP_1)
	v_lshlrev_b64_e32 v[24:25], v5, v[120:121]
	v_and_b32_e32 v5, 3, v24
.LBB4_5323:                             ;   in Loop: Header=BB4_5054 Depth=3
	s_or_b32 exec_lo, exec_lo, s73
	v_bfe_i32 v17, v120, 0, 16
                                        ; implicit-def: $vgpr120
	s_delay_alu instid0(VALU_DEP_1) | instskip(NEXT) | instid1(VALU_DEP_1)
	v_and_b32_e32 v17, 0x80000000, v17
	v_lshl_add_u32 v4, v4, 23, v17
	s_delay_alu instid0(VALU_DEP_1) | instskip(NEXT) | instid1(VALU_DEP_1)
	v_lshl_or_b32 v4, v5, 21, v4
                                        ; implicit-def: $vgpr5
	v_add_nc_u32_e32 v4, 0x38000000, v4
.LBB4_5324:                             ;   in Loop: Header=BB4_5054 Depth=3
	s_and_not1_saveexec_b32 s72, s72
; %bb.5325:                             ;   in Loop: Header=BB4_5054 Depth=3
	v_cmp_lt_i16_e32 vcc_lo, -1, v120
	v_cndmask_b32_e32 v4, 0xff800000, v112, vcc_lo
	v_cmp_eq_u32_e32 vcc_lo, 0, v5
	s_delay_alu instid0(VALU_DEP_2)
	v_cndmask_b32_e32 v4, 0x7f800001, v4, vcc_lo
; %bb.5326:                             ;   in Loop: Header=BB4_5054 Depth=3
	s_or_b32 exec_lo, exec_lo, s72
.LBB4_5327:                             ;   in Loop: Header=BB4_5054 Depth=3
	s_delay_alu instid0(SALU_CYCLE_1)
	s_or_b32 exec_lo, exec_lo, s43
.LBB4_5328:                             ;   in Loop: Header=BB4_5054 Depth=3
	s_delay_alu instid0(SALU_CYCLE_1) | instskip(NEXT) | instid1(SALU_CYCLE_1)
	s_or_b32 exec_lo, exec_lo, s13
	s_mov_b32 s13, exec_lo
	s_wait_loadcnt_dscnt 0x909
	v_cmpx_ne_u16_e32 0, v110
	s_cbranch_execz .LBB4_5338
; %bb.5329:                             ;   in Loop: Header=BB4_5054 Depth=3
	v_bfrev_b32_e32 v2, 1
	s_mov_b32 s43, exec_lo
	v_cmpx_ne_u16_e32 0xff80, v110
	s_cbranch_execz .LBB4_5337
; %bb.5330:                             ;   in Loop: Header=BB4_5054 Depth=3
	v_and_b32_e32 v2, 0x7c, v110
	v_and_b32_e32 v5, 3, v110
	s_delay_alu instid0(VALU_DEP_2) | instskip(SKIP_1) | instid1(SALU_CYCLE_1)
	v_cmp_ne_u32_e32 vcc_lo, 0x7c, v2
                                        ; implicit-def: $vgpr2
	s_and_saveexec_b32 s72, vcc_lo
	s_xor_b32 s72, exec_lo, s72
	s_cbranch_execz .LBB4_5334
; %bb.5331:                             ;   in Loop: Header=BB4_5054 Depth=3
	v_and_b32_e32 v2, 0xff, v110
	s_mov_b32 s73, exec_lo
	s_delay_alu instid0(VALU_DEP_1) | instskip(NEXT) | instid1(VALU_DEP_1)
	v_bfe_u32 v2, v2, 2, 5
	v_cmpx_eq_u32_e32 0, v2
	s_cbranch_execz .LBB4_5333
; %bb.5332:                             ;   in Loop: Header=BB4_5054 Depth=3
	v_clz_i32_u32_e32 v2, v5
	s_delay_alu instid0(VALU_DEP_1) | instskip(SKIP_1) | instid1(VALU_DEP_2)
	v_min_u32_e32 v2, 32, v2
	v_mov_b32_e32 v111, v3
	v_subrev_nc_u32_e32 v5, 29, v2
	v_sub_nc_u32_e32 v2, 30, v2
	s_delay_alu instid0(VALU_DEP_2) | instskip(NEXT) | instid1(VALU_DEP_1)
	v_lshlrev_b64_e32 v[24:25], v5, v[110:111]
	v_and_b32_e32 v5, 3, v24
.LBB4_5333:                             ;   in Loop: Header=BB4_5054 Depth=3
	s_or_b32 exec_lo, exec_lo, s73
	v_bfe_i32 v17, v110, 0, 16
                                        ; implicit-def: $vgpr110
	s_delay_alu instid0(VALU_DEP_1) | instskip(NEXT) | instid1(VALU_DEP_1)
	v_and_b32_e32 v17, 0x80000000, v17
	v_lshl_add_u32 v2, v2, 23, v17
	s_delay_alu instid0(VALU_DEP_1) | instskip(NEXT) | instid1(VALU_DEP_1)
	v_lshl_or_b32 v2, v5, 21, v2
                                        ; implicit-def: $vgpr5
	v_add_nc_u32_e32 v2, 0x38000000, v2
.LBB4_5334:                             ;   in Loop: Header=BB4_5054 Depth=3
	s_and_not1_saveexec_b32 s72, s72
; %bb.5335:                             ;   in Loop: Header=BB4_5054 Depth=3
	v_cmp_lt_i16_e32 vcc_lo, -1, v110
	v_cndmask_b32_e32 v2, 0xff800000, v112, vcc_lo
	v_cmp_eq_u32_e32 vcc_lo, 0, v5
	s_delay_alu instid0(VALU_DEP_2)
	v_cndmask_b32_e32 v2, 0x7f800001, v2, vcc_lo
; %bb.5336:                             ;   in Loop: Header=BB4_5054 Depth=3
	s_or_b32 exec_lo, exec_lo, s72
.LBB4_5337:                             ;   in Loop: Header=BB4_5054 Depth=3
	s_delay_alu instid0(SALU_CYCLE_1)
	s_or_b32 exec_lo, exec_lo, s43
.LBB4_5338:                             ;   in Loop: Header=BB4_5054 Depth=3
	s_delay_alu instid0(SALU_CYCLE_1) | instskip(NEXT) | instid1(VALU_DEP_1)
	s_or_b32 exec_lo, exec_lo, s13
	v_dual_mul_f32 v4, v4, v2 :: v_dual_mov_b32 v25, v3
                                        ; implicit-def: $vgpr28
	s_mov_b32 s13, exec_lo
	s_delay_alu instid0(VALU_DEP_1) | instskip(SKIP_1) | instid1(VALU_DEP_2)
	v_and_b32_e32 v24, 0x7f800000, v4
	v_and_b32_e32 v2, 0x7fffff, v4
	v_cmpx_ne_u64_e32 0x7f800000, v[24:25]
	s_xor_b32 s43, exec_lo, s13
	s_cbranch_execz .LBB4_5356
; %bb.5339:                             ;   in Loop: Header=BB4_5054 Depth=3
	v_dual_mov_b32 v25, v3 :: v_dual_lshrrev_b32 v5, 24, v4
	v_and_b32_e32 v24, 0x7fffffff, v4
                                        ; implicit-def: $vgpr28
	s_mov_b32 s13, exec_lo
	s_delay_alu instid0(VALU_DEP_2) | instskip(NEXT) | instid1(VALU_DEP_2)
	v_and_b32_e32 v17, 0x80, v5
	v_cmpx_gt_u64_e32 0x47600001, v[24:25]
	s_xor_b32 s72, exec_lo, s13
	s_cbranch_execz .LBB4_5353
; %bb.5340:                             ;   in Loop: Header=BB4_5054 Depth=3
	v_mov_b32_e32 v28, 0
	s_mov_b32 s73, exec_lo
	v_cmpx_ne_u32_e32 0, v4
	s_cbranch_execz .LBB4_5352
; %bb.5341:                             ;   in Loop: Header=BB4_5054 Depth=3
	v_bfe_u32 v19, v4, 23, 8
	v_or_b32_e32 v5, 0x800000, v2
	s_delay_alu instid0(VALU_DEP_2) | instskip(SKIP_2) | instid1(VALU_DEP_2)
	v_cmp_gt_u32_e64 s13, 0x72, v19
	v_sub_nc_u32_e32 v4, 0x71, v19
	v_cmp_eq_u32_e32 vcc_lo, 0, v19
	v_cndmask_b32_e64 v4, 0, v4, s13
	s_delay_alu instid0(VALU_DEP_1) | instskip(SKIP_1) | instid1(VALU_DEP_2)
	v_cndmask_b32_e64 v21, v4, 0x70, vcc_lo
	v_dual_cndmask_b32 v4, v5, v2 :: v_dual_mov_b32 v5, v3
	v_add_nc_u32_e32 v2, 21, v21
	s_delay_alu instid0(VALU_DEP_1) | instskip(SKIP_1) | instid1(VALU_DEP_1)
	v_lshlrev_b64_e64 v[24:25], v2, -1
	v_add_nc_u32_e32 v2, 20, v21
	v_lshlrev_b64_e64 v[28:29], v2, 1
	s_delay_alu instid0(VALU_DEP_3) | instskip(SKIP_2) | instid1(VALU_DEP_1)
	v_bfi_b32 v24, v24, 0, v4
	v_lshrrev_b64 v[4:5], v21, v[4:5]
	v_bfi_b32 v25, v25, 0, 0
	v_cmp_eq_u64_e64 s13, v[24:25], v[28:29]
	s_delay_alu instid0(VALU_DEP_3)
	v_mov_b64_e32 v[24:25], v[4:5]
	s_and_saveexec_b32 s74, s13
; %bb.5342:                             ;   in Loop: Header=BB4_5054 Depth=3
	v_bfe_u32 v24, v4, 21, 1
	v_mov_b32_e32 v25, v3
	s_delay_alu instid0(VALU_DEP_1) | instskip(NEXT) | instid1(VALU_DEP_1)
	v_add_nc_u64_e32 v[24:25], v[4:5], v[24:25]
	v_add_nc_u64_e32 v[24:25], -1, v[24:25]
; %bb.5343:                             ;   in Loop: Header=BB4_5054 Depth=3
	s_or_b32 exec_lo, exec_lo, s74
	v_add_nc_u32_e32 v2, 0xffffff81, v19
	s_delay_alu instid0(VALU_DEP_2) | instskip(SKIP_2) | instid1(VALU_DEP_3)
	v_and_b32_e32 v19, 0x1fffff, v24
	v_lshrrev_b32_e32 v5, 23, v4
	s_mov_b32 s13, exec_lo
	v_cndmask_b32_e64 v2, v2, 0xffffff82, vcc_lo
	s_delay_alu instid0(VALU_DEP_1) | instskip(SKIP_1) | instid1(VALU_DEP_2)
	v_add3_u32 v21, v21, v2, v5
	v_add_nc_u32_e32 v2, v19, v4
                                        ; implicit-def: $vgpr4_vgpr5
                                        ; implicit-def: $vgpr19
	v_add_nc_u32_e32 v23, 14, v21
	s_delay_alu instid0(VALU_DEP_1)
	v_cmpx_ne_u32_e32 0, v23
	s_xor_b32 s13, exec_lo, s13
; %bb.5344:                             ;   in Loop: Header=BB4_5054 Depth=3
	s_delay_alu instid0(VALU_DEP_3) | instskip(SKIP_1) | instid1(VALU_DEP_1)
	v_cmp_lt_u64_e32 vcc_lo, 0xffffff, v[2:3]
	v_add_nc_u32_e32 v4, 15, v21
	v_cndmask_b32_e32 v19, v23, v4, vcc_lo
	v_cndmask_b32_e64 v4, 0, 1, vcc_lo
	s_delay_alu instid0(VALU_DEP_1)
	v_lshrrev_b64 v[4:5], v4, v[2:3]
; %bb.5345:                             ;   in Loop: Header=BB4_5054 Depth=3
	s_and_not1_saveexec_b32 s13, s13
; %bb.5346:                             ;   in Loop: Header=BB4_5054 Depth=3
	v_mov_b64_e32 v[4:5], v[2:3]
	v_bfe_u32 v19, v2, 23, 1
; %bb.5347:                             ;   in Loop: Header=BB4_5054 Depth=3
	s_or_b32 exec_lo, exec_lo, s13
	s_delay_alu instid0(VALU_DEP_2) | instskip(NEXT) | instid1(VALU_DEP_2)
	v_lshrrev_b64 v[4:5], 21, v[4:5]
	v_cmp_gt_i32_e32 vcc_lo, 32, v19
	v_cmp_ne_u32_e64 s13, 0, v19
                                        ; implicit-def: $vgpr28
	s_delay_alu instid0(VALU_DEP_3) | instskip(NEXT) | instid1(VALU_DEP_1)
	v_dual_cndmask_b32 v5, 0, v5 :: v_dual_cndmask_b32 v4, 3, v4
	v_cmp_ne_u64_e32 vcc_lo, 0, v[4:5]
	s_or_b32 s13, s13, vcc_lo
	s_delay_alu instid0(SALU_CYCLE_1) | instskip(NEXT) | instid1(SALU_CYCLE_1)
	s_and_saveexec_b32 s74, s13
	s_xor_b32 s13, exec_lo, s74
; %bb.5348:                             ;   in Loop: Header=BB4_5054 Depth=3
	v_min_i32_e32 v2, 31, v19
	s_delay_alu instid0(VALU_DEP_1) | instskip(NEXT) | instid1(VALU_DEP_1)
	v_lshl_or_b32 v2, v2, 2, v17
                                        ; implicit-def: $vgpr17
	v_and_or_b32 v28, v4, 3, v2
; %bb.5349:                             ;   in Loop: Header=BB4_5054 Depth=3
	s_and_not1_saveexec_b32 s13, s13
; %bb.5350:                             ;   in Loop: Header=BB4_5054 Depth=3
	v_mov_b32_e32 v28, v17
; %bb.5351:                             ;   in Loop: Header=BB4_5054 Depth=3
	s_or_b32 exec_lo, exec_lo, s13
.LBB4_5352:                             ;   in Loop: Header=BB4_5054 Depth=3
	s_delay_alu instid0(SALU_CYCLE_1)
	s_or_b32 exec_lo, exec_lo, s73
                                        ; implicit-def: $vgpr17
.LBB4_5353:                             ;   in Loop: Header=BB4_5054 Depth=3
	s_and_not1_saveexec_b32 s13, s72
; %bb.5354:                             ;   in Loop: Header=BB4_5054 Depth=3
	v_or_b32_e32 v28, 0x7b, v17
; %bb.5355:                             ;   in Loop: Header=BB4_5054 Depth=3
	s_or_b32 exec_lo, exec_lo, s13
                                        ; implicit-def: $vgpr4
.LBB4_5356:                             ;   in Loop: Header=BB4_5054 Depth=3
	s_and_not1_saveexec_b32 s13, s43
	s_cbranch_execz .LBB4_5362
; %bb.5357:                             ;   in Loop: Header=BB4_5054 Depth=3
	s_mov_b32 s43, exec_lo
                                        ; implicit-def: $vgpr28
	v_cmpx_ne_u64_e32 0, v[2:3]
	s_xor_b32 s43, exec_lo, s43
; %bb.5358:                             ;   in Loop: Header=BB4_5054 Depth=3
	v_lshrrev_b32_e32 v2, 24, v4
                                        ; implicit-def: $vgpr4
	s_delay_alu instid0(VALU_DEP_1)
	v_or_b32_e32 v28, 0x7f, v2
; %bb.5359:                             ;   in Loop: Header=BB4_5054 Depth=3
	s_and_not1_saveexec_b32 s43, s43
; %bb.5360:                             ;   in Loop: Header=BB4_5054 Depth=3
	v_cmp_lt_i32_e32 vcc_lo, -1, v4
	v_cndmask_b32_e64 v28, -4, 0x7c, vcc_lo
; %bb.5361:                             ;   in Loop: Header=BB4_5054 Depth=3
	s_or_b32 exec_lo, exec_lo, s43
.LBB4_5362:                             ;   in Loop: Header=BB4_5054 Depth=3
	s_delay_alu instid0(SALU_CYCLE_1)
	s_or_b32 exec_lo, exec_lo, s13
	v_dual_mov_b32 v2, 0 :: v_dual_mov_b32 v4, 0
	s_mov_b32 s13, exec_lo
	v_cmpx_ne_u16_e32 0, v108
	s_cbranch_execz .LBB4_5372
; %bb.5363:                             ;   in Loop: Header=BB4_5054 Depth=3
	v_bfrev_b32_e32 v4, 1
	s_mov_b32 s43, exec_lo
	v_cmpx_ne_u16_e32 0xff80, v108
	s_cbranch_execz .LBB4_5371
; %bb.5364:                             ;   in Loop: Header=BB4_5054 Depth=3
	v_and_b32_e32 v4, 0x7c, v108
	v_and_b32_e32 v5, 3, v108
	s_delay_alu instid0(VALU_DEP_2) | instskip(SKIP_1) | instid1(SALU_CYCLE_1)
	v_cmp_ne_u32_e32 vcc_lo, 0x7c, v4
                                        ; implicit-def: $vgpr4
	s_and_saveexec_b32 s72, vcc_lo
	s_xor_b32 s72, exec_lo, s72
	s_cbranch_execz .LBB4_5368
; %bb.5365:                             ;   in Loop: Header=BB4_5054 Depth=3
	v_and_b32_e32 v4, 0xff, v108
	s_mov_b32 s73, exec_lo
	s_delay_alu instid0(VALU_DEP_1) | instskip(NEXT) | instid1(VALU_DEP_1)
	v_bfe_u32 v4, v4, 2, 5
	v_cmpx_eq_u32_e32 0, v4
	s_cbranch_execz .LBB4_5367
; %bb.5366:                             ;   in Loop: Header=BB4_5054 Depth=3
	v_clz_i32_u32_e32 v4, v5
	s_delay_alu instid0(VALU_DEP_1) | instskip(SKIP_1) | instid1(VALU_DEP_2)
	v_min_u32_e32 v4, 32, v4
	v_mov_b32_e32 v109, v3
	v_subrev_nc_u32_e32 v5, 29, v4
	v_sub_nc_u32_e32 v4, 30, v4
	s_delay_alu instid0(VALU_DEP_2) | instskip(NEXT) | instid1(VALU_DEP_1)
	v_lshlrev_b64_e32 v[24:25], v5, v[108:109]
	v_and_b32_e32 v5, 3, v24
.LBB4_5367:                             ;   in Loop: Header=BB4_5054 Depth=3
	s_or_b32 exec_lo, exec_lo, s73
	v_bfe_i32 v17, v108, 0, 16
                                        ; implicit-def: $vgpr108
	s_delay_alu instid0(VALU_DEP_1) | instskip(NEXT) | instid1(VALU_DEP_1)
	v_and_b32_e32 v17, 0x80000000, v17
	v_lshl_add_u32 v4, v4, 23, v17
	s_delay_alu instid0(VALU_DEP_1) | instskip(NEXT) | instid1(VALU_DEP_1)
	v_lshl_or_b32 v4, v5, 21, v4
                                        ; implicit-def: $vgpr5
	v_add_nc_u32_e32 v4, 0x38000000, v4
.LBB4_5368:                             ;   in Loop: Header=BB4_5054 Depth=3
	s_and_not1_saveexec_b32 s72, s72
; %bb.5369:                             ;   in Loop: Header=BB4_5054 Depth=3
	v_cmp_lt_i16_e32 vcc_lo, -1, v108
	v_cndmask_b32_e32 v4, 0xff800000, v112, vcc_lo
	v_cmp_eq_u32_e32 vcc_lo, 0, v5
	s_delay_alu instid0(VALU_DEP_2)
	v_cndmask_b32_e32 v4, 0x7f800001, v4, vcc_lo
; %bb.5370:                             ;   in Loop: Header=BB4_5054 Depth=3
	s_or_b32 exec_lo, exec_lo, s72
.LBB4_5371:                             ;   in Loop: Header=BB4_5054 Depth=3
	s_delay_alu instid0(SALU_CYCLE_1)
	s_or_b32 exec_lo, exec_lo, s43
.LBB4_5372:                             ;   in Loop: Header=BB4_5054 Depth=3
	s_delay_alu instid0(SALU_CYCLE_1) | instskip(NEXT) | instid1(SALU_CYCLE_1)
	s_or_b32 exec_lo, exec_lo, s13
	s_mov_b32 s13, exec_lo
	s_wait_loadcnt_dscnt 0x808
	v_cmpx_ne_u16_e32 0, v106
	s_cbranch_execz .LBB4_5382
; %bb.5373:                             ;   in Loop: Header=BB4_5054 Depth=3
	v_bfrev_b32_e32 v2, 1
	s_mov_b32 s43, exec_lo
	v_cmpx_ne_u16_e32 0xff80, v106
	s_cbranch_execz .LBB4_5381
; %bb.5374:                             ;   in Loop: Header=BB4_5054 Depth=3
	v_and_b32_e32 v2, 0x7c, v106
	v_and_b32_e32 v5, 3, v106
	s_delay_alu instid0(VALU_DEP_2) | instskip(SKIP_1) | instid1(SALU_CYCLE_1)
	v_cmp_ne_u32_e32 vcc_lo, 0x7c, v2
                                        ; implicit-def: $vgpr2
	s_and_saveexec_b32 s72, vcc_lo
	s_xor_b32 s72, exec_lo, s72
	s_cbranch_execz .LBB4_5378
; %bb.5375:                             ;   in Loop: Header=BB4_5054 Depth=3
	v_and_b32_e32 v2, 0xff, v106
	s_mov_b32 s73, exec_lo
	s_delay_alu instid0(VALU_DEP_1) | instskip(NEXT) | instid1(VALU_DEP_1)
	v_bfe_u32 v2, v2, 2, 5
	v_cmpx_eq_u32_e32 0, v2
	s_cbranch_execz .LBB4_5377
; %bb.5376:                             ;   in Loop: Header=BB4_5054 Depth=3
	v_clz_i32_u32_e32 v2, v5
	s_delay_alu instid0(VALU_DEP_1) | instskip(SKIP_1) | instid1(VALU_DEP_2)
	v_min_u32_e32 v2, 32, v2
	v_mov_b32_e32 v107, v3
	v_subrev_nc_u32_e32 v5, 29, v2
	v_sub_nc_u32_e32 v2, 30, v2
	s_delay_alu instid0(VALU_DEP_2) | instskip(NEXT) | instid1(VALU_DEP_1)
	v_lshlrev_b64_e32 v[24:25], v5, v[106:107]
	v_and_b32_e32 v5, 3, v24
.LBB4_5377:                             ;   in Loop: Header=BB4_5054 Depth=3
	s_or_b32 exec_lo, exec_lo, s73
	v_bfe_i32 v17, v106, 0, 16
                                        ; implicit-def: $vgpr106
	s_delay_alu instid0(VALU_DEP_1) | instskip(NEXT) | instid1(VALU_DEP_1)
	v_and_b32_e32 v17, 0x80000000, v17
	v_lshl_add_u32 v2, v2, 23, v17
	s_delay_alu instid0(VALU_DEP_1) | instskip(NEXT) | instid1(VALU_DEP_1)
	v_lshl_or_b32 v2, v5, 21, v2
                                        ; implicit-def: $vgpr5
	v_add_nc_u32_e32 v2, 0x38000000, v2
.LBB4_5378:                             ;   in Loop: Header=BB4_5054 Depth=3
	s_and_not1_saveexec_b32 s72, s72
; %bb.5379:                             ;   in Loop: Header=BB4_5054 Depth=3
	v_cmp_lt_i16_e32 vcc_lo, -1, v106
	v_cndmask_b32_e32 v2, 0xff800000, v112, vcc_lo
	v_cmp_eq_u32_e32 vcc_lo, 0, v5
	s_delay_alu instid0(VALU_DEP_2)
	v_cndmask_b32_e32 v2, 0x7f800001, v2, vcc_lo
; %bb.5380:                             ;   in Loop: Header=BB4_5054 Depth=3
	s_or_b32 exec_lo, exec_lo, s72
.LBB4_5381:                             ;   in Loop: Header=BB4_5054 Depth=3
	s_delay_alu instid0(SALU_CYCLE_1)
	s_or_b32 exec_lo, exec_lo, s43
.LBB4_5382:                             ;   in Loop: Header=BB4_5054 Depth=3
	s_delay_alu instid0(SALU_CYCLE_1) | instskip(NEXT) | instid1(VALU_DEP_1)
	s_or_b32 exec_lo, exec_lo, s13
	v_dual_mul_f32 v4, v4, v2 :: v_dual_mov_b32 v25, v3
                                        ; implicit-def: $vgpr29
	s_mov_b32 s13, exec_lo
	s_delay_alu instid0(VALU_DEP_1) | instskip(SKIP_1) | instid1(VALU_DEP_2)
	v_and_b32_e32 v24, 0x7f800000, v4
	v_and_b32_e32 v2, 0x7fffff, v4
	v_cmpx_ne_u64_e32 0x7f800000, v[24:25]
	s_xor_b32 s43, exec_lo, s13
	s_cbranch_execz .LBB4_5400
; %bb.5383:                             ;   in Loop: Header=BB4_5054 Depth=3
	v_dual_mov_b32 v25, v3 :: v_dual_lshrrev_b32 v5, 24, v4
	v_and_b32_e32 v24, 0x7fffffff, v4
                                        ; implicit-def: $vgpr29
	s_mov_b32 s13, exec_lo
	s_delay_alu instid0(VALU_DEP_2) | instskip(NEXT) | instid1(VALU_DEP_2)
	v_and_b32_e32 v17, 0x80, v5
	v_cmpx_gt_u64_e32 0x47600001, v[24:25]
	s_xor_b32 s72, exec_lo, s13
	s_cbranch_execz .LBB4_5397
; %bb.5384:                             ;   in Loop: Header=BB4_5054 Depth=3
	v_mov_b32_e32 v29, 0
	s_mov_b32 s73, exec_lo
	v_cmpx_ne_u32_e32 0, v4
	s_cbranch_execz .LBB4_5396
; %bb.5385:                             ;   in Loop: Header=BB4_5054 Depth=3
	v_bfe_u32 v19, v4, 23, 8
	v_or_b32_e32 v5, 0x800000, v2
	s_delay_alu instid0(VALU_DEP_2) | instskip(SKIP_2) | instid1(VALU_DEP_2)
	v_cmp_gt_u32_e64 s13, 0x72, v19
	v_sub_nc_u32_e32 v4, 0x71, v19
	v_cmp_eq_u32_e32 vcc_lo, 0, v19
	v_cndmask_b32_e64 v4, 0, v4, s13
	s_delay_alu instid0(VALU_DEP_1) | instskip(SKIP_1) | instid1(VALU_DEP_2)
	v_cndmask_b32_e64 v21, v4, 0x70, vcc_lo
	v_dual_cndmask_b32 v4, v5, v2 :: v_dual_mov_b32 v5, v3
	v_add_nc_u32_e32 v2, 21, v21
	s_delay_alu instid0(VALU_DEP_1) | instskip(SKIP_1) | instid1(VALU_DEP_1)
	v_lshlrev_b64_e64 v[24:25], v2, -1
	v_add_nc_u32_e32 v2, 20, v21
	v_lshlrev_b64_e64 v[84:85], v2, 1
	s_delay_alu instid0(VALU_DEP_3) | instskip(SKIP_2) | instid1(VALU_DEP_1)
	v_bfi_b32 v24, v24, 0, v4
	v_lshrrev_b64 v[4:5], v21, v[4:5]
	v_bfi_b32 v25, v25, 0, 0
	v_cmp_eq_u64_e64 s13, v[24:25], v[84:85]
	s_delay_alu instid0(VALU_DEP_3)
	v_mov_b64_e32 v[24:25], v[4:5]
	s_and_saveexec_b32 s74, s13
; %bb.5386:                             ;   in Loop: Header=BB4_5054 Depth=3
	v_bfe_u32 v24, v4, 21, 1
	v_mov_b32_e32 v25, v3
	s_delay_alu instid0(VALU_DEP_1) | instskip(NEXT) | instid1(VALU_DEP_1)
	v_add_nc_u64_e32 v[24:25], v[4:5], v[24:25]
	v_add_nc_u64_e32 v[24:25], -1, v[24:25]
; %bb.5387:                             ;   in Loop: Header=BB4_5054 Depth=3
	s_or_b32 exec_lo, exec_lo, s74
	v_add_nc_u32_e32 v2, 0xffffff81, v19
	s_delay_alu instid0(VALU_DEP_2) | instskip(SKIP_2) | instid1(VALU_DEP_3)
	v_and_b32_e32 v19, 0x1fffff, v24
	v_lshrrev_b32_e32 v5, 23, v4
	s_mov_b32 s13, exec_lo
	v_cndmask_b32_e64 v2, v2, 0xffffff82, vcc_lo
	s_delay_alu instid0(VALU_DEP_1) | instskip(SKIP_1) | instid1(VALU_DEP_2)
	v_add3_u32 v21, v21, v2, v5
	v_add_nc_u32_e32 v2, v19, v4
                                        ; implicit-def: $vgpr4_vgpr5
                                        ; implicit-def: $vgpr19
	v_add_nc_u32_e32 v23, 14, v21
	s_delay_alu instid0(VALU_DEP_1)
	v_cmpx_ne_u32_e32 0, v23
	s_xor_b32 s13, exec_lo, s13
; %bb.5388:                             ;   in Loop: Header=BB4_5054 Depth=3
	s_delay_alu instid0(VALU_DEP_3) | instskip(SKIP_1) | instid1(VALU_DEP_1)
	v_cmp_lt_u64_e32 vcc_lo, 0xffffff, v[2:3]
	v_add_nc_u32_e32 v4, 15, v21
	v_cndmask_b32_e32 v19, v23, v4, vcc_lo
	v_cndmask_b32_e64 v4, 0, 1, vcc_lo
	s_delay_alu instid0(VALU_DEP_1)
	v_lshrrev_b64 v[4:5], v4, v[2:3]
; %bb.5389:                             ;   in Loop: Header=BB4_5054 Depth=3
	s_and_not1_saveexec_b32 s13, s13
; %bb.5390:                             ;   in Loop: Header=BB4_5054 Depth=3
	v_mov_b64_e32 v[4:5], v[2:3]
	v_bfe_u32 v19, v2, 23, 1
; %bb.5391:                             ;   in Loop: Header=BB4_5054 Depth=3
	s_or_b32 exec_lo, exec_lo, s13
	s_delay_alu instid0(VALU_DEP_2) | instskip(NEXT) | instid1(VALU_DEP_2)
	v_lshrrev_b64 v[4:5], 21, v[4:5]
	v_cmp_gt_i32_e32 vcc_lo, 32, v19
	v_cmp_ne_u32_e64 s13, 0, v19
                                        ; implicit-def: $vgpr29
	s_delay_alu instid0(VALU_DEP_3) | instskip(NEXT) | instid1(VALU_DEP_1)
	v_dual_cndmask_b32 v5, 0, v5 :: v_dual_cndmask_b32 v4, 3, v4
	v_cmp_ne_u64_e32 vcc_lo, 0, v[4:5]
	s_or_b32 s13, s13, vcc_lo
	s_delay_alu instid0(SALU_CYCLE_1) | instskip(NEXT) | instid1(SALU_CYCLE_1)
	s_and_saveexec_b32 s74, s13
	s_xor_b32 s13, exec_lo, s74
; %bb.5392:                             ;   in Loop: Header=BB4_5054 Depth=3
	v_min_i32_e32 v2, 31, v19
	s_delay_alu instid0(VALU_DEP_1) | instskip(NEXT) | instid1(VALU_DEP_1)
	v_lshl_or_b32 v2, v2, 2, v17
                                        ; implicit-def: $vgpr17
	v_and_or_b32 v29, v4, 3, v2
; %bb.5393:                             ;   in Loop: Header=BB4_5054 Depth=3
	s_and_not1_saveexec_b32 s13, s13
; %bb.5394:                             ;   in Loop: Header=BB4_5054 Depth=3
	v_mov_b32_e32 v29, v17
; %bb.5395:                             ;   in Loop: Header=BB4_5054 Depth=3
	s_or_b32 exec_lo, exec_lo, s13
.LBB4_5396:                             ;   in Loop: Header=BB4_5054 Depth=3
	s_delay_alu instid0(SALU_CYCLE_1)
	s_or_b32 exec_lo, exec_lo, s73
                                        ; implicit-def: $vgpr17
.LBB4_5397:                             ;   in Loop: Header=BB4_5054 Depth=3
	s_and_not1_saveexec_b32 s13, s72
; %bb.5398:                             ;   in Loop: Header=BB4_5054 Depth=3
	v_or_b32_e32 v29, 0x7b, v17
; %bb.5399:                             ;   in Loop: Header=BB4_5054 Depth=3
	s_or_b32 exec_lo, exec_lo, s13
                                        ; implicit-def: $vgpr4
.LBB4_5400:                             ;   in Loop: Header=BB4_5054 Depth=3
	s_and_not1_saveexec_b32 s13, s43
	s_cbranch_execz .LBB4_5406
; %bb.5401:                             ;   in Loop: Header=BB4_5054 Depth=3
	s_mov_b32 s43, exec_lo
                                        ; implicit-def: $vgpr29
	v_cmpx_ne_u64_e32 0, v[2:3]
	s_xor_b32 s43, exec_lo, s43
; %bb.5402:                             ;   in Loop: Header=BB4_5054 Depth=3
	v_lshrrev_b32_e32 v2, 24, v4
                                        ; implicit-def: $vgpr4
	s_delay_alu instid0(VALU_DEP_1)
	v_or_b32_e32 v29, 0x7f, v2
; %bb.5403:                             ;   in Loop: Header=BB4_5054 Depth=3
	s_and_not1_saveexec_b32 s43, s43
; %bb.5404:                             ;   in Loop: Header=BB4_5054 Depth=3
	v_cmp_lt_i32_e32 vcc_lo, -1, v4
	v_cndmask_b32_e64 v29, -4, 0x7c, vcc_lo
; %bb.5405:                             ;   in Loop: Header=BB4_5054 Depth=3
	s_or_b32 exec_lo, exec_lo, s43
.LBB4_5406:                             ;   in Loop: Header=BB4_5054 Depth=3
	s_delay_alu instid0(SALU_CYCLE_1)
	s_or_b32 exec_lo, exec_lo, s13
	v_dual_mov_b32 v2, 0 :: v_dual_mov_b32 v4, 0
	s_mov_b32 s13, exec_lo
	v_cmpx_ne_u16_e32 0, v104
	s_cbranch_execz .LBB4_5416
; %bb.5407:                             ;   in Loop: Header=BB4_5054 Depth=3
	v_bfrev_b32_e32 v4, 1
	s_mov_b32 s43, exec_lo
	v_cmpx_ne_u16_e32 0xff80, v104
	s_cbranch_execz .LBB4_5415
; %bb.5408:                             ;   in Loop: Header=BB4_5054 Depth=3
	v_and_b32_e32 v4, 0x7c, v104
	v_and_b32_e32 v5, 3, v104
	s_delay_alu instid0(VALU_DEP_2) | instskip(SKIP_1) | instid1(SALU_CYCLE_1)
	v_cmp_ne_u32_e32 vcc_lo, 0x7c, v4
                                        ; implicit-def: $vgpr4
	s_and_saveexec_b32 s72, vcc_lo
	s_xor_b32 s72, exec_lo, s72
	s_cbranch_execz .LBB4_5412
; %bb.5409:                             ;   in Loop: Header=BB4_5054 Depth=3
	v_and_b32_e32 v4, 0xff, v104
	s_mov_b32 s73, exec_lo
	s_delay_alu instid0(VALU_DEP_1) | instskip(NEXT) | instid1(VALU_DEP_1)
	v_bfe_u32 v4, v4, 2, 5
	v_cmpx_eq_u32_e32 0, v4
	s_cbranch_execz .LBB4_5411
; %bb.5410:                             ;   in Loop: Header=BB4_5054 Depth=3
	v_clz_i32_u32_e32 v4, v5
	s_delay_alu instid0(VALU_DEP_1) | instskip(SKIP_1) | instid1(VALU_DEP_2)
	v_min_u32_e32 v4, 32, v4
	v_mov_b32_e32 v105, v3
	v_subrev_nc_u32_e32 v5, 29, v4
	v_sub_nc_u32_e32 v4, 30, v4
	s_delay_alu instid0(VALU_DEP_2) | instskip(NEXT) | instid1(VALU_DEP_1)
	v_lshlrev_b64_e32 v[24:25], v5, v[104:105]
	v_and_b32_e32 v5, 3, v24
.LBB4_5411:                             ;   in Loop: Header=BB4_5054 Depth=3
	s_or_b32 exec_lo, exec_lo, s73
	v_bfe_i32 v17, v104, 0, 16
                                        ; implicit-def: $vgpr104
	s_delay_alu instid0(VALU_DEP_1) | instskip(NEXT) | instid1(VALU_DEP_1)
	v_and_b32_e32 v17, 0x80000000, v17
	v_lshl_add_u32 v4, v4, 23, v17
	s_delay_alu instid0(VALU_DEP_1) | instskip(NEXT) | instid1(VALU_DEP_1)
	v_lshl_or_b32 v4, v5, 21, v4
                                        ; implicit-def: $vgpr5
	v_add_nc_u32_e32 v4, 0x38000000, v4
.LBB4_5412:                             ;   in Loop: Header=BB4_5054 Depth=3
	s_and_not1_saveexec_b32 s72, s72
; %bb.5413:                             ;   in Loop: Header=BB4_5054 Depth=3
	v_cmp_lt_i16_e32 vcc_lo, -1, v104
	v_cndmask_b32_e32 v4, 0xff800000, v112, vcc_lo
	v_cmp_eq_u32_e32 vcc_lo, 0, v5
	s_delay_alu instid0(VALU_DEP_2)
	v_cndmask_b32_e32 v4, 0x7f800001, v4, vcc_lo
; %bb.5414:                             ;   in Loop: Header=BB4_5054 Depth=3
	s_or_b32 exec_lo, exec_lo, s72
.LBB4_5415:                             ;   in Loop: Header=BB4_5054 Depth=3
	s_delay_alu instid0(SALU_CYCLE_1)
	s_or_b32 exec_lo, exec_lo, s43
.LBB4_5416:                             ;   in Loop: Header=BB4_5054 Depth=3
	s_delay_alu instid0(SALU_CYCLE_1) | instskip(NEXT) | instid1(SALU_CYCLE_1)
	s_or_b32 exec_lo, exec_lo, s13
	s_mov_b32 s13, exec_lo
	s_wait_loadcnt_dscnt 0x707
	v_cmpx_ne_u16_e32 0, v94
	s_cbranch_execz .LBB4_5426
; %bb.5417:                             ;   in Loop: Header=BB4_5054 Depth=3
	v_bfrev_b32_e32 v2, 1
	s_mov_b32 s43, exec_lo
	v_cmpx_ne_u16_e32 0xff80, v94
	s_cbranch_execz .LBB4_5425
; %bb.5418:                             ;   in Loop: Header=BB4_5054 Depth=3
	v_and_b32_e32 v2, 0x7c, v94
	v_and_b32_e32 v5, 3, v94
	s_delay_alu instid0(VALU_DEP_2) | instskip(SKIP_1) | instid1(SALU_CYCLE_1)
	v_cmp_ne_u32_e32 vcc_lo, 0x7c, v2
                                        ; implicit-def: $vgpr2
	s_and_saveexec_b32 s72, vcc_lo
	s_xor_b32 s72, exec_lo, s72
	s_cbranch_execz .LBB4_5422
; %bb.5419:                             ;   in Loop: Header=BB4_5054 Depth=3
	v_and_b32_e32 v2, 0xff, v94
	s_mov_b32 s73, exec_lo
	s_delay_alu instid0(VALU_DEP_1) | instskip(NEXT) | instid1(VALU_DEP_1)
	v_bfe_u32 v2, v2, 2, 5
	v_cmpx_eq_u32_e32 0, v2
	s_cbranch_execz .LBB4_5421
; %bb.5420:                             ;   in Loop: Header=BB4_5054 Depth=3
	v_clz_i32_u32_e32 v2, v5
	s_delay_alu instid0(VALU_DEP_1) | instskip(SKIP_1) | instid1(VALU_DEP_2)
	v_min_u32_e32 v2, 32, v2
	v_mov_b32_e32 v95, v3
	v_subrev_nc_u32_e32 v5, 29, v2
	v_sub_nc_u32_e32 v2, 30, v2
	s_delay_alu instid0(VALU_DEP_2) | instskip(NEXT) | instid1(VALU_DEP_1)
	v_lshlrev_b64_e32 v[24:25], v5, v[94:95]
	v_and_b32_e32 v5, 3, v24
.LBB4_5421:                             ;   in Loop: Header=BB4_5054 Depth=3
	s_or_b32 exec_lo, exec_lo, s73
	v_bfe_i32 v17, v94, 0, 16
                                        ; implicit-def: $vgpr94
	s_delay_alu instid0(VALU_DEP_1) | instskip(NEXT) | instid1(VALU_DEP_1)
	v_and_b32_e32 v17, 0x80000000, v17
	v_lshl_add_u32 v2, v2, 23, v17
	s_delay_alu instid0(VALU_DEP_1) | instskip(NEXT) | instid1(VALU_DEP_1)
	v_lshl_or_b32 v2, v5, 21, v2
                                        ; implicit-def: $vgpr5
	v_add_nc_u32_e32 v2, 0x38000000, v2
.LBB4_5422:                             ;   in Loop: Header=BB4_5054 Depth=3
	s_and_not1_saveexec_b32 s72, s72
; %bb.5423:                             ;   in Loop: Header=BB4_5054 Depth=3
	v_cmp_lt_i16_e32 vcc_lo, -1, v94
	v_cndmask_b32_e32 v2, 0xff800000, v112, vcc_lo
	v_cmp_eq_u32_e32 vcc_lo, 0, v5
	s_delay_alu instid0(VALU_DEP_2)
	v_cndmask_b32_e32 v2, 0x7f800001, v2, vcc_lo
; %bb.5424:                             ;   in Loop: Header=BB4_5054 Depth=3
	s_or_b32 exec_lo, exec_lo, s72
.LBB4_5425:                             ;   in Loop: Header=BB4_5054 Depth=3
	s_delay_alu instid0(SALU_CYCLE_1)
	s_or_b32 exec_lo, exec_lo, s43
.LBB4_5426:                             ;   in Loop: Header=BB4_5054 Depth=3
	s_delay_alu instid0(SALU_CYCLE_1) | instskip(NEXT) | instid1(VALU_DEP_1)
	s_or_b32 exec_lo, exec_lo, s13
	v_dual_mul_f32 v4, v4, v2 :: v_dual_mov_b32 v25, v3
                                        ; implicit-def: $vgpr31
	s_mov_b32 s13, exec_lo
	s_delay_alu instid0(VALU_DEP_1) | instskip(SKIP_1) | instid1(VALU_DEP_2)
	v_and_b32_e32 v24, 0x7f800000, v4
	v_and_b32_e32 v2, 0x7fffff, v4
	v_cmpx_ne_u64_e32 0x7f800000, v[24:25]
	s_xor_b32 s43, exec_lo, s13
	s_cbranch_execz .LBB4_5444
; %bb.5427:                             ;   in Loop: Header=BB4_5054 Depth=3
	v_dual_mov_b32 v25, v3 :: v_dual_lshrrev_b32 v5, 24, v4
	v_and_b32_e32 v24, 0x7fffffff, v4
                                        ; implicit-def: $vgpr31
	s_mov_b32 s13, exec_lo
	s_delay_alu instid0(VALU_DEP_2) | instskip(NEXT) | instid1(VALU_DEP_2)
	v_and_b32_e32 v17, 0x80, v5
	v_cmpx_gt_u64_e32 0x47600001, v[24:25]
	s_xor_b32 s72, exec_lo, s13
	s_cbranch_execz .LBB4_5441
; %bb.5428:                             ;   in Loop: Header=BB4_5054 Depth=3
	v_mov_b32_e32 v31, 0
	s_mov_b32 s73, exec_lo
	v_cmpx_ne_u32_e32 0, v4
	s_cbranch_execz .LBB4_5440
; %bb.5429:                             ;   in Loop: Header=BB4_5054 Depth=3
	v_bfe_u32 v19, v4, 23, 8
	v_or_b32_e32 v5, 0x800000, v2
	s_delay_alu instid0(VALU_DEP_2) | instskip(SKIP_2) | instid1(VALU_DEP_2)
	v_cmp_gt_u32_e64 s13, 0x72, v19
	v_sub_nc_u32_e32 v4, 0x71, v19
	v_cmp_eq_u32_e32 vcc_lo, 0, v19
	v_cndmask_b32_e64 v4, 0, v4, s13
	s_delay_alu instid0(VALU_DEP_1) | instskip(SKIP_1) | instid1(VALU_DEP_2)
	v_cndmask_b32_e64 v21, v4, 0x70, vcc_lo
	v_dual_cndmask_b32 v4, v5, v2 :: v_dual_mov_b32 v5, v3
	v_add_nc_u32_e32 v2, 21, v21
	s_delay_alu instid0(VALU_DEP_1) | instskip(SKIP_1) | instid1(VALU_DEP_1)
	v_lshlrev_b64_e64 v[24:25], v2, -1
	v_add_nc_u32_e32 v2, 20, v21
	v_lshlrev_b64_e64 v[84:85], v2, 1
	s_delay_alu instid0(VALU_DEP_3) | instskip(SKIP_2) | instid1(VALU_DEP_1)
	v_bfi_b32 v24, v24, 0, v4
	v_lshrrev_b64 v[4:5], v21, v[4:5]
	v_bfi_b32 v25, v25, 0, 0
	v_cmp_eq_u64_e64 s13, v[24:25], v[84:85]
	s_delay_alu instid0(VALU_DEP_3)
	v_mov_b64_e32 v[24:25], v[4:5]
	s_and_saveexec_b32 s74, s13
; %bb.5430:                             ;   in Loop: Header=BB4_5054 Depth=3
	v_bfe_u32 v24, v4, 21, 1
	v_mov_b32_e32 v25, v3
	s_delay_alu instid0(VALU_DEP_1) | instskip(NEXT) | instid1(VALU_DEP_1)
	v_add_nc_u64_e32 v[24:25], v[4:5], v[24:25]
	v_add_nc_u64_e32 v[24:25], -1, v[24:25]
; %bb.5431:                             ;   in Loop: Header=BB4_5054 Depth=3
	s_or_b32 exec_lo, exec_lo, s74
	v_add_nc_u32_e32 v2, 0xffffff81, v19
	s_delay_alu instid0(VALU_DEP_2) | instskip(SKIP_2) | instid1(VALU_DEP_3)
	v_and_b32_e32 v19, 0x1fffff, v24
	v_lshrrev_b32_e32 v5, 23, v4
	s_mov_b32 s13, exec_lo
	v_cndmask_b32_e64 v2, v2, 0xffffff82, vcc_lo
	s_delay_alu instid0(VALU_DEP_1) | instskip(SKIP_1) | instid1(VALU_DEP_2)
	v_add3_u32 v21, v21, v2, v5
	v_add_nc_u32_e32 v2, v19, v4
                                        ; implicit-def: $vgpr4_vgpr5
                                        ; implicit-def: $vgpr19
	v_add_nc_u32_e32 v23, 14, v21
	s_delay_alu instid0(VALU_DEP_1)
	v_cmpx_ne_u32_e32 0, v23
	s_xor_b32 s13, exec_lo, s13
; %bb.5432:                             ;   in Loop: Header=BB4_5054 Depth=3
	s_delay_alu instid0(VALU_DEP_3) | instskip(SKIP_1) | instid1(VALU_DEP_1)
	v_cmp_lt_u64_e32 vcc_lo, 0xffffff, v[2:3]
	v_add_nc_u32_e32 v4, 15, v21
	v_cndmask_b32_e32 v19, v23, v4, vcc_lo
	v_cndmask_b32_e64 v4, 0, 1, vcc_lo
	s_delay_alu instid0(VALU_DEP_1)
	v_lshrrev_b64 v[4:5], v4, v[2:3]
; %bb.5433:                             ;   in Loop: Header=BB4_5054 Depth=3
	s_and_not1_saveexec_b32 s13, s13
; %bb.5434:                             ;   in Loop: Header=BB4_5054 Depth=3
	v_mov_b64_e32 v[4:5], v[2:3]
	v_bfe_u32 v19, v2, 23, 1
; %bb.5435:                             ;   in Loop: Header=BB4_5054 Depth=3
	s_or_b32 exec_lo, exec_lo, s13
	s_delay_alu instid0(VALU_DEP_2) | instskip(NEXT) | instid1(VALU_DEP_2)
	v_lshrrev_b64 v[4:5], 21, v[4:5]
	v_cmp_gt_i32_e32 vcc_lo, 32, v19
	v_cmp_ne_u32_e64 s13, 0, v19
                                        ; implicit-def: $vgpr31
	s_delay_alu instid0(VALU_DEP_3) | instskip(NEXT) | instid1(VALU_DEP_1)
	v_dual_cndmask_b32 v5, 0, v5 :: v_dual_cndmask_b32 v4, 3, v4
	v_cmp_ne_u64_e32 vcc_lo, 0, v[4:5]
	s_or_b32 s13, s13, vcc_lo
	s_delay_alu instid0(SALU_CYCLE_1) | instskip(NEXT) | instid1(SALU_CYCLE_1)
	s_and_saveexec_b32 s74, s13
	s_xor_b32 s13, exec_lo, s74
; %bb.5436:                             ;   in Loop: Header=BB4_5054 Depth=3
	v_min_i32_e32 v2, 31, v19
	s_delay_alu instid0(VALU_DEP_1) | instskip(NEXT) | instid1(VALU_DEP_1)
	v_lshl_or_b32 v2, v2, 2, v17
                                        ; implicit-def: $vgpr17
	v_and_or_b32 v31, v4, 3, v2
; %bb.5437:                             ;   in Loop: Header=BB4_5054 Depth=3
	s_and_not1_saveexec_b32 s13, s13
; %bb.5438:                             ;   in Loop: Header=BB4_5054 Depth=3
	v_mov_b32_e32 v31, v17
; %bb.5439:                             ;   in Loop: Header=BB4_5054 Depth=3
	s_or_b32 exec_lo, exec_lo, s13
.LBB4_5440:                             ;   in Loop: Header=BB4_5054 Depth=3
	s_delay_alu instid0(SALU_CYCLE_1)
	s_or_b32 exec_lo, exec_lo, s73
                                        ; implicit-def: $vgpr17
.LBB4_5441:                             ;   in Loop: Header=BB4_5054 Depth=3
	s_and_not1_saveexec_b32 s13, s72
; %bb.5442:                             ;   in Loop: Header=BB4_5054 Depth=3
	v_or_b32_e32 v31, 0x7b, v17
; %bb.5443:                             ;   in Loop: Header=BB4_5054 Depth=3
	s_or_b32 exec_lo, exec_lo, s13
                                        ; implicit-def: $vgpr4
.LBB4_5444:                             ;   in Loop: Header=BB4_5054 Depth=3
	s_and_not1_saveexec_b32 s13, s43
	s_cbranch_execz .LBB4_5450
; %bb.5445:                             ;   in Loop: Header=BB4_5054 Depth=3
	s_mov_b32 s43, exec_lo
                                        ; implicit-def: $vgpr31
	v_cmpx_ne_u64_e32 0, v[2:3]
	s_xor_b32 s43, exec_lo, s43
; %bb.5446:                             ;   in Loop: Header=BB4_5054 Depth=3
	v_lshrrev_b32_e32 v2, 24, v4
                                        ; implicit-def: $vgpr4
	s_delay_alu instid0(VALU_DEP_1)
	v_or_b32_e32 v31, 0x7f, v2
; %bb.5447:                             ;   in Loop: Header=BB4_5054 Depth=3
	s_and_not1_saveexec_b32 s43, s43
; %bb.5448:                             ;   in Loop: Header=BB4_5054 Depth=3
	v_cmp_lt_i32_e32 vcc_lo, -1, v4
	v_cndmask_b32_e64 v31, -4, 0x7c, vcc_lo
; %bb.5449:                             ;   in Loop: Header=BB4_5054 Depth=3
	s_or_b32 exec_lo, exec_lo, s43
.LBB4_5450:                             ;   in Loop: Header=BB4_5054 Depth=3
	s_delay_alu instid0(SALU_CYCLE_1)
	s_or_b32 exec_lo, exec_lo, s13
	v_dual_mov_b32 v2, 0 :: v_dual_mov_b32 v4, 0
	s_mov_b32 s13, exec_lo
	v_cmpx_ne_u16_e32 0, v92
	s_cbranch_execz .LBB4_5460
; %bb.5451:                             ;   in Loop: Header=BB4_5054 Depth=3
	v_bfrev_b32_e32 v4, 1
	s_mov_b32 s43, exec_lo
	v_cmpx_ne_u16_e32 0xff80, v92
	s_cbranch_execz .LBB4_5459
; %bb.5452:                             ;   in Loop: Header=BB4_5054 Depth=3
	v_and_b32_e32 v4, 0x7c, v92
	v_and_b32_e32 v5, 3, v92
	s_delay_alu instid0(VALU_DEP_2) | instskip(SKIP_1) | instid1(SALU_CYCLE_1)
	v_cmp_ne_u32_e32 vcc_lo, 0x7c, v4
                                        ; implicit-def: $vgpr4
	s_and_saveexec_b32 s72, vcc_lo
	s_xor_b32 s72, exec_lo, s72
	s_cbranch_execz .LBB4_5456
; %bb.5453:                             ;   in Loop: Header=BB4_5054 Depth=3
	v_and_b32_e32 v4, 0xff, v92
	s_mov_b32 s73, exec_lo
	s_delay_alu instid0(VALU_DEP_1) | instskip(NEXT) | instid1(VALU_DEP_1)
	v_bfe_u32 v4, v4, 2, 5
	v_cmpx_eq_u32_e32 0, v4
	s_cbranch_execz .LBB4_5455
; %bb.5454:                             ;   in Loop: Header=BB4_5054 Depth=3
	v_clz_i32_u32_e32 v4, v5
	s_delay_alu instid0(VALU_DEP_1) | instskip(SKIP_1) | instid1(VALU_DEP_2)
	v_min_u32_e32 v4, 32, v4
	v_mov_b32_e32 v93, v3
	v_subrev_nc_u32_e32 v5, 29, v4
	v_sub_nc_u32_e32 v4, 30, v4
	s_delay_alu instid0(VALU_DEP_2) | instskip(NEXT) | instid1(VALU_DEP_1)
	v_lshlrev_b64_e32 v[24:25], v5, v[92:93]
	v_and_b32_e32 v5, 3, v24
.LBB4_5455:                             ;   in Loop: Header=BB4_5054 Depth=3
	s_or_b32 exec_lo, exec_lo, s73
	v_bfe_i32 v17, v92, 0, 16
                                        ; implicit-def: $vgpr92
	s_delay_alu instid0(VALU_DEP_1) | instskip(NEXT) | instid1(VALU_DEP_1)
	v_and_b32_e32 v17, 0x80000000, v17
	v_lshl_add_u32 v4, v4, 23, v17
	s_delay_alu instid0(VALU_DEP_1) | instskip(NEXT) | instid1(VALU_DEP_1)
	v_lshl_or_b32 v4, v5, 21, v4
                                        ; implicit-def: $vgpr5
	v_add_nc_u32_e32 v4, 0x38000000, v4
.LBB4_5456:                             ;   in Loop: Header=BB4_5054 Depth=3
	s_and_not1_saveexec_b32 s72, s72
; %bb.5457:                             ;   in Loop: Header=BB4_5054 Depth=3
	v_cmp_lt_i16_e32 vcc_lo, -1, v92
	v_cndmask_b32_e32 v4, 0xff800000, v112, vcc_lo
	v_cmp_eq_u32_e32 vcc_lo, 0, v5
	s_delay_alu instid0(VALU_DEP_2)
	v_cndmask_b32_e32 v4, 0x7f800001, v4, vcc_lo
; %bb.5458:                             ;   in Loop: Header=BB4_5054 Depth=3
	s_or_b32 exec_lo, exec_lo, s72
.LBB4_5459:                             ;   in Loop: Header=BB4_5054 Depth=3
	s_delay_alu instid0(SALU_CYCLE_1)
	s_or_b32 exec_lo, exec_lo, s43
.LBB4_5460:                             ;   in Loop: Header=BB4_5054 Depth=3
	s_delay_alu instid0(SALU_CYCLE_1) | instskip(NEXT) | instid1(SALU_CYCLE_1)
	s_or_b32 exec_lo, exec_lo, s13
	s_mov_b32 s13, exec_lo
	s_wait_loadcnt_dscnt 0x606
	v_cmpx_ne_u16_e32 0, v90
	s_cbranch_execz .LBB4_5470
; %bb.5461:                             ;   in Loop: Header=BB4_5054 Depth=3
	v_bfrev_b32_e32 v2, 1
	s_mov_b32 s43, exec_lo
	v_cmpx_ne_u16_e32 0xff80, v90
	s_cbranch_execz .LBB4_5469
; %bb.5462:                             ;   in Loop: Header=BB4_5054 Depth=3
	v_and_b32_e32 v2, 0x7c, v90
	v_and_b32_e32 v5, 3, v90
	s_delay_alu instid0(VALU_DEP_2) | instskip(SKIP_1) | instid1(SALU_CYCLE_1)
	v_cmp_ne_u32_e32 vcc_lo, 0x7c, v2
                                        ; implicit-def: $vgpr2
	s_and_saveexec_b32 s72, vcc_lo
	s_xor_b32 s72, exec_lo, s72
	s_cbranch_execz .LBB4_5466
; %bb.5463:                             ;   in Loop: Header=BB4_5054 Depth=3
	v_and_b32_e32 v2, 0xff, v90
	s_mov_b32 s73, exec_lo
	s_delay_alu instid0(VALU_DEP_1) | instskip(NEXT) | instid1(VALU_DEP_1)
	v_bfe_u32 v2, v2, 2, 5
	v_cmpx_eq_u32_e32 0, v2
	s_cbranch_execz .LBB4_5465
; %bb.5464:                             ;   in Loop: Header=BB4_5054 Depth=3
	v_clz_i32_u32_e32 v2, v5
	s_delay_alu instid0(VALU_DEP_1) | instskip(SKIP_1) | instid1(VALU_DEP_2)
	v_min_u32_e32 v2, 32, v2
	v_mov_b32_e32 v91, v3
	v_subrev_nc_u32_e32 v5, 29, v2
	v_sub_nc_u32_e32 v2, 30, v2
	s_delay_alu instid0(VALU_DEP_2) | instskip(NEXT) | instid1(VALU_DEP_1)
	v_lshlrev_b64_e32 v[24:25], v5, v[90:91]
	v_and_b32_e32 v5, 3, v24
.LBB4_5465:                             ;   in Loop: Header=BB4_5054 Depth=3
	s_or_b32 exec_lo, exec_lo, s73
	v_bfe_i32 v17, v90, 0, 16
                                        ; implicit-def: $vgpr90
	s_delay_alu instid0(VALU_DEP_1) | instskip(NEXT) | instid1(VALU_DEP_1)
	v_and_b32_e32 v17, 0x80000000, v17
	v_lshl_add_u32 v2, v2, 23, v17
	s_delay_alu instid0(VALU_DEP_1) | instskip(NEXT) | instid1(VALU_DEP_1)
	v_lshl_or_b32 v2, v5, 21, v2
                                        ; implicit-def: $vgpr5
	v_add_nc_u32_e32 v2, 0x38000000, v2
.LBB4_5466:                             ;   in Loop: Header=BB4_5054 Depth=3
	s_and_not1_saveexec_b32 s72, s72
; %bb.5467:                             ;   in Loop: Header=BB4_5054 Depth=3
	v_cmp_lt_i16_e32 vcc_lo, -1, v90
	v_cndmask_b32_e32 v2, 0xff800000, v112, vcc_lo
	v_cmp_eq_u32_e32 vcc_lo, 0, v5
	s_delay_alu instid0(VALU_DEP_2)
	v_cndmask_b32_e32 v2, 0x7f800001, v2, vcc_lo
; %bb.5468:                             ;   in Loop: Header=BB4_5054 Depth=3
	s_or_b32 exec_lo, exec_lo, s72
.LBB4_5469:                             ;   in Loop: Header=BB4_5054 Depth=3
	s_delay_alu instid0(SALU_CYCLE_1)
	s_or_b32 exec_lo, exec_lo, s43
.LBB4_5470:                             ;   in Loop: Header=BB4_5054 Depth=3
	s_delay_alu instid0(SALU_CYCLE_1) | instskip(NEXT) | instid1(VALU_DEP_1)
	s_or_b32 exec_lo, exec_lo, s13
	v_dual_mul_f32 v4, v4, v2 :: v_dual_mov_b32 v25, v3
                                        ; implicit-def: $vgpr67
	s_mov_b32 s13, exec_lo
	s_delay_alu instid0(VALU_DEP_1) | instskip(SKIP_1) | instid1(VALU_DEP_2)
	v_and_b32_e32 v24, 0x7f800000, v4
	v_and_b32_e32 v2, 0x7fffff, v4
	v_cmpx_ne_u64_e32 0x7f800000, v[24:25]
	s_xor_b32 s43, exec_lo, s13
	s_cbranch_execz .LBB4_5488
; %bb.5471:                             ;   in Loop: Header=BB4_5054 Depth=3
	v_dual_mov_b32 v25, v3 :: v_dual_lshrrev_b32 v5, 24, v4
	v_and_b32_e32 v24, 0x7fffffff, v4
                                        ; implicit-def: $vgpr67
	s_mov_b32 s13, exec_lo
	s_delay_alu instid0(VALU_DEP_2) | instskip(NEXT) | instid1(VALU_DEP_2)
	v_and_b32_e32 v17, 0x80, v5
	v_cmpx_gt_u64_e32 0x47600001, v[24:25]
	s_xor_b32 s72, exec_lo, s13
	s_cbranch_execz .LBB4_5485
; %bb.5472:                             ;   in Loop: Header=BB4_5054 Depth=3
	v_mov_b32_e32 v67, 0
	s_mov_b32 s73, exec_lo
	v_cmpx_ne_u32_e32 0, v4
	s_cbranch_execz .LBB4_5484
; %bb.5473:                             ;   in Loop: Header=BB4_5054 Depth=3
	v_bfe_u32 v19, v4, 23, 8
	v_or_b32_e32 v23, 0x800000, v2
	s_mov_b32 s74, exec_lo
	s_delay_alu instid0(VALU_DEP_2) | instskip(SKIP_1) | instid1(VALU_DEP_2)
	v_dual_mov_b32 v25, v3 :: v_dual_sub_nc_u32 v4, 0x71, v19
	v_cmp_gt_u32_e32 vcc_lo, 0x72, v19
	v_cndmask_b32_e32 v4, 0, v4, vcc_lo
	v_cmp_eq_u32_e32 vcc_lo, 0, v19
	s_delay_alu instid0(VALU_DEP_2) | instskip(NEXT) | instid1(VALU_DEP_1)
	v_cndmask_b32_e64 v21, v4, 0x70, vcc_lo
	v_dual_cndmask_b32 v24, v23, v2, vcc_lo :: v_dual_add_nc_u32 v4, 21, v21
	v_add_nc_u32_e32 v67, 20, v21
	s_delay_alu instid0(VALU_DEP_2) | instskip(NEXT) | instid1(VALU_DEP_2)
	v_lshlrev_b64_e64 v[4:5], v4, -1
	v_lshlrev_b64_e64 v[84:85], v67, 1
	s_delay_alu instid0(VALU_DEP_2) | instskip(NEXT) | instid1(VALU_DEP_3)
	v_bfi_b32 v103, v5, 0, 0
	v_bfi_b32 v102, v4, 0, v24
	v_lshrrev_b64 v[4:5], v21, v[24:25]
	s_delay_alu instid0(VALU_DEP_1) | instskip(NEXT) | instid1(VALU_DEP_3)
	v_mov_b64_e32 v[24:25], v[4:5]
	v_cmpx_eq_u64_e64 v[102:103], v[84:85]
; %bb.5474:                             ;   in Loop: Header=BB4_5054 Depth=3
	v_bfe_u32 v24, v4, 21, 1
	v_mov_b32_e32 v25, v3
	s_delay_alu instid0(VALU_DEP_1) | instskip(NEXT) | instid1(VALU_DEP_1)
	v_add_nc_u64_e32 v[24:25], v[4:5], v[24:25]
	v_add_nc_u64_e32 v[24:25], -1, v[24:25]
; %bb.5475:                             ;   in Loop: Header=BB4_5054 Depth=3
	s_or_b32 exec_lo, exec_lo, s74
	v_add_nc_u32_e32 v2, 0xffffff81, v19
	s_delay_alu instid0(VALU_DEP_2) | instskip(SKIP_2) | instid1(VALU_DEP_3)
	v_and_b32_e32 v19, 0x1fffff, v24
	v_lshrrev_b32_e32 v5, 23, v4
	s_mov_b32 s13, exec_lo
	v_cndmask_b32_e64 v2, v2, 0xffffff82, vcc_lo
	s_delay_alu instid0(VALU_DEP_1) | instskip(SKIP_1) | instid1(VALU_DEP_2)
	v_add3_u32 v21, v21, v2, v5
	v_add_nc_u32_e32 v2, v19, v4
                                        ; implicit-def: $vgpr4_vgpr5
                                        ; implicit-def: $vgpr19
	v_add_nc_u32_e32 v23, 14, v21
	s_delay_alu instid0(VALU_DEP_1)
	v_cmpx_ne_u32_e32 0, v23
	s_xor_b32 s13, exec_lo, s13
; %bb.5476:                             ;   in Loop: Header=BB4_5054 Depth=3
	s_delay_alu instid0(VALU_DEP_3) | instskip(SKIP_1) | instid1(VALU_DEP_1)
	v_cmp_lt_u64_e32 vcc_lo, 0xffffff, v[2:3]
	v_add_nc_u32_e32 v4, 15, v21
	v_cndmask_b32_e32 v19, v23, v4, vcc_lo
	v_cndmask_b32_e64 v4, 0, 1, vcc_lo
	s_delay_alu instid0(VALU_DEP_1)
	v_lshrrev_b64 v[4:5], v4, v[2:3]
; %bb.5477:                             ;   in Loop: Header=BB4_5054 Depth=3
	s_and_not1_saveexec_b32 s13, s13
; %bb.5478:                             ;   in Loop: Header=BB4_5054 Depth=3
	v_mov_b64_e32 v[4:5], v[2:3]
	v_bfe_u32 v19, v2, 23, 1
; %bb.5479:                             ;   in Loop: Header=BB4_5054 Depth=3
	s_or_b32 exec_lo, exec_lo, s13
	s_delay_alu instid0(VALU_DEP_2) | instskip(NEXT) | instid1(VALU_DEP_2)
	v_lshrrev_b64 v[4:5], 21, v[4:5]
	v_cmp_gt_i32_e32 vcc_lo, 32, v19
	v_cmp_ne_u32_e64 s13, 0, v19
                                        ; implicit-def: $vgpr67
	s_delay_alu instid0(VALU_DEP_3) | instskip(NEXT) | instid1(VALU_DEP_1)
	v_dual_cndmask_b32 v5, 0, v5 :: v_dual_cndmask_b32 v4, 3, v4
	v_cmp_ne_u64_e32 vcc_lo, 0, v[4:5]
	s_or_b32 s13, s13, vcc_lo
	s_delay_alu instid0(SALU_CYCLE_1) | instskip(NEXT) | instid1(SALU_CYCLE_1)
	s_and_saveexec_b32 s74, s13
	s_xor_b32 s13, exec_lo, s74
; %bb.5480:                             ;   in Loop: Header=BB4_5054 Depth=3
	v_min_i32_e32 v2, 31, v19
	s_delay_alu instid0(VALU_DEP_1) | instskip(NEXT) | instid1(VALU_DEP_1)
	v_lshl_or_b32 v2, v2, 2, v17
                                        ; implicit-def: $vgpr17
	v_and_or_b32 v67, v4, 3, v2
; %bb.5481:                             ;   in Loop: Header=BB4_5054 Depth=3
	s_and_not1_saveexec_b32 s13, s13
; %bb.5482:                             ;   in Loop: Header=BB4_5054 Depth=3
	v_mov_b32_e32 v67, v17
; %bb.5483:                             ;   in Loop: Header=BB4_5054 Depth=3
	s_or_b32 exec_lo, exec_lo, s13
.LBB4_5484:                             ;   in Loop: Header=BB4_5054 Depth=3
	s_delay_alu instid0(SALU_CYCLE_1)
	s_or_b32 exec_lo, exec_lo, s73
                                        ; implicit-def: $vgpr17
.LBB4_5485:                             ;   in Loop: Header=BB4_5054 Depth=3
	s_and_not1_saveexec_b32 s13, s72
; %bb.5486:                             ;   in Loop: Header=BB4_5054 Depth=3
	v_or_b32_e32 v67, 0x7b, v17
; %bb.5487:                             ;   in Loop: Header=BB4_5054 Depth=3
	s_or_b32 exec_lo, exec_lo, s13
                                        ; implicit-def: $vgpr4
.LBB4_5488:                             ;   in Loop: Header=BB4_5054 Depth=3
	s_and_not1_saveexec_b32 s13, s43
	s_cbranch_execz .LBB4_5494
; %bb.5489:                             ;   in Loop: Header=BB4_5054 Depth=3
	s_mov_b32 s43, exec_lo
                                        ; implicit-def: $vgpr67
	v_cmpx_ne_u64_e32 0, v[2:3]
	s_xor_b32 s43, exec_lo, s43
; %bb.5490:                             ;   in Loop: Header=BB4_5054 Depth=3
	v_lshrrev_b32_e32 v2, 24, v4
                                        ; implicit-def: $vgpr4
	s_delay_alu instid0(VALU_DEP_1)
	v_or_b32_e32 v67, 0x7f, v2
; %bb.5491:                             ;   in Loop: Header=BB4_5054 Depth=3
	s_and_not1_saveexec_b32 s43, s43
; %bb.5492:                             ;   in Loop: Header=BB4_5054 Depth=3
	v_cmp_lt_i32_e32 vcc_lo, -1, v4
	v_cndmask_b32_e64 v67, -4, 0x7c, vcc_lo
; %bb.5493:                             ;   in Loop: Header=BB4_5054 Depth=3
	s_or_b32 exec_lo, exec_lo, s43
.LBB4_5494:                             ;   in Loop: Header=BB4_5054 Depth=3
	s_delay_alu instid0(SALU_CYCLE_1)
	s_or_b32 exec_lo, exec_lo, s13
	v_dual_mov_b32 v2, 0 :: v_dual_mov_b32 v4, 0
	s_mov_b32 s13, exec_lo
	v_cmpx_ne_u16_e32 0, v88
	s_cbranch_execz .LBB4_5504
; %bb.5495:                             ;   in Loop: Header=BB4_5054 Depth=3
	v_bfrev_b32_e32 v4, 1
	s_mov_b32 s43, exec_lo
	v_cmpx_ne_u16_e32 0xff80, v88
	s_cbranch_execz .LBB4_5503
; %bb.5496:                             ;   in Loop: Header=BB4_5054 Depth=3
	v_and_b32_e32 v4, 0x7c, v88
	v_and_b32_e32 v5, 3, v88
	s_delay_alu instid0(VALU_DEP_2) | instskip(SKIP_1) | instid1(SALU_CYCLE_1)
	v_cmp_ne_u32_e32 vcc_lo, 0x7c, v4
                                        ; implicit-def: $vgpr4
	s_and_saveexec_b32 s72, vcc_lo
	s_xor_b32 s72, exec_lo, s72
	s_cbranch_execz .LBB4_5500
; %bb.5497:                             ;   in Loop: Header=BB4_5054 Depth=3
	v_and_b32_e32 v4, 0xff, v88
	s_mov_b32 s73, exec_lo
	s_delay_alu instid0(VALU_DEP_1) | instskip(NEXT) | instid1(VALU_DEP_1)
	v_bfe_u32 v4, v4, 2, 5
	v_cmpx_eq_u32_e32 0, v4
	s_cbranch_execz .LBB4_5499
; %bb.5498:                             ;   in Loop: Header=BB4_5054 Depth=3
	v_clz_i32_u32_e32 v4, v5
	s_delay_alu instid0(VALU_DEP_1) | instskip(SKIP_1) | instid1(VALU_DEP_2)
	v_min_u32_e32 v4, 32, v4
	v_mov_b32_e32 v89, v3
	v_subrev_nc_u32_e32 v5, 29, v4
	v_sub_nc_u32_e32 v4, 30, v4
	s_delay_alu instid0(VALU_DEP_2) | instskip(NEXT) | instid1(VALU_DEP_1)
	v_lshlrev_b64_e32 v[24:25], v5, v[88:89]
	v_and_b32_e32 v5, 3, v24
.LBB4_5499:                             ;   in Loop: Header=BB4_5054 Depth=3
	s_or_b32 exec_lo, exec_lo, s73
	v_bfe_i32 v17, v88, 0, 16
                                        ; implicit-def: $vgpr88
	s_delay_alu instid0(VALU_DEP_1) | instskip(NEXT) | instid1(VALU_DEP_1)
	v_and_b32_e32 v17, 0x80000000, v17
	v_lshl_add_u32 v4, v4, 23, v17
	s_delay_alu instid0(VALU_DEP_1) | instskip(NEXT) | instid1(VALU_DEP_1)
	v_lshl_or_b32 v4, v5, 21, v4
                                        ; implicit-def: $vgpr5
	v_add_nc_u32_e32 v4, 0x38000000, v4
.LBB4_5500:                             ;   in Loop: Header=BB4_5054 Depth=3
	s_and_not1_saveexec_b32 s72, s72
; %bb.5501:                             ;   in Loop: Header=BB4_5054 Depth=3
	v_cmp_lt_i16_e32 vcc_lo, -1, v88
	v_cndmask_b32_e32 v4, 0xff800000, v112, vcc_lo
	v_cmp_eq_u32_e32 vcc_lo, 0, v5
	s_delay_alu instid0(VALU_DEP_2)
	v_cndmask_b32_e32 v4, 0x7f800001, v4, vcc_lo
; %bb.5502:                             ;   in Loop: Header=BB4_5054 Depth=3
	s_or_b32 exec_lo, exec_lo, s72
.LBB4_5503:                             ;   in Loop: Header=BB4_5054 Depth=3
	s_delay_alu instid0(SALU_CYCLE_1)
	s_or_b32 exec_lo, exec_lo, s43
.LBB4_5504:                             ;   in Loop: Header=BB4_5054 Depth=3
	s_delay_alu instid0(SALU_CYCLE_1) | instskip(NEXT) | instid1(SALU_CYCLE_1)
	s_or_b32 exec_lo, exec_lo, s13
	s_mov_b32 s13, exec_lo
	s_wait_loadcnt_dscnt 0x505
	v_cmpx_ne_u16_e32 0, v78
	s_cbranch_execz .LBB4_5514
; %bb.5505:                             ;   in Loop: Header=BB4_5054 Depth=3
	v_bfrev_b32_e32 v2, 1
	s_mov_b32 s43, exec_lo
	v_cmpx_ne_u16_e32 0xff80, v78
	s_cbranch_execz .LBB4_5513
; %bb.5506:                             ;   in Loop: Header=BB4_5054 Depth=3
	v_and_b32_e32 v2, 0x7c, v78
	v_and_b32_e32 v5, 3, v78
	s_delay_alu instid0(VALU_DEP_2) | instskip(SKIP_1) | instid1(SALU_CYCLE_1)
	v_cmp_ne_u32_e32 vcc_lo, 0x7c, v2
                                        ; implicit-def: $vgpr2
	s_and_saveexec_b32 s72, vcc_lo
	s_xor_b32 s72, exec_lo, s72
	s_cbranch_execz .LBB4_5510
; %bb.5507:                             ;   in Loop: Header=BB4_5054 Depth=3
	v_and_b32_e32 v2, 0xff, v78
	s_mov_b32 s73, exec_lo
	s_delay_alu instid0(VALU_DEP_1) | instskip(NEXT) | instid1(VALU_DEP_1)
	v_bfe_u32 v2, v2, 2, 5
	v_cmpx_eq_u32_e32 0, v2
	s_cbranch_execz .LBB4_5509
; %bb.5508:                             ;   in Loop: Header=BB4_5054 Depth=3
	v_clz_i32_u32_e32 v2, v5
	s_delay_alu instid0(VALU_DEP_1) | instskip(SKIP_1) | instid1(VALU_DEP_2)
	v_min_u32_e32 v2, 32, v2
	v_mov_b32_e32 v79, v3
	v_subrev_nc_u32_e32 v5, 29, v2
	v_sub_nc_u32_e32 v2, 30, v2
	s_delay_alu instid0(VALU_DEP_2) | instskip(NEXT) | instid1(VALU_DEP_1)
	v_lshlrev_b64_e32 v[24:25], v5, v[78:79]
	v_and_b32_e32 v5, 3, v24
.LBB4_5509:                             ;   in Loop: Header=BB4_5054 Depth=3
	s_or_b32 exec_lo, exec_lo, s73
	v_bfe_i32 v17, v78, 0, 16
                                        ; implicit-def: $vgpr78
	s_delay_alu instid0(VALU_DEP_1) | instskip(NEXT) | instid1(VALU_DEP_1)
	v_and_b32_e32 v17, 0x80000000, v17
	v_lshl_add_u32 v2, v2, 23, v17
	s_delay_alu instid0(VALU_DEP_1) | instskip(NEXT) | instid1(VALU_DEP_1)
	v_lshl_or_b32 v2, v5, 21, v2
                                        ; implicit-def: $vgpr5
	v_add_nc_u32_e32 v2, 0x38000000, v2
.LBB4_5510:                             ;   in Loop: Header=BB4_5054 Depth=3
	s_and_not1_saveexec_b32 s72, s72
; %bb.5511:                             ;   in Loop: Header=BB4_5054 Depth=3
	v_cmp_lt_i16_e32 vcc_lo, -1, v78
	v_cndmask_b32_e32 v2, 0xff800000, v112, vcc_lo
	v_cmp_eq_u32_e32 vcc_lo, 0, v5
	s_delay_alu instid0(VALU_DEP_2)
	v_cndmask_b32_e32 v2, 0x7f800001, v2, vcc_lo
; %bb.5512:                             ;   in Loop: Header=BB4_5054 Depth=3
	s_or_b32 exec_lo, exec_lo, s72
.LBB4_5513:                             ;   in Loop: Header=BB4_5054 Depth=3
	s_delay_alu instid0(SALU_CYCLE_1)
	s_or_b32 exec_lo, exec_lo, s43
.LBB4_5514:                             ;   in Loop: Header=BB4_5054 Depth=3
	s_delay_alu instid0(SALU_CYCLE_1) | instskip(NEXT) | instid1(VALU_DEP_1)
	s_or_b32 exec_lo, exec_lo, s13
	v_dual_mul_f32 v4, v4, v2 :: v_dual_mov_b32 v25, v3
                                        ; implicit-def: $vgpr84
	s_mov_b32 s13, exec_lo
	s_delay_alu instid0(VALU_DEP_1) | instskip(SKIP_1) | instid1(VALU_DEP_2)
	v_and_b32_e32 v24, 0x7f800000, v4
	v_and_b32_e32 v2, 0x7fffff, v4
	v_cmpx_ne_u64_e32 0x7f800000, v[24:25]
	s_xor_b32 s43, exec_lo, s13
	s_cbranch_execz .LBB4_5532
; %bb.5515:                             ;   in Loop: Header=BB4_5054 Depth=3
	v_dual_mov_b32 v25, v3 :: v_dual_lshrrev_b32 v5, 24, v4
	v_and_b32_e32 v24, 0x7fffffff, v4
                                        ; implicit-def: $vgpr84
	s_mov_b32 s13, exec_lo
	s_delay_alu instid0(VALU_DEP_2) | instskip(NEXT) | instid1(VALU_DEP_2)
	v_and_b32_e32 v17, 0x80, v5
	v_cmpx_gt_u64_e32 0x47600001, v[24:25]
	s_xor_b32 s72, exec_lo, s13
	s_cbranch_execz .LBB4_5529
; %bb.5516:                             ;   in Loop: Header=BB4_5054 Depth=3
	v_mov_b32_e32 v84, 0
	s_mov_b32 s73, exec_lo
	v_cmpx_ne_u32_e32 0, v4
	s_cbranch_execz .LBB4_5528
; %bb.5517:                             ;   in Loop: Header=BB4_5054 Depth=3
	v_bfe_u32 v19, v4, 23, 8
	v_or_b32_e32 v23, 0x800000, v2
	s_mov_b32 s74, exec_lo
	s_delay_alu instid0(VALU_DEP_2) | instskip(SKIP_1) | instid1(VALU_DEP_2)
	v_dual_mov_b32 v25, v3 :: v_dual_sub_nc_u32 v4, 0x71, v19
	v_cmp_gt_u32_e32 vcc_lo, 0x72, v19
	v_cndmask_b32_e32 v4, 0, v4, vcc_lo
	v_cmp_eq_u32_e32 vcc_lo, 0, v19
	s_delay_alu instid0(VALU_DEP_2) | instskip(NEXT) | instid1(VALU_DEP_1)
	v_cndmask_b32_e64 v21, v4, 0x70, vcc_lo
	v_dual_cndmask_b32 v24, v23, v2, vcc_lo :: v_dual_add_nc_u32 v4, 21, v21
	v_add_nc_u32_e32 v84, 20, v21
	s_delay_alu instid0(VALU_DEP_2) | instskip(NEXT) | instid1(VALU_DEP_2)
	v_lshlrev_b64_e64 v[4:5], v4, -1
	v_lshlrev_b64_e64 v[84:85], v84, 1
	s_delay_alu instid0(VALU_DEP_2) | instskip(NEXT) | instid1(VALU_DEP_3)
	v_bfi_b32 v103, v5, 0, 0
	v_bfi_b32 v102, v4, 0, v24
	v_lshrrev_b64 v[4:5], v21, v[24:25]
	s_delay_alu instid0(VALU_DEP_1) | instskip(NEXT) | instid1(VALU_DEP_3)
	v_mov_b64_e32 v[24:25], v[4:5]
	v_cmpx_eq_u64_e64 v[102:103], v[84:85]
; %bb.5518:                             ;   in Loop: Header=BB4_5054 Depth=3
	v_bfe_u32 v24, v4, 21, 1
	v_mov_b32_e32 v25, v3
	s_delay_alu instid0(VALU_DEP_1) | instskip(NEXT) | instid1(VALU_DEP_1)
	v_add_nc_u64_e32 v[24:25], v[4:5], v[24:25]
	v_add_nc_u64_e32 v[24:25], -1, v[24:25]
; %bb.5519:                             ;   in Loop: Header=BB4_5054 Depth=3
	s_or_b32 exec_lo, exec_lo, s74
	v_add_nc_u32_e32 v2, 0xffffff81, v19
	s_delay_alu instid0(VALU_DEP_2) | instskip(SKIP_2) | instid1(VALU_DEP_3)
	v_and_b32_e32 v19, 0x1fffff, v24
	v_lshrrev_b32_e32 v5, 23, v4
	s_mov_b32 s13, exec_lo
	v_cndmask_b32_e64 v2, v2, 0xffffff82, vcc_lo
	s_delay_alu instid0(VALU_DEP_1) | instskip(SKIP_1) | instid1(VALU_DEP_2)
	v_add3_u32 v21, v21, v2, v5
	v_add_nc_u32_e32 v2, v19, v4
                                        ; implicit-def: $vgpr4_vgpr5
                                        ; implicit-def: $vgpr19
	v_add_nc_u32_e32 v23, 14, v21
	s_delay_alu instid0(VALU_DEP_1)
	v_cmpx_ne_u32_e32 0, v23
	s_xor_b32 s13, exec_lo, s13
; %bb.5520:                             ;   in Loop: Header=BB4_5054 Depth=3
	s_delay_alu instid0(VALU_DEP_3) | instskip(SKIP_1) | instid1(VALU_DEP_1)
	v_cmp_lt_u64_e32 vcc_lo, 0xffffff, v[2:3]
	v_add_nc_u32_e32 v4, 15, v21
	v_cndmask_b32_e32 v19, v23, v4, vcc_lo
	v_cndmask_b32_e64 v4, 0, 1, vcc_lo
	s_delay_alu instid0(VALU_DEP_1)
	v_lshrrev_b64 v[4:5], v4, v[2:3]
; %bb.5521:                             ;   in Loop: Header=BB4_5054 Depth=3
	s_and_not1_saveexec_b32 s13, s13
; %bb.5522:                             ;   in Loop: Header=BB4_5054 Depth=3
	v_mov_b64_e32 v[4:5], v[2:3]
	v_bfe_u32 v19, v2, 23, 1
; %bb.5523:                             ;   in Loop: Header=BB4_5054 Depth=3
	s_or_b32 exec_lo, exec_lo, s13
	s_delay_alu instid0(VALU_DEP_2) | instskip(NEXT) | instid1(VALU_DEP_2)
	v_lshrrev_b64 v[4:5], 21, v[4:5]
	v_cmp_gt_i32_e32 vcc_lo, 32, v19
	v_cmp_ne_u32_e64 s13, 0, v19
                                        ; implicit-def: $vgpr84
	s_delay_alu instid0(VALU_DEP_3) | instskip(NEXT) | instid1(VALU_DEP_1)
	v_dual_cndmask_b32 v5, 0, v5 :: v_dual_cndmask_b32 v4, 3, v4
	v_cmp_ne_u64_e32 vcc_lo, 0, v[4:5]
	s_or_b32 s13, s13, vcc_lo
	s_delay_alu instid0(SALU_CYCLE_1) | instskip(NEXT) | instid1(SALU_CYCLE_1)
	s_and_saveexec_b32 s74, s13
	s_xor_b32 s13, exec_lo, s74
; %bb.5524:                             ;   in Loop: Header=BB4_5054 Depth=3
	v_min_i32_e32 v2, 31, v19
	s_delay_alu instid0(VALU_DEP_1) | instskip(NEXT) | instid1(VALU_DEP_1)
	v_lshl_or_b32 v2, v2, 2, v17
                                        ; implicit-def: $vgpr17
	v_and_or_b32 v84, v4, 3, v2
; %bb.5525:                             ;   in Loop: Header=BB4_5054 Depth=3
	s_and_not1_saveexec_b32 s13, s13
; %bb.5526:                             ;   in Loop: Header=BB4_5054 Depth=3
	v_mov_b32_e32 v84, v17
; %bb.5527:                             ;   in Loop: Header=BB4_5054 Depth=3
	s_or_b32 exec_lo, exec_lo, s13
.LBB4_5528:                             ;   in Loop: Header=BB4_5054 Depth=3
	s_delay_alu instid0(SALU_CYCLE_1)
	s_or_b32 exec_lo, exec_lo, s73
                                        ; implicit-def: $vgpr17
.LBB4_5529:                             ;   in Loop: Header=BB4_5054 Depth=3
	s_and_not1_saveexec_b32 s13, s72
; %bb.5530:                             ;   in Loop: Header=BB4_5054 Depth=3
	v_or_b32_e32 v84, 0x7b, v17
; %bb.5531:                             ;   in Loop: Header=BB4_5054 Depth=3
	s_or_b32 exec_lo, exec_lo, s13
                                        ; implicit-def: $vgpr4
.LBB4_5532:                             ;   in Loop: Header=BB4_5054 Depth=3
	s_and_not1_saveexec_b32 s13, s43
	s_cbranch_execz .LBB4_5538
; %bb.5533:                             ;   in Loop: Header=BB4_5054 Depth=3
	s_mov_b32 s43, exec_lo
                                        ; implicit-def: $vgpr84
	v_cmpx_ne_u64_e32 0, v[2:3]
	s_xor_b32 s43, exec_lo, s43
; %bb.5534:                             ;   in Loop: Header=BB4_5054 Depth=3
	v_lshrrev_b32_e32 v2, 24, v4
                                        ; implicit-def: $vgpr4
	s_delay_alu instid0(VALU_DEP_1)
	v_or_b32_e32 v84, 0x7f, v2
; %bb.5535:                             ;   in Loop: Header=BB4_5054 Depth=3
	s_and_not1_saveexec_b32 s43, s43
; %bb.5536:                             ;   in Loop: Header=BB4_5054 Depth=3
	v_cmp_lt_i32_e32 vcc_lo, -1, v4
	v_cndmask_b32_e64 v84, -4, 0x7c, vcc_lo
; %bb.5537:                             ;   in Loop: Header=BB4_5054 Depth=3
	s_or_b32 exec_lo, exec_lo, s43
.LBB4_5538:                             ;   in Loop: Header=BB4_5054 Depth=3
	s_delay_alu instid0(SALU_CYCLE_1)
	s_or_b32 exec_lo, exec_lo, s13
	v_dual_mov_b32 v2, 0 :: v_dual_mov_b32 v4, 0
	s_mov_b32 s13, exec_lo
	v_cmpx_ne_u16_e32 0, v76
	s_cbranch_execz .LBB4_5548
; %bb.5539:                             ;   in Loop: Header=BB4_5054 Depth=3
	v_bfrev_b32_e32 v4, 1
	s_mov_b32 s43, exec_lo
	v_cmpx_ne_u16_e32 0xff80, v76
	s_cbranch_execz .LBB4_5547
; %bb.5540:                             ;   in Loop: Header=BB4_5054 Depth=3
	v_and_b32_e32 v4, 0x7c, v76
	v_and_b32_e32 v5, 3, v76
	s_delay_alu instid0(VALU_DEP_2) | instskip(SKIP_1) | instid1(SALU_CYCLE_1)
	v_cmp_ne_u32_e32 vcc_lo, 0x7c, v4
                                        ; implicit-def: $vgpr4
	s_and_saveexec_b32 s72, vcc_lo
	s_xor_b32 s72, exec_lo, s72
	s_cbranch_execz .LBB4_5544
; %bb.5541:                             ;   in Loop: Header=BB4_5054 Depth=3
	v_and_b32_e32 v4, 0xff, v76
	s_mov_b32 s73, exec_lo
	s_delay_alu instid0(VALU_DEP_1) | instskip(NEXT) | instid1(VALU_DEP_1)
	v_bfe_u32 v4, v4, 2, 5
	v_cmpx_eq_u32_e32 0, v4
	s_cbranch_execz .LBB4_5543
; %bb.5542:                             ;   in Loop: Header=BB4_5054 Depth=3
	v_clz_i32_u32_e32 v4, v5
	s_delay_alu instid0(VALU_DEP_1) | instskip(SKIP_1) | instid1(VALU_DEP_2)
	v_min_u32_e32 v4, 32, v4
	v_mov_b32_e32 v77, v3
	v_subrev_nc_u32_e32 v5, 29, v4
	v_sub_nc_u32_e32 v4, 30, v4
	s_delay_alu instid0(VALU_DEP_2) | instskip(NEXT) | instid1(VALU_DEP_1)
	v_lshlrev_b64_e32 v[24:25], v5, v[76:77]
	v_and_b32_e32 v5, 3, v24
.LBB4_5543:                             ;   in Loop: Header=BB4_5054 Depth=3
	s_or_b32 exec_lo, exec_lo, s73
	v_bfe_i32 v17, v76, 0, 16
                                        ; implicit-def: $vgpr76
	s_delay_alu instid0(VALU_DEP_1) | instskip(NEXT) | instid1(VALU_DEP_1)
	v_and_b32_e32 v17, 0x80000000, v17
	v_lshl_add_u32 v4, v4, 23, v17
	s_delay_alu instid0(VALU_DEP_1) | instskip(NEXT) | instid1(VALU_DEP_1)
	v_lshl_or_b32 v4, v5, 21, v4
                                        ; implicit-def: $vgpr5
	v_add_nc_u32_e32 v4, 0x38000000, v4
.LBB4_5544:                             ;   in Loop: Header=BB4_5054 Depth=3
	s_and_not1_saveexec_b32 s72, s72
; %bb.5545:                             ;   in Loop: Header=BB4_5054 Depth=3
	v_cmp_lt_i16_e32 vcc_lo, -1, v76
	v_cndmask_b32_e32 v4, 0xff800000, v112, vcc_lo
	v_cmp_eq_u32_e32 vcc_lo, 0, v5
	s_delay_alu instid0(VALU_DEP_2)
	v_cndmask_b32_e32 v4, 0x7f800001, v4, vcc_lo
; %bb.5546:                             ;   in Loop: Header=BB4_5054 Depth=3
	s_or_b32 exec_lo, exec_lo, s72
.LBB4_5547:                             ;   in Loop: Header=BB4_5054 Depth=3
	s_delay_alu instid0(SALU_CYCLE_1)
	s_or_b32 exec_lo, exec_lo, s43
.LBB4_5548:                             ;   in Loop: Header=BB4_5054 Depth=3
	s_delay_alu instid0(SALU_CYCLE_1) | instskip(NEXT) | instid1(SALU_CYCLE_1)
	s_or_b32 exec_lo, exec_lo, s13
	s_mov_b32 s13, exec_lo
	s_wait_loadcnt_dscnt 0x404
	v_cmpx_ne_u16_e32 0, v74
	s_cbranch_execz .LBB4_5558
; %bb.5549:                             ;   in Loop: Header=BB4_5054 Depth=3
	v_bfrev_b32_e32 v2, 1
	s_mov_b32 s43, exec_lo
	v_cmpx_ne_u16_e32 0xff80, v74
	s_cbranch_execz .LBB4_5557
; %bb.5550:                             ;   in Loop: Header=BB4_5054 Depth=3
	v_and_b32_e32 v2, 0x7c, v74
	v_and_b32_e32 v5, 3, v74
	s_delay_alu instid0(VALU_DEP_2) | instskip(SKIP_1) | instid1(SALU_CYCLE_1)
	v_cmp_ne_u32_e32 vcc_lo, 0x7c, v2
                                        ; implicit-def: $vgpr2
	s_and_saveexec_b32 s72, vcc_lo
	s_xor_b32 s72, exec_lo, s72
	s_cbranch_execz .LBB4_5554
; %bb.5551:                             ;   in Loop: Header=BB4_5054 Depth=3
	v_and_b32_e32 v2, 0xff, v74
	s_mov_b32 s73, exec_lo
	s_delay_alu instid0(VALU_DEP_1) | instskip(NEXT) | instid1(VALU_DEP_1)
	v_bfe_u32 v2, v2, 2, 5
	v_cmpx_eq_u32_e32 0, v2
	s_cbranch_execz .LBB4_5553
; %bb.5552:                             ;   in Loop: Header=BB4_5054 Depth=3
	v_clz_i32_u32_e32 v2, v5
	s_delay_alu instid0(VALU_DEP_1) | instskip(SKIP_1) | instid1(VALU_DEP_2)
	v_min_u32_e32 v2, 32, v2
	v_mov_b32_e32 v75, v3
	v_subrev_nc_u32_e32 v5, 29, v2
	v_sub_nc_u32_e32 v2, 30, v2
	s_delay_alu instid0(VALU_DEP_2) | instskip(NEXT) | instid1(VALU_DEP_1)
	v_lshlrev_b64_e32 v[24:25], v5, v[74:75]
	v_and_b32_e32 v5, 3, v24
.LBB4_5553:                             ;   in Loop: Header=BB4_5054 Depth=3
	s_or_b32 exec_lo, exec_lo, s73
	v_bfe_i32 v17, v74, 0, 16
                                        ; implicit-def: $vgpr74
	s_delay_alu instid0(VALU_DEP_1) | instskip(NEXT) | instid1(VALU_DEP_1)
	v_and_b32_e32 v17, 0x80000000, v17
	v_lshl_add_u32 v2, v2, 23, v17
	s_delay_alu instid0(VALU_DEP_1) | instskip(NEXT) | instid1(VALU_DEP_1)
	v_lshl_or_b32 v2, v5, 21, v2
                                        ; implicit-def: $vgpr5
	v_add_nc_u32_e32 v2, 0x38000000, v2
.LBB4_5554:                             ;   in Loop: Header=BB4_5054 Depth=3
	s_and_not1_saveexec_b32 s72, s72
; %bb.5555:                             ;   in Loop: Header=BB4_5054 Depth=3
	v_cmp_lt_i16_e32 vcc_lo, -1, v74
	v_cndmask_b32_e32 v2, 0xff800000, v112, vcc_lo
	v_cmp_eq_u32_e32 vcc_lo, 0, v5
	s_delay_alu instid0(VALU_DEP_2)
	v_cndmask_b32_e32 v2, 0x7f800001, v2, vcc_lo
; %bb.5556:                             ;   in Loop: Header=BB4_5054 Depth=3
	s_or_b32 exec_lo, exec_lo, s72
.LBB4_5557:                             ;   in Loop: Header=BB4_5054 Depth=3
	s_delay_alu instid0(SALU_CYCLE_1)
	s_or_b32 exec_lo, exec_lo, s43
.LBB4_5558:                             ;   in Loop: Header=BB4_5054 Depth=3
	s_delay_alu instid0(SALU_CYCLE_1) | instskip(NEXT) | instid1(VALU_DEP_1)
	s_or_b32 exec_lo, exec_lo, s13
	v_dual_mul_f32 v4, v4, v2 :: v_dual_mov_b32 v25, v3
                                        ; implicit-def: $vgpr85
	s_mov_b32 s13, exec_lo
	s_delay_alu instid0(VALU_DEP_1) | instskip(SKIP_1) | instid1(VALU_DEP_2)
	v_and_b32_e32 v24, 0x7f800000, v4
	v_and_b32_e32 v2, 0x7fffff, v4
	v_cmpx_ne_u64_e32 0x7f800000, v[24:25]
	s_xor_b32 s43, exec_lo, s13
	s_cbranch_execz .LBB4_5576
; %bb.5559:                             ;   in Loop: Header=BB4_5054 Depth=3
	v_dual_mov_b32 v25, v3 :: v_dual_lshrrev_b32 v5, 24, v4
	v_and_b32_e32 v24, 0x7fffffff, v4
                                        ; implicit-def: $vgpr85
	s_mov_b32 s13, exec_lo
	s_delay_alu instid0(VALU_DEP_2) | instskip(NEXT) | instid1(VALU_DEP_2)
	v_and_b32_e32 v17, 0x80, v5
	v_cmpx_gt_u64_e32 0x47600001, v[24:25]
	s_xor_b32 s72, exec_lo, s13
	s_cbranch_execz .LBB4_5573
; %bb.5560:                             ;   in Loop: Header=BB4_5054 Depth=3
	v_mov_b32_e32 v85, 0
	s_mov_b32 s73, exec_lo
	v_cmpx_ne_u32_e32 0, v4
	s_cbranch_execz .LBB4_5572
; %bb.5561:                             ;   in Loop: Header=BB4_5054 Depth=3
	v_bfe_u32 v19, v4, 23, 8
	v_or_b32_e32 v23, 0x800000, v2
	s_mov_b32 s74, exec_lo
	s_delay_alu instid0(VALU_DEP_2) | instskip(SKIP_1) | instid1(VALU_DEP_2)
	v_dual_mov_b32 v25, v3 :: v_dual_sub_nc_u32 v4, 0x71, v19
	v_cmp_gt_u32_e32 vcc_lo, 0x72, v19
	v_cndmask_b32_e32 v4, 0, v4, vcc_lo
	v_cmp_eq_u32_e32 vcc_lo, 0, v19
	s_delay_alu instid0(VALU_DEP_2) | instskip(NEXT) | instid1(VALU_DEP_1)
	v_cndmask_b32_e64 v21, v4, 0x70, vcc_lo
	v_dual_cndmask_b32 v24, v23, v2, vcc_lo :: v_dual_add_nc_u32 v4, 21, v21
	v_add_nc_u32_e32 v85, 20, v21
	s_delay_alu instid0(VALU_DEP_2) | instskip(NEXT) | instid1(VALU_DEP_2)
	v_lshlrev_b64_e64 v[4:5], v4, -1
	v_lshlrev_b64_e64 v[102:103], v85, 1
	s_delay_alu instid0(VALU_DEP_2) | instskip(NEXT) | instid1(VALU_DEP_3)
	v_bfi_b32 v117, v5, 0, 0
	v_bfi_b32 v116, v4, 0, v24
	v_lshrrev_b64 v[4:5], v21, v[24:25]
	s_delay_alu instid0(VALU_DEP_1) | instskip(NEXT) | instid1(VALU_DEP_3)
	v_mov_b64_e32 v[24:25], v[4:5]
	v_cmpx_eq_u64_e64 v[116:117], v[102:103]
; %bb.5562:                             ;   in Loop: Header=BB4_5054 Depth=3
	v_bfe_u32 v24, v4, 21, 1
	v_mov_b32_e32 v25, v3
	s_delay_alu instid0(VALU_DEP_1) | instskip(NEXT) | instid1(VALU_DEP_1)
	v_add_nc_u64_e32 v[24:25], v[4:5], v[24:25]
	v_add_nc_u64_e32 v[24:25], -1, v[24:25]
; %bb.5563:                             ;   in Loop: Header=BB4_5054 Depth=3
	s_or_b32 exec_lo, exec_lo, s74
	v_add_nc_u32_e32 v2, 0xffffff81, v19
	s_delay_alu instid0(VALU_DEP_2) | instskip(SKIP_2) | instid1(VALU_DEP_3)
	v_and_b32_e32 v19, 0x1fffff, v24
	v_lshrrev_b32_e32 v5, 23, v4
	s_mov_b32 s13, exec_lo
	v_cndmask_b32_e64 v2, v2, 0xffffff82, vcc_lo
	s_delay_alu instid0(VALU_DEP_1) | instskip(SKIP_1) | instid1(VALU_DEP_2)
	v_add3_u32 v21, v21, v2, v5
	v_add_nc_u32_e32 v2, v19, v4
                                        ; implicit-def: $vgpr4_vgpr5
                                        ; implicit-def: $vgpr19
	v_add_nc_u32_e32 v23, 14, v21
	s_delay_alu instid0(VALU_DEP_1)
	v_cmpx_ne_u32_e32 0, v23
	s_xor_b32 s13, exec_lo, s13
; %bb.5564:                             ;   in Loop: Header=BB4_5054 Depth=3
	s_delay_alu instid0(VALU_DEP_3) | instskip(SKIP_1) | instid1(VALU_DEP_1)
	v_cmp_lt_u64_e32 vcc_lo, 0xffffff, v[2:3]
	v_add_nc_u32_e32 v4, 15, v21
	v_cndmask_b32_e32 v19, v23, v4, vcc_lo
	v_cndmask_b32_e64 v4, 0, 1, vcc_lo
	s_delay_alu instid0(VALU_DEP_1)
	v_lshrrev_b64 v[4:5], v4, v[2:3]
; %bb.5565:                             ;   in Loop: Header=BB4_5054 Depth=3
	s_and_not1_saveexec_b32 s13, s13
; %bb.5566:                             ;   in Loop: Header=BB4_5054 Depth=3
	v_mov_b64_e32 v[4:5], v[2:3]
	v_bfe_u32 v19, v2, 23, 1
; %bb.5567:                             ;   in Loop: Header=BB4_5054 Depth=3
	s_or_b32 exec_lo, exec_lo, s13
	s_delay_alu instid0(VALU_DEP_2) | instskip(NEXT) | instid1(VALU_DEP_2)
	v_lshrrev_b64 v[4:5], 21, v[4:5]
	v_cmp_gt_i32_e32 vcc_lo, 32, v19
	v_cmp_ne_u32_e64 s13, 0, v19
                                        ; implicit-def: $vgpr85
	s_delay_alu instid0(VALU_DEP_3) | instskip(NEXT) | instid1(VALU_DEP_1)
	v_dual_cndmask_b32 v5, 0, v5 :: v_dual_cndmask_b32 v4, 3, v4
	v_cmp_ne_u64_e32 vcc_lo, 0, v[4:5]
	s_or_b32 s13, s13, vcc_lo
	s_delay_alu instid0(SALU_CYCLE_1) | instskip(NEXT) | instid1(SALU_CYCLE_1)
	s_and_saveexec_b32 s74, s13
	s_xor_b32 s13, exec_lo, s74
; %bb.5568:                             ;   in Loop: Header=BB4_5054 Depth=3
	v_min_i32_e32 v2, 31, v19
	s_delay_alu instid0(VALU_DEP_1) | instskip(NEXT) | instid1(VALU_DEP_1)
	v_lshl_or_b32 v2, v2, 2, v17
                                        ; implicit-def: $vgpr17
	v_and_or_b32 v85, v4, 3, v2
; %bb.5569:                             ;   in Loop: Header=BB4_5054 Depth=3
	s_and_not1_saveexec_b32 s13, s13
; %bb.5570:                             ;   in Loop: Header=BB4_5054 Depth=3
	v_mov_b32_e32 v85, v17
; %bb.5571:                             ;   in Loop: Header=BB4_5054 Depth=3
	s_or_b32 exec_lo, exec_lo, s13
.LBB4_5572:                             ;   in Loop: Header=BB4_5054 Depth=3
	s_delay_alu instid0(SALU_CYCLE_1)
	s_or_b32 exec_lo, exec_lo, s73
                                        ; implicit-def: $vgpr17
.LBB4_5573:                             ;   in Loop: Header=BB4_5054 Depth=3
	s_and_not1_saveexec_b32 s13, s72
; %bb.5574:                             ;   in Loop: Header=BB4_5054 Depth=3
	v_or_b32_e32 v85, 0x7b, v17
; %bb.5575:                             ;   in Loop: Header=BB4_5054 Depth=3
	s_or_b32 exec_lo, exec_lo, s13
                                        ; implicit-def: $vgpr4
.LBB4_5576:                             ;   in Loop: Header=BB4_5054 Depth=3
	s_and_not1_saveexec_b32 s13, s43
	s_cbranch_execz .LBB4_5582
; %bb.5577:                             ;   in Loop: Header=BB4_5054 Depth=3
	s_mov_b32 s43, exec_lo
                                        ; implicit-def: $vgpr85
	v_cmpx_ne_u64_e32 0, v[2:3]
	s_xor_b32 s43, exec_lo, s43
; %bb.5578:                             ;   in Loop: Header=BB4_5054 Depth=3
	v_lshrrev_b32_e32 v2, 24, v4
                                        ; implicit-def: $vgpr4
	s_delay_alu instid0(VALU_DEP_1)
	v_or_b32_e32 v85, 0x7f, v2
; %bb.5579:                             ;   in Loop: Header=BB4_5054 Depth=3
	s_and_not1_saveexec_b32 s43, s43
; %bb.5580:                             ;   in Loop: Header=BB4_5054 Depth=3
	v_cmp_lt_i32_e32 vcc_lo, -1, v4
	v_cndmask_b32_e64 v85, -4, 0x7c, vcc_lo
; %bb.5581:                             ;   in Loop: Header=BB4_5054 Depth=3
	s_or_b32 exec_lo, exec_lo, s43
.LBB4_5582:                             ;   in Loop: Header=BB4_5054 Depth=3
	s_delay_alu instid0(SALU_CYCLE_1)
	s_or_b32 exec_lo, exec_lo, s13
	v_dual_mov_b32 v2, 0 :: v_dual_mov_b32 v4, 0
	s_mov_b32 s13, exec_lo
	v_cmpx_ne_u16_e32 0, v72
	s_cbranch_execz .LBB4_5592
; %bb.5583:                             ;   in Loop: Header=BB4_5054 Depth=3
	v_bfrev_b32_e32 v4, 1
	s_mov_b32 s43, exec_lo
	v_cmpx_ne_u16_e32 0xff80, v72
	s_cbranch_execz .LBB4_5591
; %bb.5584:                             ;   in Loop: Header=BB4_5054 Depth=3
	v_and_b32_e32 v4, 0x7c, v72
	v_and_b32_e32 v5, 3, v72
	s_delay_alu instid0(VALU_DEP_2) | instskip(SKIP_1) | instid1(SALU_CYCLE_1)
	v_cmp_ne_u32_e32 vcc_lo, 0x7c, v4
                                        ; implicit-def: $vgpr4
	s_and_saveexec_b32 s72, vcc_lo
	s_xor_b32 s72, exec_lo, s72
	s_cbranch_execz .LBB4_5588
; %bb.5585:                             ;   in Loop: Header=BB4_5054 Depth=3
	v_and_b32_e32 v4, 0xff, v72
	s_mov_b32 s73, exec_lo
	s_delay_alu instid0(VALU_DEP_1) | instskip(NEXT) | instid1(VALU_DEP_1)
	v_bfe_u32 v4, v4, 2, 5
	v_cmpx_eq_u32_e32 0, v4
	s_cbranch_execz .LBB4_5587
; %bb.5586:                             ;   in Loop: Header=BB4_5054 Depth=3
	v_clz_i32_u32_e32 v4, v5
	s_delay_alu instid0(VALU_DEP_1) | instskip(SKIP_1) | instid1(VALU_DEP_2)
	v_min_u32_e32 v4, 32, v4
	v_mov_b32_e32 v73, v3
	v_subrev_nc_u32_e32 v5, 29, v4
	v_sub_nc_u32_e32 v4, 30, v4
	s_delay_alu instid0(VALU_DEP_2) | instskip(NEXT) | instid1(VALU_DEP_1)
	v_lshlrev_b64_e32 v[24:25], v5, v[72:73]
	v_and_b32_e32 v5, 3, v24
.LBB4_5587:                             ;   in Loop: Header=BB4_5054 Depth=3
	s_or_b32 exec_lo, exec_lo, s73
	v_bfe_i32 v17, v72, 0, 16
                                        ; implicit-def: $vgpr72
	s_delay_alu instid0(VALU_DEP_1) | instskip(NEXT) | instid1(VALU_DEP_1)
	v_and_b32_e32 v17, 0x80000000, v17
	v_lshl_add_u32 v4, v4, 23, v17
	s_delay_alu instid0(VALU_DEP_1) | instskip(NEXT) | instid1(VALU_DEP_1)
	v_lshl_or_b32 v4, v5, 21, v4
                                        ; implicit-def: $vgpr5
	v_add_nc_u32_e32 v4, 0x38000000, v4
.LBB4_5588:                             ;   in Loop: Header=BB4_5054 Depth=3
	s_and_not1_saveexec_b32 s72, s72
; %bb.5589:                             ;   in Loop: Header=BB4_5054 Depth=3
	v_cmp_lt_i16_e32 vcc_lo, -1, v72
	v_cndmask_b32_e32 v4, 0xff800000, v112, vcc_lo
	v_cmp_eq_u32_e32 vcc_lo, 0, v5
	s_delay_alu instid0(VALU_DEP_2)
	v_cndmask_b32_e32 v4, 0x7f800001, v4, vcc_lo
; %bb.5590:                             ;   in Loop: Header=BB4_5054 Depth=3
	s_or_b32 exec_lo, exec_lo, s72
.LBB4_5591:                             ;   in Loop: Header=BB4_5054 Depth=3
	s_delay_alu instid0(SALU_CYCLE_1)
	s_or_b32 exec_lo, exec_lo, s43
.LBB4_5592:                             ;   in Loop: Header=BB4_5054 Depth=3
	s_delay_alu instid0(SALU_CYCLE_1) | instskip(NEXT) | instid1(SALU_CYCLE_1)
	s_or_b32 exec_lo, exec_lo, s13
	s_mov_b32 s13, exec_lo
	s_wait_loadcnt_dscnt 0x303
	v_cmpx_ne_u16_e32 0, v62
	s_cbranch_execz .LBB4_5602
; %bb.5593:                             ;   in Loop: Header=BB4_5054 Depth=3
	v_bfrev_b32_e32 v2, 1
	s_mov_b32 s43, exec_lo
	v_cmpx_ne_u16_e32 0xff80, v62
	s_cbranch_execz .LBB4_5601
; %bb.5594:                             ;   in Loop: Header=BB4_5054 Depth=3
	v_and_b32_e32 v2, 0x7c, v62
	v_and_b32_e32 v5, 3, v62
	s_delay_alu instid0(VALU_DEP_2) | instskip(SKIP_1) | instid1(SALU_CYCLE_1)
	v_cmp_ne_u32_e32 vcc_lo, 0x7c, v2
                                        ; implicit-def: $vgpr2
	s_and_saveexec_b32 s72, vcc_lo
	s_xor_b32 s72, exec_lo, s72
	s_cbranch_execz .LBB4_5598
; %bb.5595:                             ;   in Loop: Header=BB4_5054 Depth=3
	v_and_b32_e32 v2, 0xff, v62
	s_mov_b32 s73, exec_lo
	s_delay_alu instid0(VALU_DEP_1) | instskip(NEXT) | instid1(VALU_DEP_1)
	v_bfe_u32 v2, v2, 2, 5
	v_cmpx_eq_u32_e32 0, v2
	s_cbranch_execz .LBB4_5597
; %bb.5596:                             ;   in Loop: Header=BB4_5054 Depth=3
	v_clz_i32_u32_e32 v2, v5
	s_delay_alu instid0(VALU_DEP_1) | instskip(SKIP_1) | instid1(VALU_DEP_2)
	v_min_u32_e32 v2, 32, v2
	v_mov_b32_e32 v63, v3
	v_subrev_nc_u32_e32 v5, 29, v2
	v_sub_nc_u32_e32 v2, 30, v2
	s_delay_alu instid0(VALU_DEP_2) | instskip(NEXT) | instid1(VALU_DEP_1)
	v_lshlrev_b64_e32 v[24:25], v5, v[62:63]
	v_and_b32_e32 v5, 3, v24
.LBB4_5597:                             ;   in Loop: Header=BB4_5054 Depth=3
	s_or_b32 exec_lo, exec_lo, s73
	v_bfe_i32 v17, v62, 0, 16
                                        ; implicit-def: $vgpr62
	s_delay_alu instid0(VALU_DEP_1) | instskip(NEXT) | instid1(VALU_DEP_1)
	v_and_b32_e32 v17, 0x80000000, v17
	v_lshl_add_u32 v2, v2, 23, v17
	s_delay_alu instid0(VALU_DEP_1) | instskip(NEXT) | instid1(VALU_DEP_1)
	v_lshl_or_b32 v2, v5, 21, v2
                                        ; implicit-def: $vgpr5
	v_add_nc_u32_e32 v2, 0x38000000, v2
.LBB4_5598:                             ;   in Loop: Header=BB4_5054 Depth=3
	s_and_not1_saveexec_b32 s72, s72
; %bb.5599:                             ;   in Loop: Header=BB4_5054 Depth=3
	v_cmp_lt_i16_e32 vcc_lo, -1, v62
	v_cndmask_b32_e32 v2, 0xff800000, v112, vcc_lo
	v_cmp_eq_u32_e32 vcc_lo, 0, v5
	s_delay_alu instid0(VALU_DEP_2)
	v_cndmask_b32_e32 v2, 0x7f800001, v2, vcc_lo
; %bb.5600:                             ;   in Loop: Header=BB4_5054 Depth=3
	s_or_b32 exec_lo, exec_lo, s72
.LBB4_5601:                             ;   in Loop: Header=BB4_5054 Depth=3
	s_delay_alu instid0(SALU_CYCLE_1)
	s_or_b32 exec_lo, exec_lo, s43
.LBB4_5602:                             ;   in Loop: Header=BB4_5054 Depth=3
	s_delay_alu instid0(SALU_CYCLE_1) | instskip(NEXT) | instid1(VALU_DEP_1)
	s_or_b32 exec_lo, exec_lo, s13
	v_dual_mul_f32 v4, v4, v2 :: v_dual_mov_b32 v25, v3
                                        ; implicit-def: $vgpr102
	s_mov_b32 s13, exec_lo
	s_delay_alu instid0(VALU_DEP_1) | instskip(SKIP_1) | instid1(VALU_DEP_2)
	v_and_b32_e32 v24, 0x7f800000, v4
	v_and_b32_e32 v2, 0x7fffff, v4
	v_cmpx_ne_u64_e32 0x7f800000, v[24:25]
	s_xor_b32 s43, exec_lo, s13
	s_cbranch_execz .LBB4_5620
; %bb.5603:                             ;   in Loop: Header=BB4_5054 Depth=3
	v_dual_mov_b32 v25, v3 :: v_dual_lshrrev_b32 v5, 24, v4
	v_and_b32_e32 v24, 0x7fffffff, v4
                                        ; implicit-def: $vgpr102
	s_mov_b32 s13, exec_lo
	s_delay_alu instid0(VALU_DEP_2) | instskip(NEXT) | instid1(VALU_DEP_2)
	v_and_b32_e32 v17, 0x80, v5
	v_cmpx_gt_u64_e32 0x47600001, v[24:25]
	s_xor_b32 s72, exec_lo, s13
	s_cbranch_execz .LBB4_5617
; %bb.5604:                             ;   in Loop: Header=BB4_5054 Depth=3
	v_mov_b32_e32 v102, 0
	s_mov_b32 s73, exec_lo
	v_cmpx_ne_u32_e32 0, v4
	s_cbranch_execz .LBB4_5616
; %bb.5605:                             ;   in Loop: Header=BB4_5054 Depth=3
	v_bfe_u32 v19, v4, 23, 8
	v_or_b32_e32 v23, 0x800000, v2
	s_mov_b32 s74, exec_lo
	s_delay_alu instid0(VALU_DEP_2) | instskip(SKIP_1) | instid1(VALU_DEP_2)
	v_dual_mov_b32 v25, v3 :: v_dual_sub_nc_u32 v4, 0x71, v19
	v_cmp_gt_u32_e32 vcc_lo, 0x72, v19
	v_cndmask_b32_e32 v4, 0, v4, vcc_lo
	v_cmp_eq_u32_e32 vcc_lo, 0, v19
	s_delay_alu instid0(VALU_DEP_2) | instskip(NEXT) | instid1(VALU_DEP_1)
	v_cndmask_b32_e64 v21, v4, 0x70, vcc_lo
	v_dual_cndmask_b32 v24, v23, v2, vcc_lo :: v_dual_add_nc_u32 v4, 21, v21
	v_add_nc_u32_e32 v102, 20, v21
	s_delay_alu instid0(VALU_DEP_2) | instskip(NEXT) | instid1(VALU_DEP_2)
	v_lshlrev_b64_e64 v[4:5], v4, -1
	v_lshlrev_b64_e64 v[102:103], v102, 1
	s_delay_alu instid0(VALU_DEP_2) | instskip(NEXT) | instid1(VALU_DEP_3)
	v_bfi_b32 v117, v5, 0, 0
	v_bfi_b32 v116, v4, 0, v24
	v_lshrrev_b64 v[4:5], v21, v[24:25]
	s_delay_alu instid0(VALU_DEP_1) | instskip(NEXT) | instid1(VALU_DEP_3)
	v_mov_b64_e32 v[24:25], v[4:5]
	v_cmpx_eq_u64_e64 v[116:117], v[102:103]
; %bb.5606:                             ;   in Loop: Header=BB4_5054 Depth=3
	v_bfe_u32 v24, v4, 21, 1
	v_mov_b32_e32 v25, v3
	s_delay_alu instid0(VALU_DEP_1) | instskip(NEXT) | instid1(VALU_DEP_1)
	v_add_nc_u64_e32 v[24:25], v[4:5], v[24:25]
	v_add_nc_u64_e32 v[24:25], -1, v[24:25]
; %bb.5607:                             ;   in Loop: Header=BB4_5054 Depth=3
	s_or_b32 exec_lo, exec_lo, s74
	v_add_nc_u32_e32 v2, 0xffffff81, v19
	s_delay_alu instid0(VALU_DEP_2) | instskip(SKIP_2) | instid1(VALU_DEP_3)
	v_and_b32_e32 v19, 0x1fffff, v24
	v_lshrrev_b32_e32 v5, 23, v4
	s_mov_b32 s13, exec_lo
	v_cndmask_b32_e64 v2, v2, 0xffffff82, vcc_lo
	s_delay_alu instid0(VALU_DEP_1) | instskip(SKIP_1) | instid1(VALU_DEP_2)
	v_add3_u32 v21, v21, v2, v5
	v_add_nc_u32_e32 v2, v19, v4
                                        ; implicit-def: $vgpr4_vgpr5
                                        ; implicit-def: $vgpr19
	v_add_nc_u32_e32 v23, 14, v21
	s_delay_alu instid0(VALU_DEP_1)
	v_cmpx_ne_u32_e32 0, v23
	s_xor_b32 s13, exec_lo, s13
; %bb.5608:                             ;   in Loop: Header=BB4_5054 Depth=3
	s_delay_alu instid0(VALU_DEP_3) | instskip(SKIP_1) | instid1(VALU_DEP_1)
	v_cmp_lt_u64_e32 vcc_lo, 0xffffff, v[2:3]
	v_add_nc_u32_e32 v4, 15, v21
	v_cndmask_b32_e32 v19, v23, v4, vcc_lo
	v_cndmask_b32_e64 v4, 0, 1, vcc_lo
	s_delay_alu instid0(VALU_DEP_1)
	v_lshrrev_b64 v[4:5], v4, v[2:3]
; %bb.5609:                             ;   in Loop: Header=BB4_5054 Depth=3
	s_and_not1_saveexec_b32 s13, s13
; %bb.5610:                             ;   in Loop: Header=BB4_5054 Depth=3
	v_mov_b64_e32 v[4:5], v[2:3]
	v_bfe_u32 v19, v2, 23, 1
; %bb.5611:                             ;   in Loop: Header=BB4_5054 Depth=3
	s_or_b32 exec_lo, exec_lo, s13
	s_delay_alu instid0(VALU_DEP_2) | instskip(NEXT) | instid1(VALU_DEP_2)
	v_lshrrev_b64 v[4:5], 21, v[4:5]
	v_cmp_gt_i32_e32 vcc_lo, 32, v19
	v_cmp_ne_u32_e64 s13, 0, v19
                                        ; implicit-def: $vgpr102
	s_delay_alu instid0(VALU_DEP_3) | instskip(NEXT) | instid1(VALU_DEP_1)
	v_dual_cndmask_b32 v5, 0, v5 :: v_dual_cndmask_b32 v4, 3, v4
	v_cmp_ne_u64_e32 vcc_lo, 0, v[4:5]
	s_or_b32 s13, s13, vcc_lo
	s_delay_alu instid0(SALU_CYCLE_1) | instskip(NEXT) | instid1(SALU_CYCLE_1)
	s_and_saveexec_b32 s74, s13
	s_xor_b32 s13, exec_lo, s74
; %bb.5612:                             ;   in Loop: Header=BB4_5054 Depth=3
	v_min_i32_e32 v2, 31, v19
	s_delay_alu instid0(VALU_DEP_1) | instskip(NEXT) | instid1(VALU_DEP_1)
	v_lshl_or_b32 v2, v2, 2, v17
                                        ; implicit-def: $vgpr17
	v_and_or_b32 v102, v4, 3, v2
; %bb.5613:                             ;   in Loop: Header=BB4_5054 Depth=3
	s_and_not1_saveexec_b32 s13, s13
; %bb.5614:                             ;   in Loop: Header=BB4_5054 Depth=3
	v_mov_b32_e32 v102, v17
; %bb.5615:                             ;   in Loop: Header=BB4_5054 Depth=3
	s_or_b32 exec_lo, exec_lo, s13
.LBB4_5616:                             ;   in Loop: Header=BB4_5054 Depth=3
	s_delay_alu instid0(SALU_CYCLE_1)
	s_or_b32 exec_lo, exec_lo, s73
                                        ; implicit-def: $vgpr17
.LBB4_5617:                             ;   in Loop: Header=BB4_5054 Depth=3
	s_and_not1_saveexec_b32 s13, s72
; %bb.5618:                             ;   in Loop: Header=BB4_5054 Depth=3
	v_or_b32_e32 v102, 0x7b, v17
; %bb.5619:                             ;   in Loop: Header=BB4_5054 Depth=3
	s_or_b32 exec_lo, exec_lo, s13
                                        ; implicit-def: $vgpr4
.LBB4_5620:                             ;   in Loop: Header=BB4_5054 Depth=3
	s_and_not1_saveexec_b32 s13, s43
	s_cbranch_execz .LBB4_5626
; %bb.5621:                             ;   in Loop: Header=BB4_5054 Depth=3
	s_mov_b32 s43, exec_lo
                                        ; implicit-def: $vgpr102
	v_cmpx_ne_u64_e32 0, v[2:3]
	s_xor_b32 s43, exec_lo, s43
; %bb.5622:                             ;   in Loop: Header=BB4_5054 Depth=3
	v_lshrrev_b32_e32 v2, 24, v4
                                        ; implicit-def: $vgpr4
	s_delay_alu instid0(VALU_DEP_1)
	v_or_b32_e32 v102, 0x7f, v2
; %bb.5623:                             ;   in Loop: Header=BB4_5054 Depth=3
	s_and_not1_saveexec_b32 s43, s43
; %bb.5624:                             ;   in Loop: Header=BB4_5054 Depth=3
	v_cmp_lt_i32_e32 vcc_lo, -1, v4
	v_cndmask_b32_e64 v102, -4, 0x7c, vcc_lo
; %bb.5625:                             ;   in Loop: Header=BB4_5054 Depth=3
	s_or_b32 exec_lo, exec_lo, s43
.LBB4_5626:                             ;   in Loop: Header=BB4_5054 Depth=3
	s_delay_alu instid0(SALU_CYCLE_1)
	s_or_b32 exec_lo, exec_lo, s13
	v_dual_mov_b32 v2, 0 :: v_dual_mov_b32 v4, 0
	s_mov_b32 s13, exec_lo
	v_cmpx_ne_u16_e32 0, v60
	s_cbranch_execz .LBB4_5636
; %bb.5627:                             ;   in Loop: Header=BB4_5054 Depth=3
	v_bfrev_b32_e32 v4, 1
	s_mov_b32 s43, exec_lo
	v_cmpx_ne_u16_e32 0xff80, v60
	s_cbranch_execz .LBB4_5635
; %bb.5628:                             ;   in Loop: Header=BB4_5054 Depth=3
	v_and_b32_e32 v4, 0x7c, v60
	v_and_b32_e32 v5, 3, v60
	s_delay_alu instid0(VALU_DEP_2) | instskip(SKIP_1) | instid1(SALU_CYCLE_1)
	v_cmp_ne_u32_e32 vcc_lo, 0x7c, v4
                                        ; implicit-def: $vgpr4
	s_and_saveexec_b32 s72, vcc_lo
	s_xor_b32 s72, exec_lo, s72
	s_cbranch_execz .LBB4_5632
; %bb.5629:                             ;   in Loop: Header=BB4_5054 Depth=3
	v_and_b32_e32 v4, 0xff, v60
	s_mov_b32 s73, exec_lo
	s_delay_alu instid0(VALU_DEP_1) | instskip(NEXT) | instid1(VALU_DEP_1)
	v_bfe_u32 v4, v4, 2, 5
	v_cmpx_eq_u32_e32 0, v4
	s_cbranch_execz .LBB4_5631
; %bb.5630:                             ;   in Loop: Header=BB4_5054 Depth=3
	v_clz_i32_u32_e32 v4, v5
	s_delay_alu instid0(VALU_DEP_1) | instskip(SKIP_1) | instid1(VALU_DEP_2)
	v_min_u32_e32 v4, 32, v4
	v_mov_b32_e32 v61, v3
	v_subrev_nc_u32_e32 v5, 29, v4
	v_sub_nc_u32_e32 v4, 30, v4
	s_delay_alu instid0(VALU_DEP_2) | instskip(NEXT) | instid1(VALU_DEP_1)
	v_lshlrev_b64_e32 v[24:25], v5, v[60:61]
	v_and_b32_e32 v5, 3, v24
.LBB4_5631:                             ;   in Loop: Header=BB4_5054 Depth=3
	s_or_b32 exec_lo, exec_lo, s73
	v_bfe_i32 v17, v60, 0, 16
                                        ; implicit-def: $vgpr60
	s_delay_alu instid0(VALU_DEP_1) | instskip(NEXT) | instid1(VALU_DEP_1)
	v_and_b32_e32 v17, 0x80000000, v17
	v_lshl_add_u32 v4, v4, 23, v17
	s_delay_alu instid0(VALU_DEP_1) | instskip(NEXT) | instid1(VALU_DEP_1)
	v_lshl_or_b32 v4, v5, 21, v4
                                        ; implicit-def: $vgpr5
	v_add_nc_u32_e32 v4, 0x38000000, v4
.LBB4_5632:                             ;   in Loop: Header=BB4_5054 Depth=3
	s_and_not1_saveexec_b32 s72, s72
; %bb.5633:                             ;   in Loop: Header=BB4_5054 Depth=3
	v_cmp_lt_i16_e32 vcc_lo, -1, v60
	v_cndmask_b32_e32 v4, 0xff800000, v112, vcc_lo
	v_cmp_eq_u32_e32 vcc_lo, 0, v5
	s_delay_alu instid0(VALU_DEP_2)
	v_cndmask_b32_e32 v4, 0x7f800001, v4, vcc_lo
; %bb.5634:                             ;   in Loop: Header=BB4_5054 Depth=3
	s_or_b32 exec_lo, exec_lo, s72
.LBB4_5635:                             ;   in Loop: Header=BB4_5054 Depth=3
	s_delay_alu instid0(SALU_CYCLE_1)
	s_or_b32 exec_lo, exec_lo, s43
.LBB4_5636:                             ;   in Loop: Header=BB4_5054 Depth=3
	s_delay_alu instid0(SALU_CYCLE_1) | instskip(NEXT) | instid1(SALU_CYCLE_1)
	s_or_b32 exec_lo, exec_lo, s13
	s_mov_b32 s13, exec_lo
	s_wait_loadcnt_dscnt 0x202
	v_cmpx_ne_u16_e32 0, v58
	s_cbranch_execz .LBB4_5646
; %bb.5637:                             ;   in Loop: Header=BB4_5054 Depth=3
	v_bfrev_b32_e32 v2, 1
	s_mov_b32 s43, exec_lo
	v_cmpx_ne_u16_e32 0xff80, v58
	s_cbranch_execz .LBB4_5645
; %bb.5638:                             ;   in Loop: Header=BB4_5054 Depth=3
	v_and_b32_e32 v2, 0x7c, v58
	v_and_b32_e32 v5, 3, v58
	s_delay_alu instid0(VALU_DEP_2) | instskip(SKIP_1) | instid1(SALU_CYCLE_1)
	v_cmp_ne_u32_e32 vcc_lo, 0x7c, v2
                                        ; implicit-def: $vgpr2
	s_and_saveexec_b32 s72, vcc_lo
	s_xor_b32 s72, exec_lo, s72
	s_cbranch_execz .LBB4_5642
; %bb.5639:                             ;   in Loop: Header=BB4_5054 Depth=3
	v_and_b32_e32 v2, 0xff, v58
	s_mov_b32 s73, exec_lo
	s_delay_alu instid0(VALU_DEP_1) | instskip(NEXT) | instid1(VALU_DEP_1)
	v_bfe_u32 v2, v2, 2, 5
	v_cmpx_eq_u32_e32 0, v2
	s_cbranch_execz .LBB4_5641
; %bb.5640:                             ;   in Loop: Header=BB4_5054 Depth=3
	v_clz_i32_u32_e32 v2, v5
	s_delay_alu instid0(VALU_DEP_1) | instskip(SKIP_1) | instid1(VALU_DEP_2)
	v_min_u32_e32 v2, 32, v2
	v_mov_b32_e32 v59, v3
	v_subrev_nc_u32_e32 v5, 29, v2
	v_sub_nc_u32_e32 v2, 30, v2
	s_delay_alu instid0(VALU_DEP_2) | instskip(NEXT) | instid1(VALU_DEP_1)
	v_lshlrev_b64_e32 v[24:25], v5, v[58:59]
	v_and_b32_e32 v5, 3, v24
.LBB4_5641:                             ;   in Loop: Header=BB4_5054 Depth=3
	s_or_b32 exec_lo, exec_lo, s73
	v_bfe_i32 v17, v58, 0, 16
                                        ; implicit-def: $vgpr58
	s_delay_alu instid0(VALU_DEP_1) | instskip(NEXT) | instid1(VALU_DEP_1)
	v_and_b32_e32 v17, 0x80000000, v17
	v_lshl_add_u32 v2, v2, 23, v17
	s_delay_alu instid0(VALU_DEP_1) | instskip(NEXT) | instid1(VALU_DEP_1)
	v_lshl_or_b32 v2, v5, 21, v2
                                        ; implicit-def: $vgpr5
	v_add_nc_u32_e32 v2, 0x38000000, v2
.LBB4_5642:                             ;   in Loop: Header=BB4_5054 Depth=3
	s_and_not1_saveexec_b32 s72, s72
; %bb.5643:                             ;   in Loop: Header=BB4_5054 Depth=3
	v_cmp_lt_i16_e32 vcc_lo, -1, v58
	v_cndmask_b32_e32 v2, 0xff800000, v112, vcc_lo
	v_cmp_eq_u32_e32 vcc_lo, 0, v5
	s_delay_alu instid0(VALU_DEP_2)
	v_cndmask_b32_e32 v2, 0x7f800001, v2, vcc_lo
; %bb.5644:                             ;   in Loop: Header=BB4_5054 Depth=3
	s_or_b32 exec_lo, exec_lo, s72
.LBB4_5645:                             ;   in Loop: Header=BB4_5054 Depth=3
	s_delay_alu instid0(SALU_CYCLE_1)
	s_or_b32 exec_lo, exec_lo, s43
.LBB4_5646:                             ;   in Loop: Header=BB4_5054 Depth=3
	s_delay_alu instid0(SALU_CYCLE_1) | instskip(NEXT) | instid1(VALU_DEP_1)
	s_or_b32 exec_lo, exec_lo, s13
	v_dual_mul_f32 v4, v4, v2 :: v_dual_mov_b32 v25, v3
	s_delay_alu instid0(VALU_DEP_1) | instskip(SKIP_1) | instid1(VALU_DEP_2)
	v_and_b32_e32 v24, 0x7f800000, v4
	v_and_b32_e32 v2, 0x7fffff, v4
	v_cmp_ne_u64_e32 vcc_lo, 0x7f800000, v[24:25]
                                        ; implicit-def: $vgpr24
	s_and_saveexec_b32 s13, vcc_lo
	s_delay_alu instid0(SALU_CYCLE_1)
	s_xor_b32 s43, exec_lo, s13
	s_cbranch_execz .LBB4_5664
; %bb.5647:                             ;   in Loop: Header=BB4_5054 Depth=3
	v_and_b32_e32 v24, 0x7fffffff, v4
	v_dual_mov_b32 v25, v3 :: v_dual_lshrrev_b32 v5, 24, v4
	s_delay_alu instid0(VALU_DEP_1) | instskip(NEXT) | instid1(VALU_DEP_2)
	v_cmp_gt_u64_e32 vcc_lo, 0x47600001, v[24:25]
	v_and_b32_e32 v17, 0x80, v5
                                        ; implicit-def: $vgpr24
	s_and_saveexec_b32 s13, vcc_lo
	s_delay_alu instid0(SALU_CYCLE_1)
	s_xor_b32 s72, exec_lo, s13
	s_cbranch_execz .LBB4_5661
; %bb.5648:                             ;   in Loop: Header=BB4_5054 Depth=3
	v_mov_b32_e32 v24, 0
	s_mov_b32 s73, exec_lo
	v_cmpx_ne_u32_e32 0, v4
	s_cbranch_execz .LBB4_5660
; %bb.5649:                             ;   in Loop: Header=BB4_5054 Depth=3
	v_bfe_u32 v19, v4, 23, 8
	v_or_b32_e32 v23, 0x800000, v2
	s_mov_b32 s74, exec_lo
	s_delay_alu instid0(VALU_DEP_2) | instskip(SKIP_1) | instid1(VALU_DEP_2)
	v_dual_mov_b32 v25, v3 :: v_dual_sub_nc_u32 v4, 0x71, v19
	v_cmp_gt_u32_e32 vcc_lo, 0x72, v19
	v_cndmask_b32_e32 v4, 0, v4, vcc_lo
	v_cmp_eq_u32_e32 vcc_lo, 0, v19
	s_delay_alu instid0(VALU_DEP_2) | instskip(NEXT) | instid1(VALU_DEP_1)
	v_cndmask_b32_e64 v21, v4, 0x70, vcc_lo
	v_dual_cndmask_b32 v24, v23, v2, vcc_lo :: v_dual_add_nc_u32 v4, 21, v21
	v_add_nc_u32_e32 v103, 20, v21
	s_delay_alu instid0(VALU_DEP_2) | instskip(NEXT) | instid1(VALU_DEP_2)
	v_lshlrev_b64_e64 v[4:5], v4, -1
	v_lshlrev_b64_e64 v[116:117], v103, 1
	s_delay_alu instid0(VALU_DEP_2) | instskip(NEXT) | instid1(VALU_DEP_3)
	v_bfi_b32 v45, v5, 0, 0
	v_bfi_b32 v44, v4, 0, v24
	v_lshrrev_b64 v[4:5], v21, v[24:25]
	s_delay_alu instid0(VALU_DEP_1) | instskip(NEXT) | instid1(VALU_DEP_3)
	v_mov_b64_e32 v[24:25], v[4:5]
	v_cmpx_eq_u64_e64 v[44:45], v[116:117]
; %bb.5650:                             ;   in Loop: Header=BB4_5054 Depth=3
	v_bfe_u32 v24, v4, 21, 1
	v_mov_b32_e32 v25, v3
	s_delay_alu instid0(VALU_DEP_1) | instskip(NEXT) | instid1(VALU_DEP_1)
	v_add_nc_u64_e32 v[24:25], v[4:5], v[24:25]
	v_add_nc_u64_e32 v[24:25], -1, v[24:25]
; %bb.5651:                             ;   in Loop: Header=BB4_5054 Depth=3
	s_or_b32 exec_lo, exec_lo, s74
	v_add_nc_u32_e32 v2, 0xffffff81, v19
	s_delay_alu instid0(VALU_DEP_2) | instskip(SKIP_2) | instid1(VALU_DEP_3)
	v_and_b32_e32 v19, 0x1fffff, v24
	v_lshrrev_b32_e32 v5, 23, v4
	s_mov_b32 s13, exec_lo
	v_cndmask_b32_e64 v2, v2, 0xffffff82, vcc_lo
	s_delay_alu instid0(VALU_DEP_1) | instskip(SKIP_1) | instid1(VALU_DEP_2)
	v_add3_u32 v21, v21, v2, v5
	v_add_nc_u32_e32 v2, v19, v4
                                        ; implicit-def: $vgpr4_vgpr5
                                        ; implicit-def: $vgpr19
	v_add_nc_u32_e32 v23, 14, v21
	s_delay_alu instid0(VALU_DEP_1)
	v_cmpx_ne_u32_e32 0, v23
	s_xor_b32 s13, exec_lo, s13
; %bb.5652:                             ;   in Loop: Header=BB4_5054 Depth=3
	s_delay_alu instid0(VALU_DEP_3) | instskip(SKIP_1) | instid1(VALU_DEP_1)
	v_cmp_lt_u64_e32 vcc_lo, 0xffffff, v[2:3]
	v_add_nc_u32_e32 v4, 15, v21
	v_cndmask_b32_e32 v19, v23, v4, vcc_lo
	v_cndmask_b32_e64 v4, 0, 1, vcc_lo
	s_delay_alu instid0(VALU_DEP_1)
	v_lshrrev_b64 v[4:5], v4, v[2:3]
; %bb.5653:                             ;   in Loop: Header=BB4_5054 Depth=3
	s_and_not1_saveexec_b32 s13, s13
; %bb.5654:                             ;   in Loop: Header=BB4_5054 Depth=3
	v_mov_b64_e32 v[4:5], v[2:3]
	v_bfe_u32 v19, v2, 23, 1
; %bb.5655:                             ;   in Loop: Header=BB4_5054 Depth=3
	s_or_b32 exec_lo, exec_lo, s13
	s_delay_alu instid0(VALU_DEP_2) | instskip(NEXT) | instid1(VALU_DEP_2)
	v_lshrrev_b64 v[4:5], 21, v[4:5]
	v_cmp_gt_i32_e32 vcc_lo, 32, v19
	v_cmp_ne_u32_e64 s13, 0, v19
                                        ; implicit-def: $vgpr24
	s_delay_alu instid0(VALU_DEP_3) | instskip(NEXT) | instid1(VALU_DEP_1)
	v_dual_cndmask_b32 v5, 0, v5 :: v_dual_cndmask_b32 v4, 3, v4
	v_cmp_ne_u64_e32 vcc_lo, 0, v[4:5]
	s_or_b32 s13, s13, vcc_lo
	s_delay_alu instid0(SALU_CYCLE_1) | instskip(NEXT) | instid1(SALU_CYCLE_1)
	s_and_saveexec_b32 s74, s13
	s_xor_b32 s13, exec_lo, s74
; %bb.5656:                             ;   in Loop: Header=BB4_5054 Depth=3
	v_min_i32_e32 v2, 31, v19
	s_delay_alu instid0(VALU_DEP_1) | instskip(NEXT) | instid1(VALU_DEP_1)
	v_lshl_or_b32 v2, v2, 2, v17
                                        ; implicit-def: $vgpr17
	v_and_or_b32 v24, v4, 3, v2
; %bb.5657:                             ;   in Loop: Header=BB4_5054 Depth=3
	s_and_not1_saveexec_b32 s13, s13
; %bb.5658:                             ;   in Loop: Header=BB4_5054 Depth=3
	v_mov_b32_e32 v24, v17
; %bb.5659:                             ;   in Loop: Header=BB4_5054 Depth=3
	s_or_b32 exec_lo, exec_lo, s13
.LBB4_5660:                             ;   in Loop: Header=BB4_5054 Depth=3
	s_delay_alu instid0(SALU_CYCLE_1)
	s_or_b32 exec_lo, exec_lo, s73
                                        ; implicit-def: $vgpr17
.LBB4_5661:                             ;   in Loop: Header=BB4_5054 Depth=3
	s_and_not1_saveexec_b32 s13, s72
; %bb.5662:                             ;   in Loop: Header=BB4_5054 Depth=3
	v_or_b32_e32 v24, 0x7b, v17
; %bb.5663:                             ;   in Loop: Header=BB4_5054 Depth=3
	s_or_b32 exec_lo, exec_lo, s13
                                        ; implicit-def: $vgpr4
.LBB4_5664:                             ;   in Loop: Header=BB4_5054 Depth=3
	s_and_not1_saveexec_b32 s13, s43
	s_cbranch_execz .LBB4_5670
; %bb.5665:                             ;   in Loop: Header=BB4_5054 Depth=3
	s_mov_b32 s43, exec_lo
                                        ; implicit-def: $vgpr24
	v_cmpx_ne_u64_e32 0, v[2:3]
	s_xor_b32 s43, exec_lo, s43
; %bb.5666:                             ;   in Loop: Header=BB4_5054 Depth=3
	v_lshrrev_b32_e32 v2, 24, v4
                                        ; implicit-def: $vgpr4
	s_delay_alu instid0(VALU_DEP_1)
	v_or_b32_e32 v24, 0x7f, v2
; %bb.5667:                             ;   in Loop: Header=BB4_5054 Depth=3
	s_and_not1_saveexec_b32 s43, s43
; %bb.5668:                             ;   in Loop: Header=BB4_5054 Depth=3
	v_cmp_lt_i32_e32 vcc_lo, -1, v4
	v_cndmask_b32_e64 v24, -4, 0x7c, vcc_lo
; %bb.5669:                             ;   in Loop: Header=BB4_5054 Depth=3
	s_or_b32 exec_lo, exec_lo, s43
.LBB4_5670:                             ;   in Loop: Header=BB4_5054 Depth=3
	s_delay_alu instid0(SALU_CYCLE_1)
	s_or_b32 exec_lo, exec_lo, s13
	v_dual_mov_b32 v2, 0 :: v_dual_mov_b32 v4, 0
	s_mov_b32 s13, exec_lo
	v_cmpx_ne_u16_e32 0, v22
	s_cbranch_execz .LBB4_5680
; %bb.5671:                             ;   in Loop: Header=BB4_5054 Depth=3
	v_bfrev_b32_e32 v4, 1
	s_mov_b32 s43, exec_lo
	v_cmpx_ne_u16_e32 0xff80, v22
	s_cbranch_execz .LBB4_5679
; %bb.5672:                             ;   in Loop: Header=BB4_5054 Depth=3
	v_and_b32_e32 v4, 0x7c, v22
	v_and_b32_e32 v5, 3, v22
	s_delay_alu instid0(VALU_DEP_2) | instskip(SKIP_1) | instid1(SALU_CYCLE_1)
	v_cmp_ne_u32_e32 vcc_lo, 0x7c, v4
                                        ; implicit-def: $vgpr4
	s_and_saveexec_b32 s72, vcc_lo
	s_xor_b32 s72, exec_lo, s72
	s_cbranch_execz .LBB4_5676
; %bb.5673:                             ;   in Loop: Header=BB4_5054 Depth=3
	v_and_b32_e32 v4, 0xff, v22
	s_mov_b32 s73, exec_lo
	s_delay_alu instid0(VALU_DEP_1) | instskip(NEXT) | instid1(VALU_DEP_1)
	v_bfe_u32 v4, v4, 2, 5
	v_cmpx_eq_u32_e32 0, v4
	s_cbranch_execz .LBB4_5675
; %bb.5674:                             ;   in Loop: Header=BB4_5054 Depth=3
	v_clz_i32_u32_e32 v4, v5
	s_delay_alu instid0(VALU_DEP_1) | instskip(SKIP_1) | instid1(VALU_DEP_2)
	v_min_u32_e32 v4, 32, v4
	v_mov_b32_e32 v23, v3
	v_subrev_nc_u32_e32 v5, 29, v4
	v_sub_nc_u32_e32 v4, 30, v4
	s_delay_alu instid0(VALU_DEP_2) | instskip(NEXT) | instid1(VALU_DEP_1)
	v_lshlrev_b64_e32 v[116:117], v5, v[22:23]
	v_and_b32_e32 v5, 3, v116
.LBB4_5675:                             ;   in Loop: Header=BB4_5054 Depth=3
	s_or_b32 exec_lo, exec_lo, s73
	v_bfe_i32 v17, v22, 0, 16
                                        ; implicit-def: $vgpr22
	s_delay_alu instid0(VALU_DEP_1) | instskip(NEXT) | instid1(VALU_DEP_1)
	v_and_b32_e32 v17, 0x80000000, v17
	v_lshl_add_u32 v4, v4, 23, v17
	s_delay_alu instid0(VALU_DEP_1) | instskip(NEXT) | instid1(VALU_DEP_1)
	v_lshl_or_b32 v4, v5, 21, v4
                                        ; implicit-def: $vgpr5
	v_add_nc_u32_e32 v4, 0x38000000, v4
.LBB4_5676:                             ;   in Loop: Header=BB4_5054 Depth=3
	s_and_not1_saveexec_b32 s72, s72
; %bb.5677:                             ;   in Loop: Header=BB4_5054 Depth=3
	v_cmp_lt_i16_e32 vcc_lo, -1, v22
	v_cndmask_b32_e32 v4, 0xff800000, v112, vcc_lo
	v_cmp_eq_u32_e32 vcc_lo, 0, v5
	s_delay_alu instid0(VALU_DEP_2)
	v_cndmask_b32_e32 v4, 0x7f800001, v4, vcc_lo
; %bb.5678:                             ;   in Loop: Header=BB4_5054 Depth=3
	s_or_b32 exec_lo, exec_lo, s72
.LBB4_5679:                             ;   in Loop: Header=BB4_5054 Depth=3
	s_delay_alu instid0(SALU_CYCLE_1)
	s_or_b32 exec_lo, exec_lo, s43
.LBB4_5680:                             ;   in Loop: Header=BB4_5054 Depth=3
	s_delay_alu instid0(SALU_CYCLE_1) | instskip(NEXT) | instid1(SALU_CYCLE_1)
	s_or_b32 exec_lo, exec_lo, s13
	s_mov_b32 s13, exec_lo
	s_wait_loadcnt_dscnt 0x101
	v_cmpx_ne_u16_e32 0, v20
	s_cbranch_execz .LBB4_5690
; %bb.5681:                             ;   in Loop: Header=BB4_5054 Depth=3
	v_bfrev_b32_e32 v2, 1
	s_mov_b32 s43, exec_lo
	v_cmpx_ne_u16_e32 0xff80, v20
	s_cbranch_execz .LBB4_5689
; %bb.5682:                             ;   in Loop: Header=BB4_5054 Depth=3
	v_and_b32_e32 v2, 0x7c, v20
	v_and_b32_e32 v5, 3, v20
	s_delay_alu instid0(VALU_DEP_2) | instskip(SKIP_1) | instid1(SALU_CYCLE_1)
	v_cmp_ne_u32_e32 vcc_lo, 0x7c, v2
                                        ; implicit-def: $vgpr2
	s_and_saveexec_b32 s72, vcc_lo
	s_xor_b32 s72, exec_lo, s72
	s_cbranch_execz .LBB4_5686
; %bb.5683:                             ;   in Loop: Header=BB4_5054 Depth=3
	v_and_b32_e32 v2, 0xff, v20
	s_mov_b32 s73, exec_lo
	s_delay_alu instid0(VALU_DEP_1) | instskip(NEXT) | instid1(VALU_DEP_1)
	v_bfe_u32 v2, v2, 2, 5
	v_cmpx_eq_u32_e32 0, v2
	s_cbranch_execz .LBB4_5685
; %bb.5684:                             ;   in Loop: Header=BB4_5054 Depth=3
	v_clz_i32_u32_e32 v2, v5
	s_delay_alu instid0(VALU_DEP_1) | instskip(SKIP_1) | instid1(VALU_DEP_2)
	v_min_u32_e32 v2, 32, v2
	v_mov_b32_e32 v21, v3
	v_subrev_nc_u32_e32 v5, 29, v2
	v_sub_nc_u32_e32 v2, 30, v2
	s_delay_alu instid0(VALU_DEP_2) | instskip(NEXT) | instid1(VALU_DEP_1)
	v_lshlrev_b64_e32 v[22:23], v5, v[20:21]
	v_and_b32_e32 v5, 3, v22
.LBB4_5685:                             ;   in Loop: Header=BB4_5054 Depth=3
	s_or_b32 exec_lo, exec_lo, s73
	v_bfe_i32 v17, v20, 0, 16
                                        ; implicit-def: $vgpr20
	s_delay_alu instid0(VALU_DEP_1) | instskip(NEXT) | instid1(VALU_DEP_1)
	v_and_b32_e32 v17, 0x80000000, v17
	v_lshl_add_u32 v2, v2, 23, v17
	s_delay_alu instid0(VALU_DEP_1) | instskip(NEXT) | instid1(VALU_DEP_1)
	v_lshl_or_b32 v2, v5, 21, v2
                                        ; implicit-def: $vgpr5
	v_add_nc_u32_e32 v2, 0x38000000, v2
.LBB4_5686:                             ;   in Loop: Header=BB4_5054 Depth=3
	s_and_not1_saveexec_b32 s72, s72
; %bb.5687:                             ;   in Loop: Header=BB4_5054 Depth=3
	v_cmp_lt_i16_e32 vcc_lo, -1, v20
	v_cndmask_b32_e32 v2, 0xff800000, v112, vcc_lo
	v_cmp_eq_u32_e32 vcc_lo, 0, v5
	s_delay_alu instid0(VALU_DEP_2)
	v_cndmask_b32_e32 v2, 0x7f800001, v2, vcc_lo
; %bb.5688:                             ;   in Loop: Header=BB4_5054 Depth=3
	s_or_b32 exec_lo, exec_lo, s72
.LBB4_5689:                             ;   in Loop: Header=BB4_5054 Depth=3
	s_delay_alu instid0(SALU_CYCLE_1)
	s_or_b32 exec_lo, exec_lo, s43
.LBB4_5690:                             ;   in Loop: Header=BB4_5054 Depth=3
	s_delay_alu instid0(SALU_CYCLE_1) | instskip(NEXT) | instid1(VALU_DEP_1)
	s_or_b32 exec_lo, exec_lo, s13
	v_dual_mul_f32 v4, v4, v2 :: v_dual_mov_b32 v21, v3
	s_delay_alu instid0(VALU_DEP_1) | instskip(SKIP_1) | instid1(VALU_DEP_2)
	v_and_b32_e32 v20, 0x7f800000, v4
	v_and_b32_e32 v2, 0x7fffff, v4
	v_cmp_ne_u64_e32 vcc_lo, 0x7f800000, v[20:21]
                                        ; implicit-def: $vgpr20
	s_and_saveexec_b32 s13, vcc_lo
	s_delay_alu instid0(SALU_CYCLE_1)
	s_xor_b32 s43, exec_lo, s13
	s_cbranch_execz .LBB4_5708
; %bb.5691:                             ;   in Loop: Header=BB4_5054 Depth=3
	v_and_b32_e32 v20, 0x7fffffff, v4
	v_dual_mov_b32 v21, v3 :: v_dual_lshrrev_b32 v5, 24, v4
	s_delay_alu instid0(VALU_DEP_1) | instskip(NEXT) | instid1(VALU_DEP_2)
	v_cmp_gt_u64_e32 vcc_lo, 0x47600001, v[20:21]
	v_and_b32_e32 v17, 0x80, v5
                                        ; implicit-def: $vgpr20
	s_and_saveexec_b32 s13, vcc_lo
	s_delay_alu instid0(SALU_CYCLE_1)
	s_xor_b32 s72, exec_lo, s13
	s_cbranch_execz .LBB4_5705
; %bb.5692:                             ;   in Loop: Header=BB4_5054 Depth=3
	v_mov_b32_e32 v20, 0
	s_mov_b32 s73, exec_lo
	v_cmpx_ne_u32_e32 0, v4
	s_cbranch_execz .LBB4_5704
; %bb.5693:                             ;   in Loop: Header=BB4_5054 Depth=3
	v_bfe_u32 v19, v4, 23, 8
	v_or_b32_e32 v20, 0x800000, v2
	s_mov_b32 s74, exec_lo
	s_delay_alu instid0(VALU_DEP_2) | instskip(SKIP_1) | instid1(VALU_DEP_2)
	v_dual_mov_b32 v21, v3 :: v_dual_sub_nc_u32 v4, 0x71, v19
	v_cmp_gt_u32_e32 vcc_lo, 0x72, v19
	v_cndmask_b32_e32 v4, 0, v4, vcc_lo
	v_cmp_eq_u32_e32 vcc_lo, 0, v19
	s_delay_alu instid0(VALU_DEP_2) | instskip(SKIP_1) | instid1(VALU_DEP_2)
	v_cndmask_b32_e64 v22, v4, 0x70, vcc_lo
	v_cndmask_b32_e32 v20, v20, v2, vcc_lo
	v_dual_add_nc_u32 v4, 21, v22 :: v_dual_add_nc_u32 v23, 20, v22
	s_delay_alu instid0(VALU_DEP_1) | instskip(NEXT) | instid1(VALU_DEP_2)
	v_lshlrev_b64_e64 v[4:5], v4, -1
	v_lshlrev_b64_e64 v[116:117], v23, 1
	s_delay_alu instid0(VALU_DEP_2) | instskip(NEXT) | instid1(VALU_DEP_3)
	v_bfi_b32 v45, v5, 0, 0
	v_bfi_b32 v44, v4, 0, v20
	v_lshrrev_b64 v[4:5], v22, v[20:21]
	s_delay_alu instid0(VALU_DEP_1) | instskip(NEXT) | instid1(VALU_DEP_3)
	v_mov_b64_e32 v[20:21], v[4:5]
	v_cmpx_eq_u64_e64 v[44:45], v[116:117]
; %bb.5694:                             ;   in Loop: Header=BB4_5054 Depth=3
	v_bfe_u32 v20, v4, 21, 1
	v_mov_b32_e32 v21, v3
	s_delay_alu instid0(VALU_DEP_1) | instskip(NEXT) | instid1(VALU_DEP_1)
	v_add_nc_u64_e32 v[20:21], v[4:5], v[20:21]
	v_add_nc_u64_e32 v[20:21], -1, v[20:21]
; %bb.5695:                             ;   in Loop: Header=BB4_5054 Depth=3
	s_or_b32 exec_lo, exec_lo, s74
	v_add_nc_u32_e32 v2, 0xffffff81, v19
	s_delay_alu instid0(VALU_DEP_2) | instskip(SKIP_2) | instid1(VALU_DEP_3)
	v_and_b32_e32 v19, 0x1fffff, v20
	v_lshrrev_b32_e32 v5, 23, v4
	s_mov_b32 s13, exec_lo
	v_cndmask_b32_e64 v2, v2, 0xffffff82, vcc_lo
	s_delay_alu instid0(VALU_DEP_1) | instskip(SKIP_1) | instid1(VALU_DEP_2)
	v_add3_u32 v20, v22, v2, v5
	v_add_nc_u32_e32 v2, v19, v4
                                        ; implicit-def: $vgpr4_vgpr5
                                        ; implicit-def: $vgpr19
	v_add_nc_u32_e32 v21, 14, v20
	s_delay_alu instid0(VALU_DEP_1)
	v_cmpx_ne_u32_e32 0, v21
	s_xor_b32 s13, exec_lo, s13
; %bb.5696:                             ;   in Loop: Header=BB4_5054 Depth=3
	s_delay_alu instid0(VALU_DEP_3) | instskip(SKIP_1) | instid1(VALU_DEP_1)
	v_cmp_lt_u64_e32 vcc_lo, 0xffffff, v[2:3]
	v_add_nc_u32_e32 v4, 15, v20
	v_cndmask_b32_e32 v19, v21, v4, vcc_lo
	v_cndmask_b32_e64 v4, 0, 1, vcc_lo
	s_delay_alu instid0(VALU_DEP_1)
	v_lshrrev_b64 v[4:5], v4, v[2:3]
; %bb.5697:                             ;   in Loop: Header=BB4_5054 Depth=3
	s_and_not1_saveexec_b32 s13, s13
; %bb.5698:                             ;   in Loop: Header=BB4_5054 Depth=3
	v_mov_b64_e32 v[4:5], v[2:3]
	v_bfe_u32 v19, v2, 23, 1
; %bb.5699:                             ;   in Loop: Header=BB4_5054 Depth=3
	s_or_b32 exec_lo, exec_lo, s13
	s_delay_alu instid0(VALU_DEP_2) | instskip(NEXT) | instid1(VALU_DEP_2)
	v_lshrrev_b64 v[4:5], 21, v[4:5]
	v_cmp_gt_i32_e32 vcc_lo, 32, v19
	v_cmp_ne_u32_e64 s13, 0, v19
                                        ; implicit-def: $vgpr20
	s_delay_alu instid0(VALU_DEP_3) | instskip(NEXT) | instid1(VALU_DEP_1)
	v_dual_cndmask_b32 v5, 0, v5 :: v_dual_cndmask_b32 v4, 3, v4
	v_cmp_ne_u64_e32 vcc_lo, 0, v[4:5]
	s_or_b32 s13, s13, vcc_lo
	s_delay_alu instid0(SALU_CYCLE_1) | instskip(NEXT) | instid1(SALU_CYCLE_1)
	s_and_saveexec_b32 s74, s13
	s_xor_b32 s13, exec_lo, s74
; %bb.5700:                             ;   in Loop: Header=BB4_5054 Depth=3
	v_min_i32_e32 v2, 31, v19
	s_delay_alu instid0(VALU_DEP_1) | instskip(NEXT) | instid1(VALU_DEP_1)
	v_lshl_or_b32 v2, v2, 2, v17
                                        ; implicit-def: $vgpr17
	v_and_or_b32 v20, v4, 3, v2
; %bb.5701:                             ;   in Loop: Header=BB4_5054 Depth=3
	s_and_not1_saveexec_b32 s13, s13
; %bb.5702:                             ;   in Loop: Header=BB4_5054 Depth=3
	v_mov_b32_e32 v20, v17
; %bb.5703:                             ;   in Loop: Header=BB4_5054 Depth=3
	s_or_b32 exec_lo, exec_lo, s13
.LBB4_5704:                             ;   in Loop: Header=BB4_5054 Depth=3
	s_delay_alu instid0(SALU_CYCLE_1)
	s_or_b32 exec_lo, exec_lo, s73
                                        ; implicit-def: $vgpr17
.LBB4_5705:                             ;   in Loop: Header=BB4_5054 Depth=3
	s_and_not1_saveexec_b32 s13, s72
; %bb.5706:                             ;   in Loop: Header=BB4_5054 Depth=3
	v_or_b32_e32 v20, 0x7b, v17
; %bb.5707:                             ;   in Loop: Header=BB4_5054 Depth=3
	s_or_b32 exec_lo, exec_lo, s13
                                        ; implicit-def: $vgpr4
.LBB4_5708:                             ;   in Loop: Header=BB4_5054 Depth=3
	s_and_not1_saveexec_b32 s13, s43
	s_cbranch_execz .LBB4_5714
; %bb.5709:                             ;   in Loop: Header=BB4_5054 Depth=3
	s_mov_b32 s43, exec_lo
                                        ; implicit-def: $vgpr20
	v_cmpx_ne_u64_e32 0, v[2:3]
	s_xor_b32 s43, exec_lo, s43
; %bb.5710:                             ;   in Loop: Header=BB4_5054 Depth=3
	v_lshrrev_b32_e32 v2, 24, v4
                                        ; implicit-def: $vgpr4
	s_delay_alu instid0(VALU_DEP_1)
	v_or_b32_e32 v20, 0x7f, v2
; %bb.5711:                             ;   in Loop: Header=BB4_5054 Depth=3
	s_and_not1_saveexec_b32 s43, s43
; %bb.5712:                             ;   in Loop: Header=BB4_5054 Depth=3
	v_cmp_lt_i32_e32 vcc_lo, -1, v4
	v_cndmask_b32_e64 v20, -4, 0x7c, vcc_lo
; %bb.5713:                             ;   in Loop: Header=BB4_5054 Depth=3
	s_or_b32 exec_lo, exec_lo, s43
.LBB4_5714:                             ;   in Loop: Header=BB4_5054 Depth=3
	s_delay_alu instid0(SALU_CYCLE_1)
	s_or_b32 exec_lo, exec_lo, s13
	v_dual_mov_b32 v2, 0 :: v_dual_mov_b32 v4, 0
	s_mov_b32 s13, exec_lo
	v_cmpx_ne_u16_e32 0, v18
	s_cbranch_execz .LBB4_5724
; %bb.5715:                             ;   in Loop: Header=BB4_5054 Depth=3
	v_bfrev_b32_e32 v4, 1
	s_mov_b32 s43, exec_lo
	v_cmpx_ne_u16_e32 0xff80, v18
	s_cbranch_execz .LBB4_5723
; %bb.5716:                             ;   in Loop: Header=BB4_5054 Depth=3
	v_and_b32_e32 v4, 0x7c, v18
	v_and_b32_e32 v5, 3, v18
	s_delay_alu instid0(VALU_DEP_2) | instskip(SKIP_1) | instid1(SALU_CYCLE_1)
	v_cmp_ne_u32_e32 vcc_lo, 0x7c, v4
                                        ; implicit-def: $vgpr4
	s_and_saveexec_b32 s72, vcc_lo
	s_xor_b32 s72, exec_lo, s72
	s_cbranch_execz .LBB4_5720
; %bb.5717:                             ;   in Loop: Header=BB4_5054 Depth=3
	v_and_b32_e32 v4, 0xff, v18
	s_mov_b32 s73, exec_lo
	s_delay_alu instid0(VALU_DEP_1) | instskip(NEXT) | instid1(VALU_DEP_1)
	v_bfe_u32 v4, v4, 2, 5
	v_cmpx_eq_u32_e32 0, v4
	s_cbranch_execz .LBB4_5719
; %bb.5718:                             ;   in Loop: Header=BB4_5054 Depth=3
	v_clz_i32_u32_e32 v4, v5
	s_delay_alu instid0(VALU_DEP_1) | instskip(SKIP_1) | instid1(VALU_DEP_2)
	v_min_u32_e32 v4, 32, v4
	v_mov_b32_e32 v19, v3
	v_subrev_nc_u32_e32 v5, 29, v4
	v_sub_nc_u32_e32 v4, 30, v4
	s_delay_alu instid0(VALU_DEP_2) | instskip(NEXT) | instid1(VALU_DEP_1)
	v_lshlrev_b64_e32 v[22:23], v5, v[18:19]
	v_and_b32_e32 v5, 3, v22
.LBB4_5719:                             ;   in Loop: Header=BB4_5054 Depth=3
	s_or_b32 exec_lo, exec_lo, s73
	v_bfe_i32 v17, v18, 0, 16
                                        ; implicit-def: $vgpr18
	s_delay_alu instid0(VALU_DEP_1) | instskip(NEXT) | instid1(VALU_DEP_1)
	v_and_b32_e32 v17, 0x80000000, v17
	v_lshl_add_u32 v4, v4, 23, v17
	s_delay_alu instid0(VALU_DEP_1) | instskip(NEXT) | instid1(VALU_DEP_1)
	v_lshl_or_b32 v4, v5, 21, v4
                                        ; implicit-def: $vgpr5
	v_add_nc_u32_e32 v4, 0x38000000, v4
.LBB4_5720:                             ;   in Loop: Header=BB4_5054 Depth=3
	s_and_not1_saveexec_b32 s72, s72
; %bb.5721:                             ;   in Loop: Header=BB4_5054 Depth=3
	v_cmp_lt_i16_e32 vcc_lo, -1, v18
	v_cndmask_b32_e32 v4, 0xff800000, v112, vcc_lo
	v_cmp_eq_u32_e32 vcc_lo, 0, v5
	s_delay_alu instid0(VALU_DEP_2)
	v_cndmask_b32_e32 v4, 0x7f800001, v4, vcc_lo
; %bb.5722:                             ;   in Loop: Header=BB4_5054 Depth=3
	s_or_b32 exec_lo, exec_lo, s72
.LBB4_5723:                             ;   in Loop: Header=BB4_5054 Depth=3
	s_delay_alu instid0(SALU_CYCLE_1)
	s_or_b32 exec_lo, exec_lo, s43
.LBB4_5724:                             ;   in Loop: Header=BB4_5054 Depth=3
	s_delay_alu instid0(SALU_CYCLE_1) | instskip(NEXT) | instid1(SALU_CYCLE_1)
	s_or_b32 exec_lo, exec_lo, s13
	s_mov_b32 s13, exec_lo
	s_wait_loadcnt_dscnt 0x0
	v_cmpx_ne_u16_e32 0, v16
	s_cbranch_execz .LBB4_5734
; %bb.5725:                             ;   in Loop: Header=BB4_5054 Depth=3
	v_bfrev_b32_e32 v2, 1
	s_mov_b32 s43, exec_lo
	v_cmpx_ne_u16_e32 0xff80, v16
	s_cbranch_execz .LBB4_5733
; %bb.5726:                             ;   in Loop: Header=BB4_5054 Depth=3
	v_and_b32_e32 v2, 0x7c, v16
	v_and_b32_e32 v5, 3, v16
	s_delay_alu instid0(VALU_DEP_2) | instskip(SKIP_1) | instid1(SALU_CYCLE_1)
	v_cmp_ne_u32_e32 vcc_lo, 0x7c, v2
                                        ; implicit-def: $vgpr2
	s_and_saveexec_b32 s72, vcc_lo
	s_xor_b32 s72, exec_lo, s72
	s_cbranch_execz .LBB4_5730
; %bb.5727:                             ;   in Loop: Header=BB4_5054 Depth=3
	v_and_b32_e32 v2, 0xff, v16
	s_mov_b32 s73, exec_lo
	s_delay_alu instid0(VALU_DEP_1) | instskip(NEXT) | instid1(VALU_DEP_1)
	v_bfe_u32 v2, v2, 2, 5
	v_cmpx_eq_u32_e32 0, v2
	s_cbranch_execz .LBB4_5729
; %bb.5728:                             ;   in Loop: Header=BB4_5054 Depth=3
	v_clz_i32_u32_e32 v2, v5
	s_delay_alu instid0(VALU_DEP_1) | instskip(SKIP_1) | instid1(VALU_DEP_2)
	v_min_u32_e32 v2, 32, v2
	v_mov_b32_e32 v17, v3
	v_subrev_nc_u32_e32 v5, 29, v2
	v_sub_nc_u32_e32 v2, 30, v2
	s_delay_alu instid0(VALU_DEP_2) | instskip(NEXT) | instid1(VALU_DEP_1)
	v_lshlrev_b64_e32 v[18:19], v5, v[16:17]
	v_and_b32_e32 v5, 3, v18
.LBB4_5729:                             ;   in Loop: Header=BB4_5054 Depth=3
	s_or_b32 exec_lo, exec_lo, s73
	v_bfe_i32 v16, v16, 0, 16
	s_delay_alu instid0(VALU_DEP_1) | instskip(NEXT) | instid1(VALU_DEP_1)
	v_and_b32_e32 v16, 0x80000000, v16
	v_lshl_add_u32 v2, v2, 23, v16
                                        ; implicit-def: $vgpr16
	s_delay_alu instid0(VALU_DEP_1) | instskip(NEXT) | instid1(VALU_DEP_1)
	v_lshl_or_b32 v2, v5, 21, v2
                                        ; implicit-def: $vgpr5
	v_add_nc_u32_e32 v2, 0x38000000, v2
.LBB4_5730:                             ;   in Loop: Header=BB4_5054 Depth=3
	s_and_not1_saveexec_b32 s72, s72
; %bb.5731:                             ;   in Loop: Header=BB4_5054 Depth=3
	v_cmp_lt_i16_e32 vcc_lo, -1, v16
	v_cndmask_b32_e32 v2, 0xff800000, v112, vcc_lo
	v_cmp_eq_u32_e32 vcc_lo, 0, v5
	s_delay_alu instid0(VALU_DEP_2)
	v_cndmask_b32_e32 v2, 0x7f800001, v2, vcc_lo
; %bb.5732:                             ;   in Loop: Header=BB4_5054 Depth=3
	s_or_b32 exec_lo, exec_lo, s72
.LBB4_5733:                             ;   in Loop: Header=BB4_5054 Depth=3
	s_delay_alu instid0(SALU_CYCLE_1)
	s_or_b32 exec_lo, exec_lo, s43
.LBB4_5734:                             ;   in Loop: Header=BB4_5054 Depth=3
	s_delay_alu instid0(SALU_CYCLE_1) | instskip(NEXT) | instid1(VALU_DEP_1)
	s_or_b32 exec_lo, exec_lo, s13
	v_dual_mul_f32 v4, v4, v2 :: v_dual_mov_b32 v17, v3
                                        ; implicit-def: $vgpr5
	s_mov_b32 s13, exec_lo
	s_delay_alu instid0(VALU_DEP_1) | instskip(SKIP_1) | instid1(VALU_DEP_2)
	v_and_b32_e32 v16, 0x7f800000, v4
	v_and_b32_e32 v2, 0x7fffff, v4
	v_cmpx_ne_u64_e32 0x7f800000, v[16:17]
	s_xor_b32 s43, exec_lo, s13
	s_cbranch_execz .LBB4_5752
; %bb.5735:                             ;   in Loop: Header=BB4_5054 Depth=3
	v_dual_mov_b32 v17, v3 :: v_dual_lshrrev_b32 v5, 24, v4
	v_and_b32_e32 v16, 0x7fffffff, v4
	s_mov_b32 s13, exec_lo
	s_delay_alu instid0(VALU_DEP_2) | instskip(NEXT) | instid1(VALU_DEP_2)
	v_and_b32_e32 v18, 0x80, v5
                                        ; implicit-def: $vgpr5
	v_cmpx_gt_u64_e32 0x47600001, v[16:17]
	s_xor_b32 s72, exec_lo, s13
	s_cbranch_execz .LBB4_5749
; %bb.5736:                             ;   in Loop: Header=BB4_5054 Depth=3
	v_mov_b32_e32 v5, 0
	s_mov_b32 s73, exec_lo
	v_cmpx_ne_u32_e32 0, v4
	s_cbranch_execz .LBB4_5748
; %bb.5737:                             ;   in Loop: Header=BB4_5054 Depth=3
	v_bfe_u32 v19, v4, 23, 8
	v_or_b32_e32 v16, 0x800000, v2
	s_mov_b32 s74, exec_lo
	s_delay_alu instid0(VALU_DEP_2) | instskip(SKIP_1) | instid1(VALU_DEP_2)
	v_dual_mov_b32 v17, v3 :: v_dual_sub_nc_u32 v4, 0x71, v19
	v_cmp_gt_u32_e32 vcc_lo, 0x72, v19
	v_cndmask_b32_e32 v4, 0, v4, vcc_lo
	v_cmp_eq_u32_e32 vcc_lo, 0, v19
	s_delay_alu instid0(VALU_DEP_2) | instskip(NEXT) | instid1(VALU_DEP_1)
	v_cndmask_b32_e64 v21, v4, 0x70, vcc_lo
	v_dual_cndmask_b32 v16, v16, v2, vcc_lo :: v_dual_add_nc_u32 v4, 21, v21
	v_add_nc_u32_e32 v22, 20, v21
	s_delay_alu instid0(VALU_DEP_2) | instskip(NEXT) | instid1(VALU_DEP_2)
	v_lshlrev_b64_e64 v[4:5], v4, -1
	v_lshlrev_b64_e64 v[22:23], v22, 1
	s_delay_alu instid0(VALU_DEP_2) | instskip(NEXT) | instid1(VALU_DEP_3)
	v_bfi_b32 v117, v5, 0, 0
	v_bfi_b32 v116, v4, 0, v16
	v_lshrrev_b64 v[4:5], v21, v[16:17]
	s_delay_alu instid0(VALU_DEP_1) | instskip(NEXT) | instid1(VALU_DEP_3)
	v_mov_b64_e32 v[16:17], v[4:5]
	v_cmpx_eq_u64_e64 v[116:117], v[22:23]
; %bb.5738:                             ;   in Loop: Header=BB4_5054 Depth=3
	v_bfe_u32 v16, v4, 21, 1
	v_mov_b32_e32 v17, v3
	s_delay_alu instid0(VALU_DEP_1) | instskip(NEXT) | instid1(VALU_DEP_1)
	v_add_nc_u64_e32 v[16:17], v[4:5], v[16:17]
	v_add_nc_u64_e32 v[16:17], -1, v[16:17]
; %bb.5739:                             ;   in Loop: Header=BB4_5054 Depth=3
	s_or_b32 exec_lo, exec_lo, s74
	v_add_nc_u32_e32 v2, 0xffffff81, v19
	s_delay_alu instid0(VALU_DEP_2) | instskip(SKIP_2) | instid1(VALU_DEP_3)
	v_and_b32_e32 v16, 0x1fffff, v16
	v_lshrrev_b32_e32 v5, 23, v4
	s_mov_b32 s13, exec_lo
	v_cndmask_b32_e64 v2, v2, 0xffffff82, vcc_lo
	s_delay_alu instid0(VALU_DEP_1) | instskip(SKIP_1) | instid1(VALU_DEP_2)
	v_add3_u32 v17, v21, v2, v5
	v_add_nc_u32_e32 v2, v16, v4
                                        ; implicit-def: $vgpr4_vgpr5
                                        ; implicit-def: $vgpr16
	v_add_nc_u32_e32 v19, 14, v17
	s_delay_alu instid0(VALU_DEP_1)
	v_cmpx_ne_u32_e32 0, v19
	s_xor_b32 s13, exec_lo, s13
; %bb.5740:                             ;   in Loop: Header=BB4_5054 Depth=3
	s_delay_alu instid0(VALU_DEP_3) | instskip(SKIP_1) | instid1(VALU_DEP_1)
	v_cmp_lt_u64_e32 vcc_lo, 0xffffff, v[2:3]
	v_add_nc_u32_e32 v4, 15, v17
	v_cndmask_b32_e32 v16, v19, v4, vcc_lo
	v_cndmask_b32_e64 v4, 0, 1, vcc_lo
	s_delay_alu instid0(VALU_DEP_1)
	v_lshrrev_b64 v[4:5], v4, v[2:3]
; %bb.5741:                             ;   in Loop: Header=BB4_5054 Depth=3
	s_and_not1_saveexec_b32 s13, s13
; %bb.5742:                             ;   in Loop: Header=BB4_5054 Depth=3
	v_mov_b64_e32 v[4:5], v[2:3]
	v_bfe_u32 v16, v2, 23, 1
; %bb.5743:                             ;   in Loop: Header=BB4_5054 Depth=3
	s_or_b32 exec_lo, exec_lo, s13
	s_delay_alu instid0(VALU_DEP_2) | instskip(NEXT) | instid1(VALU_DEP_2)
	v_lshrrev_b64 v[4:5], 21, v[4:5]
	v_cmp_gt_i32_e32 vcc_lo, 32, v16
	v_cmp_ne_u32_e64 s13, 0, v16
	s_delay_alu instid0(VALU_DEP_3) | instskip(NEXT) | instid1(VALU_DEP_1)
	v_dual_cndmask_b32 v5, 0, v5 :: v_dual_cndmask_b32 v4, 3, v4
	v_cmp_ne_u64_e32 vcc_lo, 0, v[4:5]
                                        ; implicit-def: $vgpr5
	s_or_b32 s13, s13, vcc_lo
	s_delay_alu instid0(SALU_CYCLE_1) | instskip(NEXT) | instid1(SALU_CYCLE_1)
	s_and_saveexec_b32 s74, s13
	s_xor_b32 s13, exec_lo, s74
; %bb.5744:                             ;   in Loop: Header=BB4_5054 Depth=3
	v_min_i32_e32 v2, 31, v16
	s_delay_alu instid0(VALU_DEP_1) | instskip(NEXT) | instid1(VALU_DEP_1)
	v_lshl_or_b32 v2, v2, 2, v18
                                        ; implicit-def: $vgpr18
	v_and_or_b32 v5, v4, 3, v2
; %bb.5745:                             ;   in Loop: Header=BB4_5054 Depth=3
	s_and_not1_saveexec_b32 s13, s13
; %bb.5746:                             ;   in Loop: Header=BB4_5054 Depth=3
	v_mov_b32_e32 v5, v18
; %bb.5747:                             ;   in Loop: Header=BB4_5054 Depth=3
	s_or_b32 exec_lo, exec_lo, s13
.LBB4_5748:                             ;   in Loop: Header=BB4_5054 Depth=3
	s_delay_alu instid0(SALU_CYCLE_1)
	s_or_b32 exec_lo, exec_lo, s73
                                        ; implicit-def: $vgpr18
.LBB4_5749:                             ;   in Loop: Header=BB4_5054 Depth=3
	s_and_not1_saveexec_b32 s13, s72
; %bb.5750:                             ;   in Loop: Header=BB4_5054 Depth=3
	v_or_b32_e32 v5, 0x7b, v18
; %bb.5751:                             ;   in Loop: Header=BB4_5054 Depth=3
	s_or_b32 exec_lo, exec_lo, s13
                                        ; implicit-def: $vgpr4
.LBB4_5752:                             ;   in Loop: Header=BB4_5054 Depth=3
	s_and_not1_saveexec_b32 s13, s43
	s_cbranch_execz .LBB4_5053
; %bb.5753:                             ;   in Loop: Header=BB4_5054 Depth=3
	s_mov_b32 s43, exec_lo
                                        ; implicit-def: $vgpr5
	v_cmpx_ne_u64_e32 0, v[2:3]
	s_xor_b32 s43, exec_lo, s43
; %bb.5754:                             ;   in Loop: Header=BB4_5054 Depth=3
	v_lshrrev_b32_e32 v2, 24, v4
                                        ; implicit-def: $vgpr4
	s_delay_alu instid0(VALU_DEP_1)
	v_or_b32_e32 v5, 0x7f, v2
; %bb.5755:                             ;   in Loop: Header=BB4_5054 Depth=3
	s_and_not1_saveexec_b32 s43, s43
	s_cbranch_execz .LBB4_5052
; %bb.5756:                             ;   in Loop: Header=BB4_5054 Depth=3
	v_cmp_lt_i32_e32 vcc_lo, -1, v4
	v_cndmask_b32_e64 v5, -4, 0x7c, vcc_lo
	s_branch .LBB4_5052
.LBB4_5757:                             ;   in Loop: Header=BB4_3099 Depth=2
	s_or_b32 exec_lo, exec_lo, s42
	s_clause 0x3
	scratch_load_b64 v[78:79], off, s33 offset:256
	scratch_load_b32 v88, off, s33 offset:264
	scratch_load_b32 v4, off, s33 offset:268
	;; [unrolled: 1-line block ×3, first 2 shown]
	v_mov_b64_e32 v[60:61], 0
	v_add_nc_u64_e32 v[62:63], 0x200, v[86:87]
.LBB4_5758:                             ;   in Loop: Header=BB4_3099 Depth=2
	s_wait_xcnt 0x0
	s_or_b32 exec_lo, exec_lo, s14
	s_wait_loadcnt 0x0
	v_lshlrev_b32_e32 v2, 9, v5
	s_delay_alu instid0(VALU_DEP_1)
	v_cmp_ne_u32_e32 vcc_lo, v41, v2
	s_and_b32 exec_lo, exec_lo, vcc_lo
	s_cbranch_execz .LBB4_5808
; %bb.5759:                             ;   in Loop: Header=BB4_3099 Depth=2
	v_dual_add_nc_u32 v4, v46, v4 :: v_dual_lshlrev_b32 v5, 5, v47
	s_delay_alu instid0(VALU_DEP_1) | instskip(NEXT) | instid1(VALU_DEP_1)
	v_and_b32_e32 v4, 0xffffffe0, v4
	v_sub_nc_u32_e32 v4, v46, v4
	s_delay_alu instid0(VALU_DEP_1) | instskip(NEXT) | instid1(VALU_DEP_1)
	v_sub_nc_u32_e32 v4, v4, v5
	v_add_nc_u32_e32 v2, v2, v4
	s_delay_alu instid0(VALU_DEP_1) | instskip(NEXT) | instid1(VALU_DEP_1)
	v_sub_nc_u32_e32 v18, v41, v2
	v_cmp_lt_i32_e32 vcc_lo, 0, v18
	s_and_b32 exec_lo, exec_lo, vcc_lo
	s_cbranch_execz .LBB4_5808
; %bb.5760:                             ;   in Loop: Header=BB4_3099 Depth=2
	s_trap 2
	ds_load_b128 v[8:11], v0
	v_add_nc_u32_e32 v12, v2, v43
	s_mov_b32 s72, 0
	s_delay_alu instid0(VALU_DEP_1) | instskip(SKIP_1) | instid1(VALU_DEP_1)
	v_ashrrev_i32_e32 v13, 31, v12
	s_wait_dscnt 0x0
	v_add_nc_u64_e32 v[4:5], v[8:9], v[12:13]
	v_add_nc_u64_e32 v[8:9], v[10:11], v[12:13]
	s_delay_alu instid0(VALU_DEP_2) | instskip(NEXT) | instid1(VALU_DEP_2)
	v_mov_b64_e32 v[10:11], v[4:5]
	v_mov_b64_e32 v[12:13], v[8:9]
.LBB4_5761:                             ;   Parent Loop BB4_47 Depth=1
                                        ;     Parent Loop BB4_3099 Depth=2
                                        ; =>    This Loop Header: Depth=3
                                        ;         Child Loop BB4_5806 Depth 4
	flat_load_i8 v16, v[10:11] th:TH_LOAD_NT
	flat_load_i8 v14, v[12:13] th:TH_LOAD_NT
	v_dual_mov_b32 v2, 0 :: v_dual_mov_b32 v17, 0
	s_mov_b32 s13, exec_lo
	s_wait_loadcnt_dscnt 0x101
	s_wait_xcnt 0x0
	v_cmpx_ne_u16_e32 0, v16
	s_cbranch_execz .LBB4_5771
; %bb.5762:                             ;   in Loop: Header=BB4_5761 Depth=3
	v_bfrev_b32_e32 v17, 1
	s_mov_b32 s14, exec_lo
	v_cmpx_ne_u16_e32 0xff80, v16
	s_cbranch_execz .LBB4_5770
; %bb.5763:                             ;   in Loop: Header=BB4_5761 Depth=3
	v_and_b32_e32 v17, 0x7c, v16
	v_and_b32_e32 v15, 3, v16
	s_delay_alu instid0(VALU_DEP_2) | instskip(SKIP_1) | instid1(SALU_CYCLE_1)
	v_cmp_ne_u32_e32 vcc_lo, 0x7c, v17
                                        ; implicit-def: $vgpr17
	s_and_saveexec_b32 s42, vcc_lo
	s_xor_b32 s42, exec_lo, s42
	s_cbranch_execz .LBB4_5767
; %bb.5764:                             ;   in Loop: Header=BB4_5761 Depth=3
	v_and_b32_e32 v17, 0xff, v16
	s_mov_b32 s43, exec_lo
	s_delay_alu instid0(VALU_DEP_1) | instskip(NEXT) | instid1(VALU_DEP_1)
	v_bfe_u32 v17, v17, 2, 5
	v_cmpx_eq_u32_e32 0, v17
; %bb.5765:                             ;   in Loop: Header=BB4_5761 Depth=3
	v_clz_i32_u32_e32 v15, v15
	v_mov_b32_e32 v17, v3
	s_delay_alu instid0(VALU_DEP_2) | instskip(NEXT) | instid1(VALU_DEP_1)
	v_min_u32_e32 v15, 32, v15
	v_subrev_nc_u32_e32 v19, 29, v15
	s_delay_alu instid0(VALU_DEP_1) | instskip(NEXT) | instid1(VALU_DEP_1)
	v_lshlrev_b64_e32 v[20:21], v19, v[16:17]
	v_dual_sub_nc_u32 v17, 30, v15 :: v_dual_bitop2_b32 v15, 3, v20 bitop3:0x40
; %bb.5766:                             ;   in Loop: Header=BB4_5761 Depth=3
	s_or_b32 exec_lo, exec_lo, s43
	v_bfe_i32 v16, v16, 0, 16
	s_delay_alu instid0(VALU_DEP_1) | instskip(NEXT) | instid1(VALU_DEP_1)
	v_and_b32_e32 v16, 0x80000000, v16
	v_lshl_add_u32 v16, v17, 23, v16
	s_delay_alu instid0(VALU_DEP_1) | instskip(NEXT) | instid1(VALU_DEP_1)
	v_lshl_or_b32 v15, v15, 21, v16
                                        ; implicit-def: $vgpr16
	v_add_nc_u32_e32 v17, 0x38000000, v15
                                        ; implicit-def: $vgpr15
.LBB4_5767:                             ;   in Loop: Header=BB4_5761 Depth=3
	s_and_not1_saveexec_b32 s42, s42
; %bb.5768:                             ;   in Loop: Header=BB4_5761 Depth=3
	v_cmp_lt_i16_e32 vcc_lo, -1, v16
	v_cndmask_b32_e32 v16, 0xff800000, v112, vcc_lo
	v_cmp_eq_u32_e32 vcc_lo, 0, v15
	s_delay_alu instid0(VALU_DEP_2)
	v_cndmask_b32_e32 v17, 0x7f800001, v16, vcc_lo
; %bb.5769:                             ;   in Loop: Header=BB4_5761 Depth=3
	s_or_b32 exec_lo, exec_lo, s42
.LBB4_5770:                             ;   in Loop: Header=BB4_5761 Depth=3
	s_delay_alu instid0(SALU_CYCLE_1)
	s_or_b32 exec_lo, exec_lo, s14
.LBB4_5771:                             ;   in Loop: Header=BB4_5761 Depth=3
	s_delay_alu instid0(SALU_CYCLE_1) | instskip(NEXT) | instid1(SALU_CYCLE_1)
	s_or_b32 exec_lo, exec_lo, s13
	s_mov_b32 s13, exec_lo
	s_wait_loadcnt_dscnt 0x0
	v_cmpx_ne_u16_e32 0, v14
	s_cbranch_execz .LBB4_5781
; %bb.5772:                             ;   in Loop: Header=BB4_5761 Depth=3
	v_bfrev_b32_e32 v2, 1
	s_mov_b32 s14, exec_lo
	v_cmpx_ne_u16_e32 0xff80, v14
	s_cbranch_execz .LBB4_5780
; %bb.5773:                             ;   in Loop: Header=BB4_5761 Depth=3
	v_and_b32_e32 v2, 0x7c, v14
	v_and_b32_e32 v15, 3, v14
	s_delay_alu instid0(VALU_DEP_2) | instskip(SKIP_1) | instid1(SALU_CYCLE_1)
	v_cmp_ne_u32_e32 vcc_lo, 0x7c, v2
                                        ; implicit-def: $vgpr2
	s_and_saveexec_b32 s42, vcc_lo
	s_xor_b32 s42, exec_lo, s42
	s_cbranch_execz .LBB4_5777
; %bb.5774:                             ;   in Loop: Header=BB4_5761 Depth=3
	v_and_b32_e32 v2, 0xff, v14
	s_mov_b32 s43, exec_lo
	s_delay_alu instid0(VALU_DEP_1) | instskip(NEXT) | instid1(VALU_DEP_1)
	v_bfe_u32 v2, v2, 2, 5
	v_cmpx_eq_u32_e32 0, v2
	s_cbranch_execz .LBB4_5776
; %bb.5775:                             ;   in Loop: Header=BB4_5761 Depth=3
	v_clz_i32_u32_e32 v2, v15
	s_delay_alu instid0(VALU_DEP_1) | instskip(SKIP_1) | instid1(VALU_DEP_2)
	v_min_u32_e32 v2, 32, v2
	v_mov_b32_e32 v15, v3
	v_subrev_nc_u32_e32 v16, 29, v2
	v_sub_nc_u32_e32 v2, 30, v2
	s_delay_alu instid0(VALU_DEP_2) | instskip(NEXT) | instid1(VALU_DEP_1)
	v_lshlrev_b64_e32 v[20:21], v16, v[14:15]
	v_and_b32_e32 v15, 3, v20
.LBB4_5776:                             ;   in Loop: Header=BB4_5761 Depth=3
	s_or_b32 exec_lo, exec_lo, s43
	v_bfe_i32 v14, v14, 0, 16
	s_delay_alu instid0(VALU_DEP_1) | instskip(NEXT) | instid1(VALU_DEP_1)
	v_and_b32_e32 v14, 0x80000000, v14
	v_lshl_add_u32 v2, v2, 23, v14
                                        ; implicit-def: $vgpr14
	s_delay_alu instid0(VALU_DEP_1) | instskip(NEXT) | instid1(VALU_DEP_1)
	v_lshl_or_b32 v2, v15, 21, v2
                                        ; implicit-def: $vgpr15
	v_add_nc_u32_e32 v2, 0x38000000, v2
.LBB4_5777:                             ;   in Loop: Header=BB4_5761 Depth=3
	s_and_not1_saveexec_b32 s42, s42
; %bb.5778:                             ;   in Loop: Header=BB4_5761 Depth=3
	v_cmp_lt_i16_e32 vcc_lo, -1, v14
	v_cndmask_b32_e32 v2, 0xff800000, v112, vcc_lo
	v_cmp_eq_u32_e32 vcc_lo, 0, v15
	s_delay_alu instid0(VALU_DEP_2)
	v_cndmask_b32_e32 v2, 0x7f800001, v2, vcc_lo
; %bb.5779:                             ;   in Loop: Header=BB4_5761 Depth=3
	s_or_b32 exec_lo, exec_lo, s42
.LBB4_5780:                             ;   in Loop: Header=BB4_5761 Depth=3
	s_delay_alu instid0(SALU_CYCLE_1)
	s_or_b32 exec_lo, exec_lo, s14
.LBB4_5781:                             ;   in Loop: Header=BB4_5761 Depth=3
	s_delay_alu instid0(SALU_CYCLE_1) | instskip(NEXT) | instid1(VALU_DEP_1)
	s_or_b32 exec_lo, exec_lo, s13
	v_dual_mul_f32 v14, v17, v2 :: v_dual_mov_b32 v17, v3
                                        ; implicit-def: $vgpr15
	s_mov_b32 s13, exec_lo
	s_delay_alu instid0(VALU_DEP_1) | instskip(SKIP_1) | instid1(VALU_DEP_2)
	v_and_b32_e32 v16, 0x7f800000, v14
	v_and_b32_e32 v2, 0x7fffff, v14
	v_cmpx_ne_u64_e32 0x7f800000, v[16:17]
	s_xor_b32 s14, exec_lo, s13
	s_cbranch_execz .LBB4_5799
; %bb.5782:                             ;   in Loop: Header=BB4_5761 Depth=3
	v_dual_mov_b32 v17, v3 :: v_dual_lshrrev_b32 v15, 24, v14
	v_and_b32_e32 v16, 0x7fffffff, v14
	s_mov_b32 s13, exec_lo
	s_delay_alu instid0(VALU_DEP_2) | instskip(NEXT) | instid1(VALU_DEP_2)
	v_and_b32_e32 v19, 0x80, v15
                                        ; implicit-def: $vgpr15
	v_cmpx_gt_u64_e32 0x47600001, v[16:17]
	s_xor_b32 s42, exec_lo, s13
	s_cbranch_execz .LBB4_5796
; %bb.5783:                             ;   in Loop: Header=BB4_5761 Depth=3
	v_mov_b32_e32 v15, 0
	s_mov_b32 s43, exec_lo
	v_cmpx_ne_u32_e32 0, v14
	s_cbranch_execz .LBB4_5795
; %bb.5784:                             ;   in Loop: Header=BB4_5761 Depth=3
	v_bfe_u32 v20, v14, 23, 8
	v_or_b32_e32 v16, 0x800000, v2
	s_mov_b32 s73, exec_lo
	s_delay_alu instid0(VALU_DEP_2) | instskip(SKIP_1) | instid1(VALU_DEP_2)
	v_dual_mov_b32 v17, v3 :: v_dual_sub_nc_u32 v14, 0x71, v20
	v_cmp_gt_u32_e32 vcc_lo, 0x72, v20
	v_cndmask_b32_e32 v14, 0, v14, vcc_lo
	v_cmp_eq_u32_e32 vcc_lo, 0, v20
	s_delay_alu instid0(VALU_DEP_2) | instskip(NEXT) | instid1(VALU_DEP_1)
	v_cndmask_b32_e64 v21, v14, 0x70, vcc_lo
	v_dual_cndmask_b32 v16, v16, v2, vcc_lo :: v_dual_add_nc_u32 v14, 21, v21
	v_add_nc_u32_e32 v22, 20, v21
	s_delay_alu instid0(VALU_DEP_2) | instskip(NEXT) | instid1(VALU_DEP_2)
	v_lshlrev_b64_e64 v[14:15], v14, -1
	v_lshlrev_b64_e64 v[22:23], v22, 1
	s_delay_alu instid0(VALU_DEP_2) | instskip(NEXT) | instid1(VALU_DEP_3)
	v_bfi_b32 v25, v15, 0, 0
	v_bfi_b32 v24, v14, 0, v16
	v_lshrrev_b64 v[14:15], v21, v[16:17]
	s_delay_alu instid0(VALU_DEP_1) | instskip(NEXT) | instid1(VALU_DEP_3)
	v_mov_b64_e32 v[16:17], v[14:15]
	v_cmpx_eq_u64_e64 v[24:25], v[22:23]
; %bb.5785:                             ;   in Loop: Header=BB4_5761 Depth=3
	v_bfe_u32 v16, v14, 21, 1
	v_mov_b32_e32 v17, v3
	s_delay_alu instid0(VALU_DEP_1) | instskip(NEXT) | instid1(VALU_DEP_1)
	v_add_nc_u64_e32 v[16:17], v[14:15], v[16:17]
	v_add_nc_u64_e32 v[16:17], -1, v[16:17]
; %bb.5786:                             ;   in Loop: Header=BB4_5761 Depth=3
	s_or_b32 exec_lo, exec_lo, s73
	v_add_nc_u32_e32 v2, 0xffffff81, v20
	s_delay_alu instid0(VALU_DEP_2) | instskip(SKIP_2) | instid1(VALU_DEP_3)
	v_and_b32_e32 v16, 0x1fffff, v16
	v_lshrrev_b32_e32 v15, 23, v14
	s_mov_b32 s13, exec_lo
	v_cndmask_b32_e64 v2, v2, 0xffffff82, vcc_lo
	s_delay_alu instid0(VALU_DEP_1) | instskip(SKIP_1) | instid1(VALU_DEP_2)
	v_add3_u32 v17, v21, v2, v15
	v_add_nc_u32_e32 v2, v16, v14
                                        ; implicit-def: $vgpr14_vgpr15
                                        ; implicit-def: $vgpr16
	v_add_nc_u32_e32 v20, 14, v17
	s_delay_alu instid0(VALU_DEP_1)
	v_cmpx_ne_u32_e32 0, v20
	s_xor_b32 s13, exec_lo, s13
; %bb.5787:                             ;   in Loop: Header=BB4_5761 Depth=3
	s_delay_alu instid0(VALU_DEP_3) | instskip(SKIP_1) | instid1(VALU_DEP_1)
	v_cmp_lt_u64_e32 vcc_lo, 0xffffff, v[2:3]
	v_add_nc_u32_e32 v14, 15, v17
	v_cndmask_b32_e32 v16, v20, v14, vcc_lo
	v_cndmask_b32_e64 v14, 0, 1, vcc_lo
	s_delay_alu instid0(VALU_DEP_1)
	v_lshrrev_b64 v[14:15], v14, v[2:3]
; %bb.5788:                             ;   in Loop: Header=BB4_5761 Depth=3
	s_and_not1_saveexec_b32 s13, s13
; %bb.5789:                             ;   in Loop: Header=BB4_5761 Depth=3
	v_mov_b64_e32 v[14:15], v[2:3]
	v_bfe_u32 v16, v2, 23, 1
; %bb.5790:                             ;   in Loop: Header=BB4_5761 Depth=3
	s_or_b32 exec_lo, exec_lo, s13
	s_delay_alu instid0(VALU_DEP_2) | instskip(NEXT) | instid1(VALU_DEP_2)
	v_lshrrev_b64 v[14:15], 21, v[14:15]
	v_cmp_gt_i32_e32 vcc_lo, 32, v16
	v_cmp_ne_u32_e64 s13, 0, v16
	s_delay_alu instid0(VALU_DEP_3) | instskip(NEXT) | instid1(VALU_DEP_1)
	v_dual_cndmask_b32 v15, 0, v15 :: v_dual_cndmask_b32 v14, 3, v14
	v_cmp_ne_u64_e32 vcc_lo, 0, v[14:15]
                                        ; implicit-def: $vgpr15
	s_or_b32 s13, s13, vcc_lo
	s_delay_alu instid0(SALU_CYCLE_1) | instskip(NEXT) | instid1(SALU_CYCLE_1)
	s_and_saveexec_b32 s73, s13
	s_xor_b32 s13, exec_lo, s73
; %bb.5791:                             ;   in Loop: Header=BB4_5761 Depth=3
	v_min_i32_e32 v2, 31, v16
	s_delay_alu instid0(VALU_DEP_1) | instskip(NEXT) | instid1(VALU_DEP_1)
	v_lshl_or_b32 v2, v2, 2, v19
                                        ; implicit-def: $vgpr19
	v_and_or_b32 v15, v14, 3, v2
; %bb.5792:                             ;   in Loop: Header=BB4_5761 Depth=3
	s_and_not1_saveexec_b32 s13, s13
; %bb.5793:                             ;   in Loop: Header=BB4_5761 Depth=3
	v_mov_b32_e32 v15, v19
; %bb.5794:                             ;   in Loop: Header=BB4_5761 Depth=3
	s_or_b32 exec_lo, exec_lo, s13
.LBB4_5795:                             ;   in Loop: Header=BB4_5761 Depth=3
	s_delay_alu instid0(SALU_CYCLE_1)
	s_or_b32 exec_lo, exec_lo, s43
                                        ; implicit-def: $vgpr19
.LBB4_5796:                             ;   in Loop: Header=BB4_5761 Depth=3
	s_and_not1_saveexec_b32 s13, s42
; %bb.5797:                             ;   in Loop: Header=BB4_5761 Depth=3
	v_or_b32_e32 v15, 0x7b, v19
; %bb.5798:                             ;   in Loop: Header=BB4_5761 Depth=3
	s_or_b32 exec_lo, exec_lo, s13
                                        ; implicit-def: $vgpr14
.LBB4_5799:                             ;   in Loop: Header=BB4_5761 Depth=3
	s_and_not1_saveexec_b32 s13, s14
	s_cbranch_execz .LBB4_5805
; %bb.5800:                             ;   in Loop: Header=BB4_5761 Depth=3
	s_mov_b32 s14, exec_lo
                                        ; implicit-def: $vgpr15
	v_cmpx_ne_u64_e32 0, v[2:3]
	s_xor_b32 s14, exec_lo, s14
; %bb.5801:                             ;   in Loop: Header=BB4_5761 Depth=3
	v_lshrrev_b32_e32 v2, 24, v14
                                        ; implicit-def: $vgpr14
	s_delay_alu instid0(VALU_DEP_1)
	v_or_b32_e32 v15, 0x7f, v2
; %bb.5802:                             ;   in Loop: Header=BB4_5761 Depth=3
	s_and_not1_saveexec_b32 s14, s14
; %bb.5803:                             ;   in Loop: Header=BB4_5761 Depth=3
	v_cmp_lt_i32_e32 vcc_lo, -1, v14
	v_cndmask_b32_e64 v15, -4, 0x7c, vcc_lo
; %bb.5804:                             ;   in Loop: Header=BB4_5761 Depth=3
	s_or_b32 exec_lo, exec_lo, s14
.LBB4_5805:                             ;   in Loop: Header=BB4_5761 Depth=3
	s_delay_alu instid0(SALU_CYCLE_1)
	s_or_b32 exec_lo, exec_lo, s13
	s_mov_b64 s[42:43], 0
	s_mov_b32 s73, -1
.LBB4_5806:                             ;   Parent Loop BB4_47 Depth=1
                                        ;     Parent Loop BB4_3099 Depth=2
                                        ;       Parent Loop BB4_5761 Depth=3
                                        ; =>      This Inner Loop Header: Depth=4
	s_cmp_eq_u32 s42, 1
	s_cselect_b32 vcc_lo, -1, 0
	s_cmp_eq_u32 s42, 0
	s_wait_xcnt 0x0
	v_dual_cndmask_b32 v17, v5, v9 :: v_dual_cndmask_b32 v16, v4, v8
	s_cselect_b32 s13, -1, 0
	s_and_b32 s14, exec_lo, s73
	s_mov_b64 s[42:43], 1
	s_mov_b32 s73, 0
	v_add_nc_u64_e32 v[20:21], 32, v[16:17]
	flat_store_b8 v[16:17], v15 th:TH_STORE_NT
	v_dual_cndmask_b32 v9, v9, v21 :: v_dual_cndmask_b32 v8, v8, v20
	v_dual_cndmask_b32 v5, v5, v21, s13 :: v_dual_cndmask_b32 v4, v4, v20, s13
	s_mov_b32 vcc_lo, s14
	s_cbranch_vccnz .LBB4_5806
; %bb.5807:                             ;   in Loop: Header=BB4_5761 Depth=3
	v_sub_nc_u32_e32 v18, v18, v54
	v_add_nc_u64_e32 v[10:11], v[10:11], v[96:97]
	v_add_nc_u64_e32 v[12:13], v[12:13], v[96:97]
	;; [unrolled: 1-line block ×4, first 2 shown]
	v_cmp_gt_i32_e32 vcc_lo, 1, v18
	s_or_b32 s72, vcc_lo, s72
	s_wait_xcnt 0x0
	s_and_not1_b32 exec_lo, exec_lo, s72
	s_cbranch_execnz .LBB4_5761
.LBB4_5808:                             ;   in Loop: Header=BB4_3099 Depth=2
	s_or_b32 exec_lo, exec_lo, s15
	scratch_load_b64 v[56:57], off, s33 offset:248 ; 8-byte Folded Reload
	s_mov_b32 s13, 0
.LBB4_5809:                             ;   in Loop: Header=BB4_3099 Depth=2
	s_delay_alu instid0(SALU_CYCLE_1)
	s_and_b32 vcc_lo, exec_lo, s13
	s_cbranch_vccz .LBB4_8442
; %bb.5810:                             ;   in Loop: Header=BB4_3099 Depth=2
	s_mov_b32 s13, -1
	s_wait_xcnt 0x0
	s_and_saveexec_b32 s14, s12
	s_cbranch_execz .LBB4_5812
; %bb.5811:                             ;   in Loop: Header=BB4_3099 Depth=2
	ds_load_b32 v2, v0 offset:720
	s_wait_dscnt 0x0
	v_and_b32_e32 v2, 15, v2
	s_delay_alu instid0(VALU_DEP_1)
	v_cmp_eq_u32_e32 vcc_lo, 0, v2
	s_or_not1_b32 s13, vcc_lo, exec_lo
.LBB4_5812:                             ;   in Loop: Header=BB4_3099 Depth=2
	s_or_b32 exec_lo, exec_lo, s14
	s_and_saveexec_b32 s14, s7
	s_cbranch_execz .LBB4_5814
; %bb.5813:                             ;   in Loop: Header=BB4_3099 Depth=2
	ds_load_b32 v2, v0 offset:784
	s_wait_dscnt 0x0
	v_and_b32_e32 v2, 15, v2
	s_delay_alu instid0(VALU_DEP_1) | instskip(SKIP_3) | instid1(SALU_CYCLE_1)
	v_cmp_eq_u32_e32 vcc_lo, 0, v2
	s_and_b32 s15, s13, vcc_lo
	s_and_not1_b32 s13, s13, exec_lo
	s_and_b32 s15, s15, exec_lo
	s_or_b32 s13, s13, s15
.LBB4_5814:                             ;   in Loop: Header=BB4_3099 Depth=2
	s_or_b32 exec_lo, exec_lo, s14
	s_xor_b32 s13, s13, -1
	v_dual_mov_b32 v41, 0 :: v_dual_mov_b32 v43, v88
	v_cndmask_b32_e64 v2, 0, 1, s13
	v_mov_b32_e32 v122, v0
	s_mov_b32 s13, -1
	s_delay_alu instid0(VALU_DEP_2)
	v_cmp_ne_u32_e32 vcc_lo, 0, v2
	v_mov_b32_e32 v2, v119
	s_cbranch_vccz .LBB4_5816
; %bb.5815:                             ;   in Loop: Header=BB4_3099 Depth=2
	s_and_saveexec_b32 s14, s13
	s_cbranch_execnz .LBB4_7685
	s_branch .LBB4_8441
.LBB4_5816:                             ;   in Loop: Header=BB4_3099 Depth=2
	v_ashrrev_i32_e32 v2, 31, v88
	s_mov_b32 s14, exec_lo
	s_delay_alu instid0(VALU_DEP_1) | instskip(NEXT) | instid1(VALU_DEP_1)
	v_lshrrev_b32_e32 v2, 22, v2
	v_add_nc_u32_e32 v2, v88, v2
	s_delay_alu instid0(VALU_DEP_1) | instskip(NEXT) | instid1(VALU_DEP_1)
	v_ashrrev_i32_e32 v27, 10, v2
	v_sub_nc_u32_e32 v26, v27, v119
	s_delay_alu instid0(VALU_DEP_1)
	v_cmpx_lt_i32_e32 0, v26
	s_cbranch_execz .LBB4_7100
; %bb.5817:                             ;   in Loop: Header=BB4_3099 Depth=2
	s_trap 2
	scratch_load_b64 v[8:9], off, s33 offset:216 ; 8-byte Folded Reload
	ds_load_b64 v[4:5], v0
	s_wait_loadcnt 0x1
	v_mov_b64_e32 v[74:75], v[56:57]
	s_mov_b32 s15, 0
	s_wait_loadcnt_dscnt 0x0
	v_add_nc_u64_e32 v[60:61], v[4:5], v[8:9]
	scratch_load_b64 v[4:5], off, s33 offset:224 ; 8-byte Folded Reload
	v_add_nc_u64_e32 v[58:59], v[56:57], v[8:9]
	s_wait_loadcnt 0x0
	v_add_nc_u64_e32 v[62:63], v[4:5], v[8:9]
	s_branch .LBB4_5820
.LBB4_5818:                             ;   in Loop: Header=BB4_5820 Depth=3
	s_or_b32 exec_lo, exec_lo, s42
.LBB4_5819:                             ;   in Loop: Header=BB4_5820 Depth=3
	s_delay_alu instid0(SALU_CYCLE_1)
	s_or_b32 exec_lo, exec_lo, s13
	v_lshl_or_b32 v2, v67, 8, v66
	v_dual_lshlrev_b32 v5, 16, v24 :: v_dual_lshlrev_b32 v11, 16, v30
	v_dual_lshlrev_b32 v8, 24, v20 :: v_dual_lshlrev_b32 v14, 24, v31
	v_lshl_or_b32 v10, v29, 8, v28
	v_lshl_or_b32 v15, v25, 8, v21
	v_dual_lshlrev_b32 v20, 16, v84 :: v_dual_lshlrev_b32 v21, 24, v85
	s_delay_alu instid0(VALU_DEP_4) | instskip(NEXT) | instid1(VALU_DEP_4)
	v_or3_b32 v9, v2, v5, v8
	v_or3_b32 v8, v10, v11, v14
	v_dual_lshlrev_b32 v2, 24, v18 :: v_dual_lshlrev_b32 v5, 16, v41
	v_lshl_or_b32 v11, v117, 8, v116
	v_or3_b32 v10, v15, v20, v21
	v_lshl_or_b32 v14, v102, 8, v101
	v_dual_lshlrev_b32 v15, 16, v16 :: v_dual_lshlrev_b32 v18, 16, v23
	v_dual_lshlrev_b32 v12, 24, v12 :: v_dual_lshlrev_b32 v20, 16, v103
	v_lshl_or_b32 v16, v22, 8, v19
	v_dual_lshlrev_b32 v19, 24, v100 :: v_dual_lshlrev_b32 v21, 24, v43
	v_lshl_or_b32 v17, v17, 8, v13
	;; [unrolled: 2-line block ×3, first 2 shown]
	v_or3_b32 v11, v11, v5, v2
	v_sub_nc_u32_e32 v26, v26, v52
	v_or3_b32 v13, v14, v15, v12
	v_or3_b32 v12, v16, v18, v19
	;; [unrolled: 1-line block ×4, first 2 shown]
	s_clause 0x1
	global_store_b128 v[62:63], v[8:11], off th:TH_STORE_NT
	global_store_b128 v[62:63], v[12:15], off offset:512 th:TH_STORE_NT
	v_add_nc_u64_e32 v[58:59], v[58:59], v[80:81]
	v_add_nc_u64_e32 v[60:61], v[60:61], v[80:81]
	v_cmp_gt_i32_e32 vcc_lo, 1, v26
	s_wait_xcnt 0x0
	v_add_nc_u64_e32 v[62:63], v[62:63], v[80:81]
	s_or_b32 s15, vcc_lo, s15
	s_delay_alu instid0(SALU_CYCLE_1)
	s_and_not1_b32 exec_lo, exec_lo, s15
	s_cbranch_execz .LBB4_7099
.LBB4_5820:                             ;   Parent Loop BB4_47 Depth=1
                                        ;     Parent Loop BB4_3099 Depth=2
                                        ; =>    This Inner Loop Header: Depth=3
	s_clause 0x1
	global_load_b128 v[20:23], v[58:59], off th:TH_LOAD_NT
	global_load_b128 v[12:15], v[58:59], off offset:512 th:TH_LOAD_NT
	s_clause 0x1
	global_load_b128 v[16:19], v[60:61], off th:TH_LOAD_NT
	global_load_b128 v[8:11], v[60:61], off offset:512 th:TH_LOAD_NT
	v_mov_b32_e32 v2, 0
	s_wait_loadcnt 0x3
	v_and_b32_e32 v4, 0xff, v20
	s_delay_alu instid0(VALU_DEP_1)
	v_cmp_ne_u16_e32 vcc_lo, 0, v4
	v_mov_b32_e32 v4, 0
	s_wait_xcnt 0x0
	s_and_saveexec_b32 s13, vcc_lo
	s_cbranch_execz .LBB4_5830
; %bb.5821:                             ;   in Loop: Header=BB4_5820 Depth=3
	v_bfe_i32 v24, v20, 0, 8
	v_bfrev_b32_e32 v4, 1
	s_mov_b32 s42, exec_lo
	s_delay_alu instid0(VALU_DEP_2)
	v_cmpx_ne_u16_e32 0xff80, v24
	s_cbranch_execz .LBB4_5829
; %bb.5822:                             ;   in Loop: Header=BB4_5820 Depth=3
	v_and_b32_e32 v4, 0x7c, v20
	v_and_b32_e32 v5, 3, v20
	s_delay_alu instid0(VALU_DEP_2) | instskip(SKIP_1) | instid1(SALU_CYCLE_1)
	v_cmp_ne_u32_e32 vcc_lo, 0x7c, v4
                                        ; implicit-def: $vgpr4
	s_and_saveexec_b32 s43, vcc_lo
	s_xor_b32 s43, exec_lo, s43
	s_cbranch_execz .LBB4_5826
; %bb.5823:                             ;   in Loop: Header=BB4_5820 Depth=3
	v_bfe_u32 v4, v20, 2, 5
	s_mov_b32 s72, exec_lo
	s_delay_alu instid0(VALU_DEP_1)
	v_cmpx_eq_u32_e32 0, v4
; %bb.5824:                             ;   in Loop: Header=BB4_5820 Depth=3
	v_clz_i32_u32_e32 v4, v5
	s_delay_alu instid0(VALU_DEP_1) | instskip(NEXT) | instid1(VALU_DEP_1)
	v_min_u32_e32 v4, 32, v4
	v_subrev_nc_u32_e32 v5, 29, v4
	v_sub_nc_u32_e32 v4, 30, v4
	s_delay_alu instid0(VALU_DEP_2) | instskip(NEXT) | instid1(VALU_DEP_1)
	v_lshlrev_b64_e32 v[24:25], v5, v[20:21]
	v_and_b32_e32 v5, 3, v24
; %bb.5825:                             ;   in Loop: Header=BB4_5820 Depth=3
	s_or_b32 exec_lo, exec_lo, s72
	v_lshlrev_b32_e32 v24, 24, v20
	s_delay_alu instid0(VALU_DEP_1) | instskip(NEXT) | instid1(VALU_DEP_1)
	v_and_b32_e32 v24, 0x80000000, v24
	v_lshl_add_u32 v4, v4, 23, v24
                                        ; implicit-def: $vgpr24
	s_delay_alu instid0(VALU_DEP_1) | instskip(NEXT) | instid1(VALU_DEP_1)
	v_lshl_or_b32 v4, v5, 21, v4
                                        ; implicit-def: $vgpr5
	v_add_nc_u32_e32 v4, 0x38000000, v4
.LBB4_5826:                             ;   in Loop: Header=BB4_5820 Depth=3
	s_and_not1_saveexec_b32 s43, s43
; %bb.5827:                             ;   in Loop: Header=BB4_5820 Depth=3
	v_cmp_lt_i16_e32 vcc_lo, -1, v24
	v_cndmask_b32_e32 v4, 0xff800000, v112, vcc_lo
	v_cmp_eq_u32_e32 vcc_lo, 0, v5
	s_delay_alu instid0(VALU_DEP_2)
	v_cndmask_b32_e32 v4, 0x7f800001, v4, vcc_lo
; %bb.5828:                             ;   in Loop: Header=BB4_5820 Depth=3
	s_or_b32 exec_lo, exec_lo, s43
.LBB4_5829:                             ;   in Loop: Header=BB4_5820 Depth=3
	s_delay_alu instid0(SALU_CYCLE_1)
	s_or_b32 exec_lo, exec_lo, s42
.LBB4_5830:                             ;   in Loop: Header=BB4_5820 Depth=3
	s_delay_alu instid0(SALU_CYCLE_1) | instskip(SKIP_3) | instid1(VALU_DEP_1)
	s_or_b32 exec_lo, exec_lo, s13
	s_wait_loadcnt 0x1
	v_and_b32_e32 v5, 0xff, v16
	s_mov_b32 s13, exec_lo
	v_cmpx_ne_u16_e32 0, v5
	s_cbranch_execz .LBB4_5840
; %bb.5831:                             ;   in Loop: Header=BB4_5820 Depth=3
	v_bfe_i32 v24, v16, 0, 8
	v_bfrev_b32_e32 v2, 1
	s_mov_b32 s42, exec_lo
	s_delay_alu instid0(VALU_DEP_2)
	v_cmpx_ne_u16_e32 0xff80, v24
	s_cbranch_execz .LBB4_5839
; %bb.5832:                             ;   in Loop: Header=BB4_5820 Depth=3
	v_and_b32_e32 v2, 0x7c, v16
	v_and_b32_e32 v5, 3, v16
	s_delay_alu instid0(VALU_DEP_2) | instskip(SKIP_1) | instid1(SALU_CYCLE_1)
	v_cmp_ne_u32_e32 vcc_lo, 0x7c, v2
                                        ; implicit-def: $vgpr2
	s_and_saveexec_b32 s43, vcc_lo
	s_xor_b32 s43, exec_lo, s43
	s_cbranch_execz .LBB4_5836
; %bb.5833:                             ;   in Loop: Header=BB4_5820 Depth=3
	v_bfe_u32 v2, v16, 2, 5
	s_mov_b32 s72, exec_lo
	s_delay_alu instid0(VALU_DEP_1)
	v_cmpx_eq_u32_e32 0, v2
; %bb.5834:                             ;   in Loop: Header=BB4_5820 Depth=3
	v_clz_i32_u32_e32 v2, v5
	s_delay_alu instid0(VALU_DEP_1) | instskip(NEXT) | instid1(VALU_DEP_1)
	v_min_u32_e32 v2, 32, v2
	v_subrev_nc_u32_e32 v5, 29, v2
	s_delay_alu instid0(VALU_DEP_1) | instskip(NEXT) | instid1(VALU_DEP_1)
	v_lshlrev_b64_e32 v[24:25], v5, v[16:17]
	v_dual_sub_nc_u32 v2, 30, v2 :: v_dual_bitop2_b32 v5, 3, v24 bitop3:0x40
; %bb.5835:                             ;   in Loop: Header=BB4_5820 Depth=3
	s_or_b32 exec_lo, exec_lo, s72
	v_lshlrev_b32_e32 v24, 24, v16
	s_delay_alu instid0(VALU_DEP_1) | instskip(NEXT) | instid1(VALU_DEP_1)
	v_and_b32_e32 v24, 0x80000000, v24
	v_lshl_add_u32 v2, v2, 23, v24
                                        ; implicit-def: $vgpr24
	s_delay_alu instid0(VALU_DEP_1) | instskip(NEXT) | instid1(VALU_DEP_1)
	v_lshl_or_b32 v2, v5, 21, v2
                                        ; implicit-def: $vgpr5
	v_add_nc_u32_e32 v2, 0x38000000, v2
.LBB4_5836:                             ;   in Loop: Header=BB4_5820 Depth=3
	s_and_not1_saveexec_b32 s43, s43
; %bb.5837:                             ;   in Loop: Header=BB4_5820 Depth=3
	v_cmp_lt_i16_e32 vcc_lo, -1, v24
	v_cndmask_b32_e32 v2, 0xff800000, v112, vcc_lo
	v_cmp_eq_u32_e32 vcc_lo, 0, v5
	s_delay_alu instid0(VALU_DEP_2)
	v_cndmask_b32_e32 v2, 0x7f800001, v2, vcc_lo
; %bb.5838:                             ;   in Loop: Header=BB4_5820 Depth=3
	s_or_b32 exec_lo, exec_lo, s43
.LBB4_5839:                             ;   in Loop: Header=BB4_5820 Depth=3
	s_delay_alu instid0(SALU_CYCLE_1)
	s_or_b32 exec_lo, exec_lo, s42
.LBB4_5840:                             ;   in Loop: Header=BB4_5820 Depth=3
	s_delay_alu instid0(SALU_CYCLE_1) | instskip(NEXT) | instid1(VALU_DEP_1)
	s_or_b32 exec_lo, exec_lo, s13
	v_dual_mul_f32 v4, v4, v2 :: v_dual_mov_b32 v25, v3
                                        ; implicit-def: $vgpr28
	s_mov_b32 s13, exec_lo
	s_delay_alu instid0(VALU_DEP_1) | instskip(SKIP_2) | instid1(VALU_DEP_3)
	v_and_b32_e32 v24, 0x7f800000, v4
	v_and_b32_e32 v2, 0x7fffff, v4
	v_lshrrev_b32_e32 v5, 24, v4
	v_cmpx_ne_u64_e32 0x7f800000, v[24:25]
	s_xor_b32 s42, exec_lo, s13
	s_cbranch_execz .LBB4_5854
; %bb.5841:                             ;   in Loop: Header=BB4_5820 Depth=3
	v_and_b32_e32 v24, 0x7fffffff, v4
	v_mov_b32_e32 v25, v3
	v_and_b32_e32 v29, 0x80, v5
                                        ; implicit-def: $vgpr28
	s_mov_b32 s13, exec_lo
	s_delay_alu instid0(VALU_DEP_2)
	v_cmpx_gt_u64_e32 0x47600001, v[24:25]
	s_xor_b32 s43, exec_lo, s13
	s_cbranch_execz .LBB4_5851
; %bb.5842:                             ;   in Loop: Header=BB4_5820 Depth=3
	v_mov_b32_e32 v28, 0
	s_mov_b32 s72, exec_lo
	v_cmpx_ne_u32_e32 0, v4
	s_cbranch_execz .LBB4_5850
; %bb.5843:                             ;   in Loop: Header=BB4_5820 Depth=3
	v_bfe_u32 v28, v4, 23, 8
	v_or_b32_e32 v24, 0x800000, v2
	s_mov_b32 s73, exec_lo
	s_delay_alu instid0(VALU_DEP_2) | instskip(SKIP_1) | instid1(VALU_DEP_2)
	v_dual_mov_b32 v25, v3 :: v_dual_sub_nc_u32 v4, 0x71, v28
	v_cmp_gt_u32_e32 vcc_lo, 0x72, v28
	v_cndmask_b32_e32 v4, 0, v4, vcc_lo
	v_cmp_eq_u32_e32 vcc_lo, 0, v28
	s_delay_alu instid0(VALU_DEP_2) | instskip(SKIP_1) | instid1(VALU_DEP_2)
	v_cndmask_b32_e64 v30, v4, 0x70, vcc_lo
	v_cndmask_b32_e32 v24, v24, v2, vcc_lo
	v_dual_add_nc_u32 v4, 21, v30 :: v_dual_add_nc_u32 v31, 20, v30
	s_delay_alu instid0(VALU_DEP_1) | instskip(NEXT) | instid1(VALU_DEP_2)
	v_lshlrev_b64_e64 v[4:5], v4, -1
	v_lshlrev_b64_e64 v[66:67], v31, 1
	s_delay_alu instid0(VALU_DEP_2) | instskip(NEXT) | instid1(VALU_DEP_3)
	v_bfi_b32 v85, v5, 0, 0
	v_bfi_b32 v84, v4, 0, v24
	v_lshrrev_b64 v[4:5], v30, v[24:25]
	s_delay_alu instid0(VALU_DEP_1) | instskip(NEXT) | instid1(VALU_DEP_3)
	v_mov_b64_e32 v[24:25], v[4:5]
	v_cmpx_eq_u64_e64 v[84:85], v[66:67]
; %bb.5844:                             ;   in Loop: Header=BB4_5820 Depth=3
	v_bfe_u32 v24, v4, 21, 1
	v_mov_b32_e32 v25, v3
	s_delay_alu instid0(VALU_DEP_1) | instskip(NEXT) | instid1(VALU_DEP_1)
	v_add_nc_u64_e32 v[24:25], v[4:5], v[24:25]
	v_add_nc_u64_e32 v[24:25], -1, v[24:25]
; %bb.5845:                             ;   in Loop: Header=BB4_5820 Depth=3
	s_or_b32 exec_lo, exec_lo, s73
	v_add_nc_u32_e32 v2, 0xffffff81, v28
	v_lshrrev_b32_e32 v5, 23, v4
	s_mov_b32 s13, exec_lo
	s_delay_alu instid0(VALU_DEP_2) | instskip(NEXT) | instid1(VALU_DEP_1)
	v_cndmask_b32_e64 v2, v2, 0xffffff82, vcc_lo
	v_add3_u32 v25, v30, v2, v5
	v_and_b32_e32 v2, 0x1fffff, v24
                                        ; implicit-def: $vgpr24
	s_delay_alu instid0(VALU_DEP_1) | instskip(NEXT) | instid1(VALU_DEP_1)
	v_dual_add_nc_u32 v28, 14, v25 :: v_dual_add_nc_u32 v2, v2, v4
                                        ; implicit-def: $vgpr4_vgpr5
	v_cmpx_ne_u32_e32 0, v28
	s_xor_b32 s13, exec_lo, s13
; %bb.5846:                             ;   in Loop: Header=BB4_5820 Depth=3
	s_delay_alu instid0(VALU_DEP_2) | instskip(SKIP_1) | instid1(VALU_DEP_1)
	v_cmp_lt_u64_e32 vcc_lo, 0xffffff, v[2:3]
	v_add_nc_u32_e32 v4, 15, v25
	v_cndmask_b32_e32 v24, v28, v4, vcc_lo
	v_cndmask_b32_e64 v4, 0, 1, vcc_lo
	s_delay_alu instid0(VALU_DEP_1)
	v_lshrrev_b64 v[4:5], v4, v[2:3]
; %bb.5847:                             ;   in Loop: Header=BB4_5820 Depth=3
	s_and_not1_saveexec_b32 s13, s13
; %bb.5848:                             ;   in Loop: Header=BB4_5820 Depth=3
	v_mov_b64_e32 v[4:5], v[2:3]
	v_bfe_u32 v24, v2, 23, 1
; %bb.5849:                             ;   in Loop: Header=BB4_5820 Depth=3
	s_or_b32 exec_lo, exec_lo, s13
	s_delay_alu instid0(VALU_DEP_2) | instskip(NEXT) | instid1(VALU_DEP_2)
	v_lshrrev_b64 v[4:5], 21, v[4:5]
	v_cmp_gt_i32_e32 vcc_lo, 32, v24
	v_min_i32_e32 v2, 31, v24
	v_cmp_eq_u32_e64 s13, 0, v24
	s_delay_alu instid0(VALU_DEP_2) | instskip(SKIP_1) | instid1(VALU_DEP_2)
	v_dual_cndmask_b32 v5, 0, v5 :: v_dual_lshlrev_b32 v2, 2, v2
	v_cndmask_b32_e32 v4, 3, v4, vcc_lo
	v_and_b32_e32 v2, 0xfc, v2
	s_delay_alu instid0(VALU_DEP_2) | instskip(NEXT) | instid1(VALU_DEP_2)
	v_cmp_eq_u64_e32 vcc_lo, 0, v[4:5]
	v_and_or_b32 v2, v4, 3, v2
	s_and_b32 s13, s13, vcc_lo
	s_delay_alu instid0(VALU_DEP_1) | instid1(SALU_CYCLE_1)
	v_cndmask_b32_e64 v2, v2, 0, s13
	s_delay_alu instid0(VALU_DEP_1)
	v_or_b32_e32 v28, v2, v29
.LBB4_5850:                             ;   in Loop: Header=BB4_5820 Depth=3
	s_or_b32 exec_lo, exec_lo, s72
                                        ; implicit-def: $vgpr29
.LBB4_5851:                             ;   in Loop: Header=BB4_5820 Depth=3
	s_and_not1_saveexec_b32 s13, s43
; %bb.5852:                             ;   in Loop: Header=BB4_5820 Depth=3
	v_or_b32_e32 v28, 0x7b, v29
; %bb.5853:                             ;   in Loop: Header=BB4_5820 Depth=3
	s_or_b32 exec_lo, exec_lo, s13
                                        ; implicit-def: $vgpr4
                                        ; implicit-def: $vgpr5
.LBB4_5854:                             ;   in Loop: Header=BB4_5820 Depth=3
	s_and_not1_saveexec_b32 s13, s42
	s_cbranch_execz .LBB4_5860
; %bb.5855:                             ;   in Loop: Header=BB4_5820 Depth=3
	s_mov_b32 s42, exec_lo
                                        ; implicit-def: $vgpr28
	v_cmpx_ne_u64_e32 0, v[2:3]
	s_xor_b32 s42, exec_lo, s42
; %bb.5856:                             ;   in Loop: Header=BB4_5820 Depth=3
	v_or_b32_e32 v28, 0x7f, v5
                                        ; implicit-def: $vgpr4
; %bb.5857:                             ;   in Loop: Header=BB4_5820 Depth=3
	s_and_not1_saveexec_b32 s42, s42
; %bb.5858:                             ;   in Loop: Header=BB4_5820 Depth=3
	v_cmp_lt_i32_e32 vcc_lo, -1, v4
	v_cndmask_b32_e32 v28, 0xfc, v113, vcc_lo
; %bb.5859:                             ;   in Loop: Header=BB4_5820 Depth=3
	s_or_b32 exec_lo, exec_lo, s42
.LBB4_5860:                             ;   in Loop: Header=BB4_5820 Depth=3
	s_delay_alu instid0(SALU_CYCLE_1) | instskip(SKIP_3) | instid1(VALU_DEP_2)
	s_or_b32 exec_lo, exec_lo, s13
	v_lshrrev_b16 v4, 8, v20
	v_dual_mov_b32 v2, 0 :: v_dual_mov_b32 v24, 0
	s_mov_b32 s13, exec_lo
	v_cmpx_ne_u16_e32 0, v4
	s_cbranch_execz .LBB4_5870
; %bb.5861:                             ;   in Loop: Header=BB4_5820 Depth=3
	v_bfrev_b32_e32 v24, 1
	s_mov_b32 s42, exec_lo
	v_cmpx_ne_u16_e32 0x80, v4
	s_cbranch_execz .LBB4_5869
; %bb.5862:                             ;   in Loop: Header=BB4_5820 Depth=3
	v_and_b32_e32 v25, 0xffff, v4
	s_delay_alu instid0(VALU_DEP_1) | instskip(SKIP_1) | instid1(VALU_DEP_2)
	v_and_b32_e32 v24, 0x7c, v25
	v_and_b32_e32 v5, 3, v25
	v_cmp_ne_u32_e32 vcc_lo, 0x7c, v24
                                        ; implicit-def: $vgpr24
	s_and_saveexec_b32 s43, vcc_lo
	s_delay_alu instid0(SALU_CYCLE_1)
	s_xor_b32 s43, exec_lo, s43
	s_cbranch_execz .LBB4_5866
; %bb.5863:                             ;   in Loop: Header=BB4_5820 Depth=3
	v_bfe_u32 v24, v25, 2, 5
	s_mov_b32 s72, exec_lo
	s_delay_alu instid0(VALU_DEP_1)
	v_cmpx_eq_u32_e32 0, v24
	s_cbranch_execz .LBB4_5865
; %bb.5864:                             ;   in Loop: Header=BB4_5820 Depth=3
	v_clz_i32_u32_e32 v5, v5
	s_delay_alu instid0(VALU_DEP_1) | instskip(SKIP_1) | instid1(VALU_DEP_2)
	v_min_u32_e32 v24, 32, v5
	v_mov_b32_e32 v5, v3
	v_subrev_nc_u32_e32 v25, 29, v24
	v_sub_nc_u32_e32 v24, 30, v24
	s_delay_alu instid0(VALU_DEP_2) | instskip(NEXT) | instid1(VALU_DEP_1)
	v_lshlrev_b64_e32 v[4:5], v25, v[4:5]
	v_and_b32_e32 v5, 3, v4
.LBB4_5865:                             ;   in Loop: Header=BB4_5820 Depth=3
	s_or_b32 exec_lo, exec_lo, s72
	v_lshlrev_b32_e32 v4, 16, v20
	s_delay_alu instid0(VALU_DEP_1) | instskip(NEXT) | instid1(VALU_DEP_1)
	v_and_b32_e32 v4, 0x80000000, v4
	v_lshl_add_u32 v4, v24, 23, v4
	s_delay_alu instid0(VALU_DEP_1) | instskip(NEXT) | instid1(VALU_DEP_1)
	v_lshl_or_b32 v4, v5, 21, v4
                                        ; implicit-def: $vgpr5
	v_add_nc_u32_e32 v24, 0x38000000, v4
.LBB4_5866:                             ;   in Loop: Header=BB4_5820 Depth=3
	s_and_not1_saveexec_b32 s43, s43
; %bb.5867:                             ;   in Loop: Header=BB4_5820 Depth=3
	v_cmp_lt_i16_e32 vcc_lo, -1, v20
	v_cndmask_b32_e32 v4, 0xff800000, v112, vcc_lo
	v_cmp_eq_u32_e32 vcc_lo, 0, v5
	s_delay_alu instid0(VALU_DEP_2)
	v_cndmask_b32_e32 v24, 0x7f800001, v4, vcc_lo
; %bb.5868:                             ;   in Loop: Header=BB4_5820 Depth=3
	s_or_b32 exec_lo, exec_lo, s43
.LBB4_5869:                             ;   in Loop: Header=BB4_5820 Depth=3
	s_delay_alu instid0(SALU_CYCLE_1)
	s_or_b32 exec_lo, exec_lo, s42
.LBB4_5870:                             ;   in Loop: Header=BB4_5820 Depth=3
	s_delay_alu instid0(SALU_CYCLE_1) | instskip(SKIP_2) | instid1(VALU_DEP_1)
	s_or_b32 exec_lo, exec_lo, s13
	v_lshrrev_b16 v4, 8, v16
	s_mov_b32 s13, exec_lo
	v_cmpx_ne_u16_e32 0, v4
	s_cbranch_execz .LBB4_5880
; %bb.5871:                             ;   in Loop: Header=BB4_5820 Depth=3
	v_bfrev_b32_e32 v2, 1
	s_mov_b32 s42, exec_lo
	v_cmpx_ne_u16_e32 0x80, v4
	s_cbranch_execz .LBB4_5879
; %bb.5872:                             ;   in Loop: Header=BB4_5820 Depth=3
	v_and_b32_e32 v25, 0xffff, v4
	s_delay_alu instid0(VALU_DEP_1) | instskip(SKIP_1) | instid1(VALU_DEP_2)
	v_and_b32_e32 v2, 0x7c, v25
	v_and_b32_e32 v5, 3, v25
	v_cmp_ne_u32_e32 vcc_lo, 0x7c, v2
                                        ; implicit-def: $vgpr2
	s_and_saveexec_b32 s43, vcc_lo
	s_delay_alu instid0(SALU_CYCLE_1)
	s_xor_b32 s43, exec_lo, s43
	s_cbranch_execz .LBB4_5876
; %bb.5873:                             ;   in Loop: Header=BB4_5820 Depth=3
	v_bfe_u32 v2, v25, 2, 5
	s_mov_b32 s72, exec_lo
	s_delay_alu instid0(VALU_DEP_1)
	v_cmpx_eq_u32_e32 0, v2
	s_cbranch_execz .LBB4_5875
; %bb.5874:                             ;   in Loop: Header=BB4_5820 Depth=3
	v_clz_i32_u32_e32 v2, v5
	s_delay_alu instid0(VALU_DEP_1) | instskip(SKIP_1) | instid1(VALU_DEP_2)
	v_min_u32_e32 v2, 32, v2
	v_mov_b32_e32 v5, v3
	v_subrev_nc_u32_e32 v25, 29, v2
	v_sub_nc_u32_e32 v2, 30, v2
	s_delay_alu instid0(VALU_DEP_2) | instskip(NEXT) | instid1(VALU_DEP_1)
	v_lshlrev_b64_e32 v[4:5], v25, v[4:5]
	v_and_b32_e32 v5, 3, v4
.LBB4_5875:                             ;   in Loop: Header=BB4_5820 Depth=3
	s_or_b32 exec_lo, exec_lo, s72
	v_lshlrev_b32_e32 v4, 16, v16
	s_delay_alu instid0(VALU_DEP_1) | instskip(NEXT) | instid1(VALU_DEP_1)
	v_and_b32_e32 v4, 0x80000000, v4
	v_lshl_add_u32 v2, v2, 23, v4
	s_delay_alu instid0(VALU_DEP_1) | instskip(NEXT) | instid1(VALU_DEP_1)
	v_lshl_or_b32 v2, v5, 21, v2
                                        ; implicit-def: $vgpr5
	v_add_nc_u32_e32 v2, 0x38000000, v2
.LBB4_5876:                             ;   in Loop: Header=BB4_5820 Depth=3
	s_and_not1_saveexec_b32 s43, s43
; %bb.5877:                             ;   in Loop: Header=BB4_5820 Depth=3
	v_cmp_lt_i16_e32 vcc_lo, -1, v16
	v_cndmask_b32_e32 v2, 0xff800000, v112, vcc_lo
	v_cmp_eq_u32_e32 vcc_lo, 0, v5
	s_delay_alu instid0(VALU_DEP_2)
	v_cndmask_b32_e32 v2, 0x7f800001, v2, vcc_lo
; %bb.5878:                             ;   in Loop: Header=BB4_5820 Depth=3
	s_or_b32 exec_lo, exec_lo, s43
.LBB4_5879:                             ;   in Loop: Header=BB4_5820 Depth=3
	s_delay_alu instid0(SALU_CYCLE_1)
	s_or_b32 exec_lo, exec_lo, s42
.LBB4_5880:                             ;   in Loop: Header=BB4_5820 Depth=3
	s_delay_alu instid0(SALU_CYCLE_1) | instskip(NEXT) | instid1(VALU_DEP_1)
	s_or_b32 exec_lo, exec_lo, s13
	v_dual_mul_f32 v4, v24, v2 :: v_dual_mov_b32 v25, v3
                                        ; implicit-def: $vgpr29
	s_mov_b32 s13, exec_lo
	s_delay_alu instid0(VALU_DEP_1) | instskip(SKIP_2) | instid1(VALU_DEP_3)
	v_and_b32_e32 v24, 0x7f800000, v4
	v_and_b32_e32 v2, 0x7fffff, v4
	v_lshrrev_b32_e32 v5, 24, v4
	v_cmpx_ne_u64_e32 0x7f800000, v[24:25]
	s_xor_b32 s42, exec_lo, s13
	s_cbranch_execz .LBB4_5894
; %bb.5881:                             ;   in Loop: Header=BB4_5820 Depth=3
	v_and_b32_e32 v24, 0x7fffffff, v4
	v_mov_b32_e32 v25, v3
	v_and_b32_e32 v30, 0x80, v5
                                        ; implicit-def: $vgpr29
	s_mov_b32 s13, exec_lo
	s_delay_alu instid0(VALU_DEP_2)
	v_cmpx_gt_u64_e32 0x47600001, v[24:25]
	s_xor_b32 s43, exec_lo, s13
	s_cbranch_execz .LBB4_5891
; %bb.5882:                             ;   in Loop: Header=BB4_5820 Depth=3
	v_mov_b32_e32 v29, 0
	s_mov_b32 s72, exec_lo
	v_cmpx_ne_u32_e32 0, v4
	s_cbranch_execz .LBB4_5890
; %bb.5883:                             ;   in Loop: Header=BB4_5820 Depth=3
	v_bfe_u32 v29, v4, 23, 8
	v_or_b32_e32 v24, 0x800000, v2
	s_mov_b32 s73, exec_lo
	s_delay_alu instid0(VALU_DEP_2) | instskip(SKIP_1) | instid1(VALU_DEP_2)
	v_dual_mov_b32 v25, v3 :: v_dual_sub_nc_u32 v4, 0x71, v29
	v_cmp_gt_u32_e32 vcc_lo, 0x72, v29
	v_cndmask_b32_e32 v4, 0, v4, vcc_lo
	v_cmp_eq_u32_e32 vcc_lo, 0, v29
	s_delay_alu instid0(VALU_DEP_2) | instskip(NEXT) | instid1(VALU_DEP_1)
	v_cndmask_b32_e64 v31, v4, 0x70, vcc_lo
	v_dual_cndmask_b32 v24, v24, v2, vcc_lo :: v_dual_add_nc_u32 v4, 21, v31
	v_add_nc_u32_e32 v66, 20, v31
	s_delay_alu instid0(VALU_DEP_2) | instskip(NEXT) | instid1(VALU_DEP_2)
	v_lshlrev_b64_e64 v[4:5], v4, -1
	v_lshlrev_b64_e64 v[66:67], v66, 1
	s_delay_alu instid0(VALU_DEP_2) | instskip(NEXT) | instid1(VALU_DEP_3)
	v_bfi_b32 v85, v5, 0, 0
	v_bfi_b32 v84, v4, 0, v24
	v_lshrrev_b64 v[4:5], v31, v[24:25]
	s_delay_alu instid0(VALU_DEP_1) | instskip(NEXT) | instid1(VALU_DEP_3)
	v_mov_b64_e32 v[24:25], v[4:5]
	v_cmpx_eq_u64_e64 v[84:85], v[66:67]
; %bb.5884:                             ;   in Loop: Header=BB4_5820 Depth=3
	v_bfe_u32 v24, v4, 21, 1
	v_mov_b32_e32 v25, v3
	s_delay_alu instid0(VALU_DEP_1) | instskip(NEXT) | instid1(VALU_DEP_1)
	v_add_nc_u64_e32 v[24:25], v[4:5], v[24:25]
	v_add_nc_u64_e32 v[24:25], -1, v[24:25]
; %bb.5885:                             ;   in Loop: Header=BB4_5820 Depth=3
	s_or_b32 exec_lo, exec_lo, s73
	v_add_nc_u32_e32 v2, 0xffffff81, v29
	v_lshrrev_b32_e32 v5, 23, v4
	s_mov_b32 s13, exec_lo
	s_delay_alu instid0(VALU_DEP_2) | instskip(NEXT) | instid1(VALU_DEP_1)
	v_cndmask_b32_e64 v2, v2, 0xffffff82, vcc_lo
	v_add3_u32 v25, v31, v2, v5
	v_and_b32_e32 v2, 0x1fffff, v24
                                        ; implicit-def: $vgpr24
	s_delay_alu instid0(VALU_DEP_1) | instskip(NEXT) | instid1(VALU_DEP_1)
	v_dual_add_nc_u32 v29, 14, v25 :: v_dual_add_nc_u32 v2, v2, v4
                                        ; implicit-def: $vgpr4_vgpr5
	v_cmpx_ne_u32_e32 0, v29
	s_xor_b32 s13, exec_lo, s13
; %bb.5886:                             ;   in Loop: Header=BB4_5820 Depth=3
	s_delay_alu instid0(VALU_DEP_2) | instskip(SKIP_1) | instid1(VALU_DEP_1)
	v_cmp_lt_u64_e32 vcc_lo, 0xffffff, v[2:3]
	v_add_nc_u32_e32 v4, 15, v25
	v_cndmask_b32_e32 v24, v29, v4, vcc_lo
	v_cndmask_b32_e64 v4, 0, 1, vcc_lo
	s_delay_alu instid0(VALU_DEP_1)
	v_lshrrev_b64 v[4:5], v4, v[2:3]
; %bb.5887:                             ;   in Loop: Header=BB4_5820 Depth=3
	s_and_not1_saveexec_b32 s13, s13
; %bb.5888:                             ;   in Loop: Header=BB4_5820 Depth=3
	v_mov_b64_e32 v[4:5], v[2:3]
	v_bfe_u32 v24, v2, 23, 1
; %bb.5889:                             ;   in Loop: Header=BB4_5820 Depth=3
	s_or_b32 exec_lo, exec_lo, s13
	s_delay_alu instid0(VALU_DEP_2) | instskip(NEXT) | instid1(VALU_DEP_2)
	v_lshrrev_b64 v[4:5], 21, v[4:5]
	v_cmp_gt_i32_e32 vcc_lo, 32, v24
	v_min_i32_e32 v2, 31, v24
	v_cmp_eq_u32_e64 s13, 0, v24
	s_delay_alu instid0(VALU_DEP_2) | instskip(SKIP_1) | instid1(VALU_DEP_2)
	v_dual_cndmask_b32 v5, 0, v5 :: v_dual_lshlrev_b32 v2, 2, v2
	v_cndmask_b32_e32 v4, 3, v4, vcc_lo
	v_and_b32_e32 v2, 0xfc, v2
	s_delay_alu instid0(VALU_DEP_2) | instskip(NEXT) | instid1(VALU_DEP_2)
	v_cmp_eq_u64_e32 vcc_lo, 0, v[4:5]
	v_and_or_b32 v2, v4, 3, v2
	s_and_b32 s13, s13, vcc_lo
	s_delay_alu instid0(VALU_DEP_1) | instid1(SALU_CYCLE_1)
	v_cndmask_b32_e64 v2, v2, 0, s13
	s_delay_alu instid0(VALU_DEP_1)
	v_or_b32_e32 v29, v2, v30
.LBB4_5890:                             ;   in Loop: Header=BB4_5820 Depth=3
	s_or_b32 exec_lo, exec_lo, s72
                                        ; implicit-def: $vgpr30
.LBB4_5891:                             ;   in Loop: Header=BB4_5820 Depth=3
	s_and_not1_saveexec_b32 s13, s43
; %bb.5892:                             ;   in Loop: Header=BB4_5820 Depth=3
	v_or_b32_e32 v29, 0x7b, v30
; %bb.5893:                             ;   in Loop: Header=BB4_5820 Depth=3
	s_or_b32 exec_lo, exec_lo, s13
                                        ; implicit-def: $vgpr4
                                        ; implicit-def: $vgpr5
.LBB4_5894:                             ;   in Loop: Header=BB4_5820 Depth=3
	s_and_not1_saveexec_b32 s13, s42
	s_cbranch_execz .LBB4_5900
; %bb.5895:                             ;   in Loop: Header=BB4_5820 Depth=3
	s_mov_b32 s42, exec_lo
                                        ; implicit-def: $vgpr29
	v_cmpx_ne_u64_e32 0, v[2:3]
	s_xor_b32 s42, exec_lo, s42
; %bb.5896:                             ;   in Loop: Header=BB4_5820 Depth=3
	v_or_b32_e32 v29, 0x7f, v5
                                        ; implicit-def: $vgpr4
; %bb.5897:                             ;   in Loop: Header=BB4_5820 Depth=3
	s_and_not1_saveexec_b32 s42, s42
; %bb.5898:                             ;   in Loop: Header=BB4_5820 Depth=3
	v_cmp_lt_i32_e32 vcc_lo, -1, v4
	v_cndmask_b32_e32 v29, 0xfc, v113, vcc_lo
; %bb.5899:                             ;   in Loop: Header=BB4_5820 Depth=3
	s_or_b32 exec_lo, exec_lo, s42
.LBB4_5900:                             ;   in Loop: Header=BB4_5820 Depth=3
	s_delay_alu instid0(SALU_CYCLE_1) | instskip(SKIP_3) | instid1(VALU_DEP_2)
	s_or_b32 exec_lo, exec_lo, s13
	v_dual_lshrrev_b32 v2, 16, v20 :: v_dual_mov_b32 v4, 0
	v_mov_b32_e32 v5, 0
	s_mov_b32 s13, exec_lo
	v_and_b32_e32 v24, 0xff, v2
	s_delay_alu instid0(VALU_DEP_1)
	v_cmpx_ne_u16_e32 0, v24
	s_cbranch_execz .LBB4_5910
; %bb.5901:                             ;   in Loop: Header=BB4_5820 Depth=3
	v_bfrev_b32_e32 v5, 1
	s_mov_b32 s42, exec_lo
	v_cmpx_ne_u16_e32 0x80, v24
	s_cbranch_execz .LBB4_5909
; %bb.5902:                             ;   in Loop: Header=BB4_5820 Depth=3
	v_and_b32_e32 v5, 0x7c0000, v20
	v_bfe_u32 v24, v20, 16, 2
	s_delay_alu instid0(VALU_DEP_2) | instskip(SKIP_1) | instid1(SALU_CYCLE_1)
	v_cmp_ne_u32_e32 vcc_lo, 0x7c0000, v5
                                        ; implicit-def: $vgpr5
	s_and_saveexec_b32 s43, vcc_lo
	s_xor_b32 s43, exec_lo, s43
	s_cbranch_execz .LBB4_5906
; %bb.5903:                             ;   in Loop: Header=BB4_5820 Depth=3
	v_bfe_u32 v5, v20, 18, 5
	s_mov_b32 s72, exec_lo
	s_delay_alu instid0(VALU_DEP_1)
	v_cmpx_eq_u32_e32 0, v5
; %bb.5904:                             ;   in Loop: Header=BB4_5820 Depth=3
	v_clz_i32_u32_e32 v5, v24
	s_delay_alu instid0(VALU_DEP_1) | instskip(NEXT) | instid1(VALU_DEP_1)
	v_min_u32_e32 v5, 32, v5
	v_subrev_nc_u32_e32 v24, 29, v5
	s_delay_alu instid0(VALU_DEP_1) | instskip(NEXT) | instid1(VALU_DEP_1)
	v_lshlrev_b64_e32 v[24:25], v24, v[2:3]
	v_dual_sub_nc_u32 v5, 30, v5 :: v_dual_bitop2_b32 v24, 3, v24 bitop3:0x40
; %bb.5905:                             ;   in Loop: Header=BB4_5820 Depth=3
	s_or_b32 exec_lo, exec_lo, s72
	v_lshlrev_b32_e32 v2, 24, v2
	s_delay_alu instid0(VALU_DEP_1) | instskip(NEXT) | instid1(VALU_DEP_1)
	v_and_b32_e32 v2, 0x80000000, v2
	v_lshl_add_u32 v2, v5, 23, v2
	s_delay_alu instid0(VALU_DEP_1) | instskip(NEXT) | instid1(VALU_DEP_1)
	v_lshl_or_b32 v2, v24, 21, v2
                                        ; implicit-def: $vgpr24
	v_add_nc_u32_e32 v5, 0x38000000, v2
                                        ; implicit-def: $vgpr2
.LBB4_5906:                             ;   in Loop: Header=BB4_5820 Depth=3
	s_and_not1_saveexec_b32 s43, s43
; %bb.5907:                             ;   in Loop: Header=BB4_5820 Depth=3
	v_bfe_i32 v2, v2, 0, 8
	s_delay_alu instid0(VALU_DEP_1) | instskip(SKIP_2) | instid1(VALU_DEP_2)
	v_cmp_lt_i16_e32 vcc_lo, -1, v2
	v_cndmask_b32_e32 v2, 0xff800000, v112, vcc_lo
	v_cmp_eq_u32_e32 vcc_lo, 0, v24
	v_cndmask_b32_e32 v5, 0x7f800001, v2, vcc_lo
; %bb.5908:                             ;   in Loop: Header=BB4_5820 Depth=3
	s_or_b32 exec_lo, exec_lo, s43
.LBB4_5909:                             ;   in Loop: Header=BB4_5820 Depth=3
	s_delay_alu instid0(SALU_CYCLE_1)
	s_or_b32 exec_lo, exec_lo, s42
.LBB4_5910:                             ;   in Loop: Header=BB4_5820 Depth=3
	s_delay_alu instid0(SALU_CYCLE_1) | instskip(SKIP_2) | instid1(VALU_DEP_1)
	s_or_b32 exec_lo, exec_lo, s13
	v_lshrrev_b32_e32 v2, 16, v16
	s_mov_b32 s13, exec_lo
	v_and_b32_e32 v24, 0xff, v2
	s_delay_alu instid0(VALU_DEP_1)
	v_cmpx_ne_u16_e32 0, v24
	s_cbranch_execz .LBB4_5920
; %bb.5911:                             ;   in Loop: Header=BB4_5820 Depth=3
	v_bfrev_b32_e32 v4, 1
	s_mov_b32 s42, exec_lo
	v_cmpx_ne_u16_e32 0x80, v24
	s_cbranch_execz .LBB4_5919
; %bb.5912:                             ;   in Loop: Header=BB4_5820 Depth=3
	v_and_b32_e32 v4, 0x7c0000, v16
	v_bfe_u32 v24, v16, 16, 2
	s_delay_alu instid0(VALU_DEP_2) | instskip(SKIP_1) | instid1(SALU_CYCLE_1)
	v_cmp_ne_u32_e32 vcc_lo, 0x7c0000, v4
                                        ; implicit-def: $vgpr4
	s_and_saveexec_b32 s43, vcc_lo
	s_xor_b32 s43, exec_lo, s43
	s_cbranch_execz .LBB4_5916
; %bb.5913:                             ;   in Loop: Header=BB4_5820 Depth=3
	v_bfe_u32 v4, v16, 18, 5
	s_mov_b32 s72, exec_lo
	s_delay_alu instid0(VALU_DEP_1)
	v_cmpx_eq_u32_e32 0, v4
; %bb.5914:                             ;   in Loop: Header=BB4_5820 Depth=3
	v_clz_i32_u32_e32 v4, v24
	s_delay_alu instid0(VALU_DEP_1) | instskip(NEXT) | instid1(VALU_DEP_1)
	v_min_u32_e32 v4, 32, v4
	v_subrev_nc_u32_e32 v24, 29, v4
	v_sub_nc_u32_e32 v4, 30, v4
	s_delay_alu instid0(VALU_DEP_2) | instskip(NEXT) | instid1(VALU_DEP_1)
	v_lshlrev_b64_e32 v[24:25], v24, v[2:3]
	v_and_b32_e32 v24, 3, v24
; %bb.5915:                             ;   in Loop: Header=BB4_5820 Depth=3
	s_or_b32 exec_lo, exec_lo, s72
	v_lshlrev_b32_e32 v2, 24, v2
	s_delay_alu instid0(VALU_DEP_1) | instskip(NEXT) | instid1(VALU_DEP_1)
	v_and_b32_e32 v2, 0x80000000, v2
	v_lshl_add_u32 v2, v4, 23, v2
	s_delay_alu instid0(VALU_DEP_1) | instskip(NEXT) | instid1(VALU_DEP_1)
	v_lshl_or_b32 v2, v24, 21, v2
                                        ; implicit-def: $vgpr24
	v_add_nc_u32_e32 v4, 0x38000000, v2
                                        ; implicit-def: $vgpr2
.LBB4_5916:                             ;   in Loop: Header=BB4_5820 Depth=3
	s_and_not1_saveexec_b32 s43, s43
; %bb.5917:                             ;   in Loop: Header=BB4_5820 Depth=3
	v_bfe_i32 v2, v2, 0, 8
	s_delay_alu instid0(VALU_DEP_1) | instskip(SKIP_2) | instid1(VALU_DEP_2)
	v_cmp_lt_i16_e32 vcc_lo, -1, v2
	v_cndmask_b32_e32 v2, 0xff800000, v112, vcc_lo
	v_cmp_eq_u32_e32 vcc_lo, 0, v24
	v_cndmask_b32_e32 v4, 0x7f800001, v2, vcc_lo
; %bb.5918:                             ;   in Loop: Header=BB4_5820 Depth=3
	s_or_b32 exec_lo, exec_lo, s43
.LBB4_5919:                             ;   in Loop: Header=BB4_5820 Depth=3
	s_delay_alu instid0(SALU_CYCLE_1)
	s_or_b32 exec_lo, exec_lo, s42
.LBB4_5920:                             ;   in Loop: Header=BB4_5820 Depth=3
	s_delay_alu instid0(SALU_CYCLE_1) | instskip(NEXT) | instid1(VALU_DEP_1)
	s_or_b32 exec_lo, exec_lo, s13
	v_dual_mul_f32 v4, v5, v4 :: v_dual_mov_b32 v25, v3
                                        ; implicit-def: $vgpr30
	s_mov_b32 s13, exec_lo
	s_delay_alu instid0(VALU_DEP_1) | instskip(SKIP_2) | instid1(VALU_DEP_3)
	v_and_b32_e32 v24, 0x7f800000, v4
	v_and_b32_e32 v2, 0x7fffff, v4
	v_lshrrev_b32_e32 v5, 24, v4
	v_cmpx_ne_u64_e32 0x7f800000, v[24:25]
	s_xor_b32 s42, exec_lo, s13
	s_cbranch_execz .LBB4_5934
; %bb.5921:                             ;   in Loop: Header=BB4_5820 Depth=3
	v_and_b32_e32 v24, 0x7fffffff, v4
	v_mov_b32_e32 v25, v3
	v_and_b32_e32 v31, 0x80, v5
                                        ; implicit-def: $vgpr30
	s_mov_b32 s13, exec_lo
	s_delay_alu instid0(VALU_DEP_2)
	v_cmpx_gt_u64_e32 0x47600001, v[24:25]
	s_xor_b32 s43, exec_lo, s13
	s_cbranch_execz .LBB4_5931
; %bb.5922:                             ;   in Loop: Header=BB4_5820 Depth=3
	v_mov_b32_e32 v30, 0
	s_mov_b32 s72, exec_lo
	v_cmpx_ne_u32_e32 0, v4
	s_cbranch_execz .LBB4_5930
; %bb.5923:                             ;   in Loop: Header=BB4_5820 Depth=3
	v_bfe_u32 v30, v4, 23, 8
	v_or_b32_e32 v24, 0x800000, v2
	s_mov_b32 s73, exec_lo
	s_delay_alu instid0(VALU_DEP_2) | instskip(SKIP_1) | instid1(VALU_DEP_2)
	v_dual_mov_b32 v25, v3 :: v_dual_sub_nc_u32 v4, 0x71, v30
	v_cmp_gt_u32_e32 vcc_lo, 0x72, v30
	v_cndmask_b32_e32 v4, 0, v4, vcc_lo
	v_cmp_eq_u32_e32 vcc_lo, 0, v30
	s_delay_alu instid0(VALU_DEP_2) | instskip(SKIP_1) | instid1(VALU_DEP_2)
	v_cndmask_b32_e64 v66, v4, 0x70, vcc_lo
	v_cndmask_b32_e32 v24, v24, v2, vcc_lo
	v_dual_add_nc_u32 v4, 21, v66 :: v_dual_add_nc_u32 v67, 20, v66
	s_delay_alu instid0(VALU_DEP_1) | instskip(NEXT) | instid1(VALU_DEP_2)
	v_lshlrev_b64_e64 v[4:5], v4, -1
	v_lshlrev_b64_e64 v[84:85], v67, 1
	s_delay_alu instid0(VALU_DEP_2) | instskip(NEXT) | instid1(VALU_DEP_3)
	v_bfi_b32 v101, v5, 0, 0
	v_bfi_b32 v100, v4, 0, v24
	v_lshrrev_b64 v[4:5], v66, v[24:25]
	s_delay_alu instid0(VALU_DEP_1) | instskip(NEXT) | instid1(VALU_DEP_3)
	v_mov_b64_e32 v[24:25], v[4:5]
	v_cmpx_eq_u64_e64 v[100:101], v[84:85]
; %bb.5924:                             ;   in Loop: Header=BB4_5820 Depth=3
	v_bfe_u32 v24, v4, 21, 1
	v_mov_b32_e32 v25, v3
	s_delay_alu instid0(VALU_DEP_1) | instskip(NEXT) | instid1(VALU_DEP_1)
	v_add_nc_u64_e32 v[24:25], v[4:5], v[24:25]
	v_add_nc_u64_e32 v[24:25], -1, v[24:25]
; %bb.5925:                             ;   in Loop: Header=BB4_5820 Depth=3
	s_or_b32 exec_lo, exec_lo, s73
	v_add_nc_u32_e32 v2, 0xffffff81, v30
	v_lshrrev_b32_e32 v5, 23, v4
	s_mov_b32 s13, exec_lo
	s_delay_alu instid0(VALU_DEP_2) | instskip(NEXT) | instid1(VALU_DEP_1)
	v_cndmask_b32_e64 v2, v2, 0xffffff82, vcc_lo
	v_add3_u32 v25, v66, v2, v5
	v_and_b32_e32 v2, 0x1fffff, v24
                                        ; implicit-def: $vgpr24
	s_delay_alu instid0(VALU_DEP_1) | instskip(NEXT) | instid1(VALU_DEP_1)
	v_dual_add_nc_u32 v30, 14, v25 :: v_dual_add_nc_u32 v2, v2, v4
                                        ; implicit-def: $vgpr4_vgpr5
	v_cmpx_ne_u32_e32 0, v30
	s_xor_b32 s13, exec_lo, s13
; %bb.5926:                             ;   in Loop: Header=BB4_5820 Depth=3
	s_delay_alu instid0(VALU_DEP_2) | instskip(SKIP_1) | instid1(VALU_DEP_1)
	v_cmp_lt_u64_e32 vcc_lo, 0xffffff, v[2:3]
	v_add_nc_u32_e32 v4, 15, v25
	v_cndmask_b32_e32 v24, v30, v4, vcc_lo
	v_cndmask_b32_e64 v4, 0, 1, vcc_lo
	s_delay_alu instid0(VALU_DEP_1)
	v_lshrrev_b64 v[4:5], v4, v[2:3]
; %bb.5927:                             ;   in Loop: Header=BB4_5820 Depth=3
	s_and_not1_saveexec_b32 s13, s13
; %bb.5928:                             ;   in Loop: Header=BB4_5820 Depth=3
	v_mov_b64_e32 v[4:5], v[2:3]
	v_bfe_u32 v24, v2, 23, 1
; %bb.5929:                             ;   in Loop: Header=BB4_5820 Depth=3
	s_or_b32 exec_lo, exec_lo, s13
	s_delay_alu instid0(VALU_DEP_2) | instskip(NEXT) | instid1(VALU_DEP_2)
	v_lshrrev_b64 v[4:5], 21, v[4:5]
	v_cmp_gt_i32_e32 vcc_lo, 32, v24
	v_min_i32_e32 v2, 31, v24
	v_cmp_eq_u32_e64 s13, 0, v24
	s_delay_alu instid0(VALU_DEP_2) | instskip(SKIP_1) | instid1(VALU_DEP_2)
	v_dual_cndmask_b32 v5, 0, v5 :: v_dual_lshlrev_b32 v2, 2, v2
	v_cndmask_b32_e32 v4, 3, v4, vcc_lo
	v_and_b32_e32 v2, 0xfc, v2
	s_delay_alu instid0(VALU_DEP_2) | instskip(NEXT) | instid1(VALU_DEP_2)
	v_cmp_eq_u64_e32 vcc_lo, 0, v[4:5]
	v_and_or_b32 v2, v4, 3, v2
	s_and_b32 s13, s13, vcc_lo
	s_delay_alu instid0(VALU_DEP_1) | instid1(SALU_CYCLE_1)
	v_cndmask_b32_e64 v2, v2, 0, s13
	s_delay_alu instid0(VALU_DEP_1)
	v_or_b32_e32 v30, v2, v31
.LBB4_5930:                             ;   in Loop: Header=BB4_5820 Depth=3
	s_or_b32 exec_lo, exec_lo, s72
                                        ; implicit-def: $vgpr31
.LBB4_5931:                             ;   in Loop: Header=BB4_5820 Depth=3
	s_and_not1_saveexec_b32 s13, s43
; %bb.5932:                             ;   in Loop: Header=BB4_5820 Depth=3
	v_or_b32_e32 v30, 0x7b, v31
; %bb.5933:                             ;   in Loop: Header=BB4_5820 Depth=3
	s_or_b32 exec_lo, exec_lo, s13
                                        ; implicit-def: $vgpr4
                                        ; implicit-def: $vgpr5
.LBB4_5934:                             ;   in Loop: Header=BB4_5820 Depth=3
	s_and_not1_saveexec_b32 s13, s42
	s_cbranch_execz .LBB4_5940
; %bb.5935:                             ;   in Loop: Header=BB4_5820 Depth=3
	s_mov_b32 s42, exec_lo
                                        ; implicit-def: $vgpr30
	v_cmpx_ne_u64_e32 0, v[2:3]
	s_xor_b32 s42, exec_lo, s42
; %bb.5936:                             ;   in Loop: Header=BB4_5820 Depth=3
	v_or_b32_e32 v30, 0x7f, v5
                                        ; implicit-def: $vgpr4
; %bb.5937:                             ;   in Loop: Header=BB4_5820 Depth=3
	s_and_not1_saveexec_b32 s42, s42
; %bb.5938:                             ;   in Loop: Header=BB4_5820 Depth=3
	v_cmp_lt_i32_e32 vcc_lo, -1, v4
	v_cndmask_b32_e32 v30, 0xfc, v113, vcc_lo
; %bb.5939:                             ;   in Loop: Header=BB4_5820 Depth=3
	s_or_b32 exec_lo, exec_lo, s42
.LBB4_5940:                             ;   in Loop: Header=BB4_5820 Depth=3
	s_delay_alu instid0(SALU_CYCLE_1)
	s_or_b32 exec_lo, exec_lo, s13
	v_dual_mov_b32 v4, 0 :: v_dual_mov_b32 v5, 0
	s_mov_b32 s13, exec_lo
	v_cmpx_lt_u32_e32 0xffffff, v20
	s_cbranch_execz .LBB4_5950
; %bb.5941:                             ;   in Loop: Header=BB4_5820 Depth=3
	v_lshrrev_b32_e32 v2, 24, v20
	v_bfrev_b32_e32 v5, 1
	s_mov_b32 s42, exec_lo
	s_delay_alu instid0(VALU_DEP_2)
	v_cmpx_ne_u32_e32 0x80, v2
	s_cbranch_execz .LBB4_5949
; %bb.5942:                             ;   in Loop: Header=BB4_5820 Depth=3
	v_and_b32_e32 v5, 0x7c000000, v20
	v_bfe_u32 v24, v20, 24, 2
	s_delay_alu instid0(VALU_DEP_2) | instskip(SKIP_1) | instid1(SALU_CYCLE_1)
	v_cmp_ne_u32_e32 vcc_lo, 0x7c000000, v5
                                        ; implicit-def: $vgpr5
	s_and_saveexec_b32 s43, vcc_lo
	s_xor_b32 s43, exec_lo, s43
	s_cbranch_execz .LBB4_5946
; %bb.5943:                             ;   in Loop: Header=BB4_5820 Depth=3
	v_bfe_u32 v5, v20, 26, 5
	s_mov_b32 s72, exec_lo
	s_delay_alu instid0(VALU_DEP_1)
	v_cmpx_eq_u32_e32 0, v5
; %bb.5944:                             ;   in Loop: Header=BB4_5820 Depth=3
	v_clz_i32_u32_e32 v5, v24
	s_delay_alu instid0(VALU_DEP_1) | instskip(NEXT) | instid1(VALU_DEP_1)
	v_min_u32_e32 v5, 32, v5
	v_subrev_nc_u32_e32 v24, 29, v5
	s_delay_alu instid0(VALU_DEP_1) | instskip(NEXT) | instid1(VALU_DEP_1)
	v_lshlrev_b64_e32 v[24:25], v24, v[2:3]
	v_dual_sub_nc_u32 v5, 30, v5 :: v_dual_bitop2_b32 v24, 3, v24 bitop3:0x40
; %bb.5945:                             ;   in Loop: Header=BB4_5820 Depth=3
	s_or_b32 exec_lo, exec_lo, s72
	v_and_b32_e32 v2, 0x80000000, v20
	s_delay_alu instid0(VALU_DEP_1) | instskip(NEXT) | instid1(VALU_DEP_1)
	v_lshl_add_u32 v2, v5, 23, v2
	v_lshl_or_b32 v2, v24, 21, v2
                                        ; implicit-def: $vgpr24
	s_delay_alu instid0(VALU_DEP_1)
	v_add_nc_u32_e32 v5, 0x38000000, v2
.LBB4_5946:                             ;   in Loop: Header=BB4_5820 Depth=3
	s_and_not1_saveexec_b32 s43, s43
; %bb.5947:                             ;   in Loop: Header=BB4_5820 Depth=3
	v_cmp_lt_i32_e32 vcc_lo, -1, v20
	v_cndmask_b32_e32 v2, 0xff800000, v112, vcc_lo
	v_cmp_eq_u32_e32 vcc_lo, 0, v24
	s_delay_alu instid0(VALU_DEP_2)
	v_cndmask_b32_e32 v5, 0x7f800001, v2, vcc_lo
; %bb.5948:                             ;   in Loop: Header=BB4_5820 Depth=3
	s_or_b32 exec_lo, exec_lo, s43
.LBB4_5949:                             ;   in Loop: Header=BB4_5820 Depth=3
	s_delay_alu instid0(SALU_CYCLE_1)
	s_or_b32 exec_lo, exec_lo, s42
.LBB4_5950:                             ;   in Loop: Header=BB4_5820 Depth=3
	s_delay_alu instid0(SALU_CYCLE_1) | instskip(NEXT) | instid1(SALU_CYCLE_1)
	s_or_b32 exec_lo, exec_lo, s13
	s_mov_b32 s13, exec_lo
	v_cmpx_lt_u32_e32 0xffffff, v16
	s_cbranch_execz .LBB4_5960
; %bb.5951:                             ;   in Loop: Header=BB4_5820 Depth=3
	v_lshrrev_b32_e32 v2, 24, v16
	v_bfrev_b32_e32 v4, 1
	s_mov_b32 s42, exec_lo
	s_delay_alu instid0(VALU_DEP_2)
	v_cmpx_ne_u32_e32 0x80, v2
	s_cbranch_execz .LBB4_5959
; %bb.5952:                             ;   in Loop: Header=BB4_5820 Depth=3
	v_and_b32_e32 v4, 0x7c000000, v16
	v_bfe_u32 v24, v16, 24, 2
	s_delay_alu instid0(VALU_DEP_2) | instskip(SKIP_1) | instid1(SALU_CYCLE_1)
	v_cmp_ne_u32_e32 vcc_lo, 0x7c000000, v4
                                        ; implicit-def: $vgpr4
	s_and_saveexec_b32 s43, vcc_lo
	s_xor_b32 s43, exec_lo, s43
	s_cbranch_execz .LBB4_5956
; %bb.5953:                             ;   in Loop: Header=BB4_5820 Depth=3
	v_bfe_u32 v4, v16, 26, 5
	s_mov_b32 s72, exec_lo
	s_delay_alu instid0(VALU_DEP_1)
	v_cmpx_eq_u32_e32 0, v4
; %bb.5954:                             ;   in Loop: Header=BB4_5820 Depth=3
	v_clz_i32_u32_e32 v4, v24
	s_delay_alu instid0(VALU_DEP_1) | instskip(NEXT) | instid1(VALU_DEP_1)
	v_min_u32_e32 v4, 32, v4
	v_subrev_nc_u32_e32 v24, 29, v4
	v_sub_nc_u32_e32 v4, 30, v4
	s_delay_alu instid0(VALU_DEP_2) | instskip(NEXT) | instid1(VALU_DEP_1)
	v_lshlrev_b64_e32 v[24:25], v24, v[2:3]
	v_and_b32_e32 v24, 3, v24
; %bb.5955:                             ;   in Loop: Header=BB4_5820 Depth=3
	s_or_b32 exec_lo, exec_lo, s72
	v_and_b32_e32 v2, 0x80000000, v16
	s_delay_alu instid0(VALU_DEP_1) | instskip(NEXT) | instid1(VALU_DEP_1)
	v_lshl_add_u32 v2, v4, 23, v2
	v_lshl_or_b32 v2, v24, 21, v2
                                        ; implicit-def: $vgpr24
	s_delay_alu instid0(VALU_DEP_1)
	v_add_nc_u32_e32 v4, 0x38000000, v2
.LBB4_5956:                             ;   in Loop: Header=BB4_5820 Depth=3
	s_and_not1_saveexec_b32 s43, s43
; %bb.5957:                             ;   in Loop: Header=BB4_5820 Depth=3
	v_cmp_lt_i32_e32 vcc_lo, -1, v16
	v_cndmask_b32_e32 v2, 0xff800000, v112, vcc_lo
	v_cmp_eq_u32_e32 vcc_lo, 0, v24
	s_delay_alu instid0(VALU_DEP_2)
	v_cndmask_b32_e32 v4, 0x7f800001, v2, vcc_lo
; %bb.5958:                             ;   in Loop: Header=BB4_5820 Depth=3
	s_or_b32 exec_lo, exec_lo, s43
.LBB4_5959:                             ;   in Loop: Header=BB4_5820 Depth=3
	s_delay_alu instid0(SALU_CYCLE_1)
	s_or_b32 exec_lo, exec_lo, s42
.LBB4_5960:                             ;   in Loop: Header=BB4_5820 Depth=3
	s_delay_alu instid0(SALU_CYCLE_1) | instskip(NEXT) | instid1(VALU_DEP_1)
	s_or_b32 exec_lo, exec_lo, s13
	v_dual_mul_f32 v4, v5, v4 :: v_dual_mov_b32 v25, v3
                                        ; implicit-def: $vgpr31
	s_mov_b32 s13, exec_lo
	s_delay_alu instid0(VALU_DEP_1) | instskip(SKIP_2) | instid1(VALU_DEP_3)
	v_and_b32_e32 v24, 0x7f800000, v4
	v_and_b32_e32 v2, 0x7fffff, v4
	v_lshrrev_b32_e32 v5, 24, v4
	v_cmpx_ne_u64_e32 0x7f800000, v[24:25]
	s_xor_b32 s42, exec_lo, s13
	s_cbranch_execz .LBB4_5974
; %bb.5961:                             ;   in Loop: Header=BB4_5820 Depth=3
	v_and_b32_e32 v24, 0x7fffffff, v4
	v_mov_b32_e32 v25, v3
	v_and_b32_e32 v66, 0x80, v5
                                        ; implicit-def: $vgpr31
	s_mov_b32 s13, exec_lo
	s_delay_alu instid0(VALU_DEP_2)
	v_cmpx_gt_u64_e32 0x47600001, v[24:25]
	s_xor_b32 s43, exec_lo, s13
	s_cbranch_execz .LBB4_5971
; %bb.5962:                             ;   in Loop: Header=BB4_5820 Depth=3
	v_mov_b32_e32 v31, 0
	s_mov_b32 s72, exec_lo
	v_cmpx_ne_u32_e32 0, v4
	s_cbranch_execz .LBB4_5970
; %bb.5963:                             ;   in Loop: Header=BB4_5820 Depth=3
	v_bfe_u32 v31, v4, 23, 8
	v_or_b32_e32 v24, 0x800000, v2
	s_mov_b32 s73, exec_lo
	s_delay_alu instid0(VALU_DEP_2) | instskip(SKIP_1) | instid1(VALU_DEP_2)
	v_dual_mov_b32 v25, v3 :: v_dual_sub_nc_u32 v4, 0x71, v31
	v_cmp_gt_u32_e32 vcc_lo, 0x72, v31
	v_cndmask_b32_e32 v4, 0, v4, vcc_lo
	v_cmp_eq_u32_e32 vcc_lo, 0, v31
	s_delay_alu instid0(VALU_DEP_2) | instskip(NEXT) | instid1(VALU_DEP_1)
	v_cndmask_b32_e64 v67, v4, 0x70, vcc_lo
	v_dual_cndmask_b32 v24, v24, v2, vcc_lo :: v_dual_add_nc_u32 v4, 21, v67
	v_add_nc_u32_e32 v84, 20, v67
	s_delay_alu instid0(VALU_DEP_2) | instskip(NEXT) | instid1(VALU_DEP_2)
	v_lshlrev_b64_e64 v[4:5], v4, -1
	v_lshlrev_b64_e64 v[84:85], v84, 1
	s_delay_alu instid0(VALU_DEP_2) | instskip(NEXT) | instid1(VALU_DEP_3)
	v_bfi_b32 v101, v5, 0, 0
	v_bfi_b32 v100, v4, 0, v24
	v_lshrrev_b64 v[4:5], v67, v[24:25]
	s_delay_alu instid0(VALU_DEP_1) | instskip(NEXT) | instid1(VALU_DEP_3)
	v_mov_b64_e32 v[24:25], v[4:5]
	v_cmpx_eq_u64_e64 v[100:101], v[84:85]
; %bb.5964:                             ;   in Loop: Header=BB4_5820 Depth=3
	v_bfe_u32 v24, v4, 21, 1
	v_mov_b32_e32 v25, v3
	s_delay_alu instid0(VALU_DEP_1) | instskip(NEXT) | instid1(VALU_DEP_1)
	v_add_nc_u64_e32 v[24:25], v[4:5], v[24:25]
	v_add_nc_u64_e32 v[24:25], -1, v[24:25]
; %bb.5965:                             ;   in Loop: Header=BB4_5820 Depth=3
	s_or_b32 exec_lo, exec_lo, s73
	v_add_nc_u32_e32 v2, 0xffffff81, v31
	v_lshrrev_b32_e32 v5, 23, v4
	s_mov_b32 s13, exec_lo
	s_delay_alu instid0(VALU_DEP_2) | instskip(NEXT) | instid1(VALU_DEP_1)
	v_cndmask_b32_e64 v2, v2, 0xffffff82, vcc_lo
	v_add3_u32 v25, v67, v2, v5
	v_and_b32_e32 v2, 0x1fffff, v24
                                        ; implicit-def: $vgpr24
	s_delay_alu instid0(VALU_DEP_1) | instskip(NEXT) | instid1(VALU_DEP_1)
	v_dual_add_nc_u32 v31, 14, v25 :: v_dual_add_nc_u32 v2, v2, v4
                                        ; implicit-def: $vgpr4_vgpr5
	v_cmpx_ne_u32_e32 0, v31
	s_xor_b32 s13, exec_lo, s13
; %bb.5966:                             ;   in Loop: Header=BB4_5820 Depth=3
	s_delay_alu instid0(VALU_DEP_2) | instskip(SKIP_1) | instid1(VALU_DEP_1)
	v_cmp_lt_u64_e32 vcc_lo, 0xffffff, v[2:3]
	v_add_nc_u32_e32 v4, 15, v25
	v_cndmask_b32_e32 v24, v31, v4, vcc_lo
	v_cndmask_b32_e64 v4, 0, 1, vcc_lo
	s_delay_alu instid0(VALU_DEP_1)
	v_lshrrev_b64 v[4:5], v4, v[2:3]
; %bb.5967:                             ;   in Loop: Header=BB4_5820 Depth=3
	s_and_not1_saveexec_b32 s13, s13
; %bb.5968:                             ;   in Loop: Header=BB4_5820 Depth=3
	v_mov_b64_e32 v[4:5], v[2:3]
	v_bfe_u32 v24, v2, 23, 1
; %bb.5969:                             ;   in Loop: Header=BB4_5820 Depth=3
	s_or_b32 exec_lo, exec_lo, s13
	s_delay_alu instid0(VALU_DEP_2) | instskip(NEXT) | instid1(VALU_DEP_2)
	v_lshrrev_b64 v[4:5], 21, v[4:5]
	v_cmp_gt_i32_e32 vcc_lo, 32, v24
	v_min_i32_e32 v2, 31, v24
	v_cmp_eq_u32_e64 s13, 0, v24
	s_delay_alu instid0(VALU_DEP_2) | instskip(SKIP_1) | instid1(VALU_DEP_2)
	v_dual_cndmask_b32 v5, 0, v5 :: v_dual_lshlrev_b32 v2, 2, v2
	v_cndmask_b32_e32 v4, 3, v4, vcc_lo
	v_and_b32_e32 v2, 0xfc, v2
	s_delay_alu instid0(VALU_DEP_2) | instskip(NEXT) | instid1(VALU_DEP_2)
	v_cmp_eq_u64_e32 vcc_lo, 0, v[4:5]
	v_and_or_b32 v2, v4, 3, v2
	s_and_b32 s13, s13, vcc_lo
	s_delay_alu instid0(VALU_DEP_1) | instid1(SALU_CYCLE_1)
	v_cndmask_b32_e64 v2, v2, 0, s13
	s_delay_alu instid0(VALU_DEP_1)
	v_or_b32_e32 v31, v2, v66
.LBB4_5970:                             ;   in Loop: Header=BB4_5820 Depth=3
	s_or_b32 exec_lo, exec_lo, s72
                                        ; implicit-def: $vgpr66
.LBB4_5971:                             ;   in Loop: Header=BB4_5820 Depth=3
	s_and_not1_saveexec_b32 s13, s43
; %bb.5972:                             ;   in Loop: Header=BB4_5820 Depth=3
	v_or_b32_e32 v31, 0x7b, v66
; %bb.5973:                             ;   in Loop: Header=BB4_5820 Depth=3
	s_or_b32 exec_lo, exec_lo, s13
                                        ; implicit-def: $vgpr4
                                        ; implicit-def: $vgpr5
.LBB4_5974:                             ;   in Loop: Header=BB4_5820 Depth=3
	s_and_not1_saveexec_b32 s13, s42
	s_cbranch_execz .LBB4_5980
; %bb.5975:                             ;   in Loop: Header=BB4_5820 Depth=3
	s_mov_b32 s42, exec_lo
                                        ; implicit-def: $vgpr31
	v_cmpx_ne_u64_e32 0, v[2:3]
	s_xor_b32 s42, exec_lo, s42
; %bb.5976:                             ;   in Loop: Header=BB4_5820 Depth=3
	v_or_b32_e32 v31, 0x7f, v5
                                        ; implicit-def: $vgpr4
; %bb.5977:                             ;   in Loop: Header=BB4_5820 Depth=3
	s_and_not1_saveexec_b32 s42, s42
; %bb.5978:                             ;   in Loop: Header=BB4_5820 Depth=3
	v_cmp_lt_i32_e32 vcc_lo, -1, v4
	v_cndmask_b32_e32 v31, 0xfc, v113, vcc_lo
; %bb.5979:                             ;   in Loop: Header=BB4_5820 Depth=3
	s_or_b32 exec_lo, exec_lo, s42
.LBB4_5980:                             ;   in Loop: Header=BB4_5820 Depth=3
	s_delay_alu instid0(SALU_CYCLE_1) | instskip(SKIP_4) | instid1(VALU_DEP_3)
	s_or_b32 exec_lo, exec_lo, s13
	v_and_b32_e32 v24, 0xff, v21
	v_dual_mov_b32 v2, v21 :: v_dual_mov_b32 v5, 0
	v_mov_b32_e32 v4, 0
	s_mov_b32 s13, exec_lo
	v_cmpx_ne_u16_e32 0, v24
	s_cbranch_execz .LBB4_5990
; %bb.5981:                             ;   in Loop: Header=BB4_5820 Depth=3
	v_bfrev_b32_e32 v4, 1
	s_mov_b32 s42, exec_lo
	v_cmpx_ne_u16_e32 0x80, v24
	s_cbranch_execz .LBB4_5989
; %bb.5982:                             ;   in Loop: Header=BB4_5820 Depth=3
	v_and_b32_e32 v4, 0x7c, v21
	v_and_b32_e32 v24, 3, v21
	s_delay_alu instid0(VALU_DEP_2) | instskip(SKIP_1) | instid1(SALU_CYCLE_1)
	v_cmp_ne_u32_e32 vcc_lo, 0x7c, v4
                                        ; implicit-def: $vgpr4
	s_and_saveexec_b32 s43, vcc_lo
	s_xor_b32 s43, exec_lo, s43
	s_cbranch_execz .LBB4_5986
; %bb.5983:                             ;   in Loop: Header=BB4_5820 Depth=3
	v_bfe_u32 v4, v21, 2, 5
	s_mov_b32 s72, exec_lo
	s_delay_alu instid0(VALU_DEP_1)
	v_cmpx_eq_u32_e32 0, v4
; %bb.5984:                             ;   in Loop: Header=BB4_5820 Depth=3
	v_clz_i32_u32_e32 v4, v24
	s_delay_alu instid0(VALU_DEP_1) | instskip(NEXT) | instid1(VALU_DEP_1)
	v_min_u32_e32 v4, 32, v4
	v_subrev_nc_u32_e32 v24, 29, v4
	v_sub_nc_u32_e32 v4, 30, v4
	s_delay_alu instid0(VALU_DEP_2) | instskip(NEXT) | instid1(VALU_DEP_1)
	v_lshlrev_b64_e32 v[24:25], v24, v[2:3]
	v_and_b32_e32 v24, 3, v24
; %bb.5985:                             ;   in Loop: Header=BB4_5820 Depth=3
	s_or_b32 exec_lo, exec_lo, s72
	v_lshlrev_b32_e32 v25, 24, v21
	s_delay_alu instid0(VALU_DEP_1) | instskip(NEXT) | instid1(VALU_DEP_1)
	v_and_b32_e32 v25, 0x80000000, v25
	v_lshl_add_u32 v4, v4, 23, v25
	s_delay_alu instid0(VALU_DEP_1) | instskip(NEXT) | instid1(VALU_DEP_1)
	v_lshl_or_b32 v4, v24, 21, v4
                                        ; implicit-def: $vgpr24
	v_add_nc_u32_e32 v4, 0x38000000, v4
.LBB4_5986:                             ;   in Loop: Header=BB4_5820 Depth=3
	s_and_not1_saveexec_b32 s43, s43
; %bb.5987:                             ;   in Loop: Header=BB4_5820 Depth=3
	v_bfe_i32 v4, v21, 0, 8
	s_delay_alu instid0(VALU_DEP_1) | instskip(SKIP_2) | instid1(VALU_DEP_2)
	v_cmp_lt_i16_e32 vcc_lo, -1, v4
	v_cndmask_b32_e32 v4, 0xff800000, v112, vcc_lo
	v_cmp_eq_u32_e32 vcc_lo, 0, v24
	v_cndmask_b32_e32 v4, 0x7f800001, v4, vcc_lo
; %bb.5988:                             ;   in Loop: Header=BB4_5820 Depth=3
	s_or_b32 exec_lo, exec_lo, s43
.LBB4_5989:                             ;   in Loop: Header=BB4_5820 Depth=3
	s_delay_alu instid0(SALU_CYCLE_1)
	s_or_b32 exec_lo, exec_lo, s42
.LBB4_5990:                             ;   in Loop: Header=BB4_5820 Depth=3
	s_delay_alu instid0(SALU_CYCLE_1) | instskip(SKIP_2) | instid1(VALU_DEP_1)
	s_or_b32 exec_lo, exec_lo, s13
	v_and_b32_e32 v24, 0xff, v17
	s_mov_b32 s13, exec_lo
	v_cmpx_ne_u16_e32 0, v24
	s_cbranch_execz .LBB4_6000
; %bb.5991:                             ;   in Loop: Header=BB4_5820 Depth=3
	v_bfrev_b32_e32 v5, 1
	s_mov_b32 s42, exec_lo
	v_cmpx_ne_u16_e32 0x80, v24
	s_cbranch_execz .LBB4_5999
; %bb.5992:                             ;   in Loop: Header=BB4_5820 Depth=3
	v_and_b32_e32 v5, 0x7c, v17
	v_and_b32_e32 v24, 3, v17
	s_delay_alu instid0(VALU_DEP_2) | instskip(SKIP_1) | instid1(SALU_CYCLE_1)
	v_cmp_ne_u32_e32 vcc_lo, 0x7c, v5
                                        ; implicit-def: $vgpr5
	s_and_saveexec_b32 s43, vcc_lo
	s_xor_b32 s43, exec_lo, s43
	s_cbranch_execz .LBB4_5996
; %bb.5993:                             ;   in Loop: Header=BB4_5820 Depth=3
	v_bfe_u32 v5, v17, 2, 5
	s_mov_b32 s72, exec_lo
	s_delay_alu instid0(VALU_DEP_1)
	v_cmpx_eq_u32_e32 0, v5
; %bb.5994:                             ;   in Loop: Header=BB4_5820 Depth=3
	v_clz_i32_u32_e32 v5, v24
	v_dual_mov_b32 v24, v17 :: v_dual_mov_b32 v25, v3
	s_delay_alu instid0(VALU_DEP_2) | instskip(NEXT) | instid1(VALU_DEP_1)
	v_min_u32_e32 v5, 32, v5
	v_subrev_nc_u32_e32 v66, 29, v5
	s_delay_alu instid0(VALU_DEP_1) | instskip(NEXT) | instid1(VALU_DEP_1)
	v_lshlrev_b64_e32 v[24:25], v66, v[24:25]
	v_dual_sub_nc_u32 v5, 30, v5 :: v_dual_bitop2_b32 v24, 3, v24 bitop3:0x40
; %bb.5995:                             ;   in Loop: Header=BB4_5820 Depth=3
	s_or_b32 exec_lo, exec_lo, s72
	v_lshlrev_b32_e32 v25, 24, v17
	s_delay_alu instid0(VALU_DEP_1) | instskip(NEXT) | instid1(VALU_DEP_1)
	v_and_b32_e32 v25, 0x80000000, v25
	v_lshl_add_u32 v5, v5, 23, v25
	s_delay_alu instid0(VALU_DEP_1) | instskip(NEXT) | instid1(VALU_DEP_1)
	v_lshl_or_b32 v5, v24, 21, v5
                                        ; implicit-def: $vgpr24
	v_add_nc_u32_e32 v5, 0x38000000, v5
.LBB4_5996:                             ;   in Loop: Header=BB4_5820 Depth=3
	s_and_not1_saveexec_b32 s43, s43
; %bb.5997:                             ;   in Loop: Header=BB4_5820 Depth=3
	v_bfe_i32 v5, v17, 0, 8
	s_delay_alu instid0(VALU_DEP_1) | instskip(SKIP_2) | instid1(VALU_DEP_2)
	v_cmp_lt_i16_e32 vcc_lo, -1, v5
	v_cndmask_b32_e32 v5, 0xff800000, v112, vcc_lo
	v_cmp_eq_u32_e32 vcc_lo, 0, v24
	v_cndmask_b32_e32 v5, 0x7f800001, v5, vcc_lo
; %bb.5998:                             ;   in Loop: Header=BB4_5820 Depth=3
	s_or_b32 exec_lo, exec_lo, s43
.LBB4_5999:                             ;   in Loop: Header=BB4_5820 Depth=3
	s_delay_alu instid0(SALU_CYCLE_1)
	s_or_b32 exec_lo, exec_lo, s42
.LBB4_6000:                             ;   in Loop: Header=BB4_5820 Depth=3
	s_delay_alu instid0(SALU_CYCLE_1) | instskip(NEXT) | instid1(VALU_DEP_1)
	s_or_b32 exec_lo, exec_lo, s13
	v_dual_mul_f32 v24, v4, v5 :: v_dual_mov_b32 v67, v3
	s_delay_alu instid0(VALU_DEP_1) | instskip(SKIP_2) | instid1(VALU_DEP_2)
	v_dual_mov_b32 v5, v3 :: v_dual_lshrrev_b32 v25, 24, v24
	v_and_b32_e32 v66, 0x7f800000, v24
	v_and_b32_e32 v4, 0x7fffff, v24
	v_cmp_ne_u64_e32 vcc_lo, 0x7f800000, v[66:67]
                                        ; implicit-def: $vgpr66
	s_and_saveexec_b32 s13, vcc_lo
	s_delay_alu instid0(SALU_CYCLE_1)
	s_xor_b32 s42, exec_lo, s13
	s_cbranch_execz .LBB4_6014
; %bb.6001:                             ;   in Loop: Header=BB4_5820 Depth=3
	v_and_b32_e32 v66, 0x7fffffff, v24
	v_mov_b32_e32 v67, v3
	s_delay_alu instid0(VALU_DEP_1) | instskip(SKIP_2) | instid1(SALU_CYCLE_1)
	v_cmp_gt_u64_e32 vcc_lo, 0x47600001, v[66:67]
	v_and_b32_e32 v67, 0x80, v25
                                        ; implicit-def: $vgpr66
	s_and_saveexec_b32 s13, vcc_lo
	s_xor_b32 s43, exec_lo, s13
	s_cbranch_execz .LBB4_6011
; %bb.6002:                             ;   in Loop: Header=BB4_5820 Depth=3
	v_mov_b32_e32 v66, 0
	s_mov_b32 s72, exec_lo
	v_cmpx_ne_u32_e32 0, v24
	s_cbranch_execz .LBB4_6010
; %bb.6003:                             ;   in Loop: Header=BB4_5820 Depth=3
	v_bfe_u32 v66, v24, 23, 8
	v_or_b32_e32 v85, 0x800000, v4
	s_delay_alu instid0(VALU_DEP_2) | instskip(SKIP_1) | instid1(VALU_DEP_2)
	v_sub_nc_u32_e32 v24, 0x71, v66
	v_cmp_gt_u32_e32 vcc_lo, 0x72, v66
	v_cndmask_b32_e32 v24, 0, v24, vcc_lo
	v_cmp_eq_u32_e32 vcc_lo, 0, v66
	s_delay_alu instid0(VALU_DEP_2) | instskip(SKIP_1) | instid1(VALU_DEP_2)
	v_cndmask_b32_e64 v84, v24, 0x70, vcc_lo
	v_cndmask_b32_e32 v4, v85, v4, vcc_lo
	v_dual_add_nc_u32 v24, 21, v84 :: v_dual_add_nc_u32 v100, 20, v84
	s_delay_alu instid0(VALU_DEP_1) | instskip(NEXT) | instid1(VALU_DEP_2)
	v_lshlrev_b64_e64 v[24:25], v24, -1
	v_lshlrev_b64_e64 v[100:101], v100, 1
	s_delay_alu instid0(VALU_DEP_2) | instskip(SKIP_1) | instid1(VALU_DEP_4)
	v_bfi_b32 v24, v24, 0, v4
	v_lshrrev_b64 v[4:5], v84, v[4:5]
	v_bfi_b32 v25, v25, 0, 0
	s_delay_alu instid0(VALU_DEP_1) | instskip(NEXT) | instid1(VALU_DEP_3)
	v_cmp_eq_u64_e64 s13, v[24:25], v[100:101]
	v_mov_b64_e32 v[24:25], v[4:5]
	s_and_saveexec_b32 s73, s13
; %bb.6004:                             ;   in Loop: Header=BB4_5820 Depth=3
	v_bfe_u32 v24, v4, 21, 1
	v_mov_b32_e32 v25, v3
	s_delay_alu instid0(VALU_DEP_1) | instskip(NEXT) | instid1(VALU_DEP_1)
	v_add_nc_u64_e32 v[24:25], v[4:5], v[24:25]
	v_add_nc_u64_e32 v[24:25], -1, v[24:25]
; %bb.6005:                             ;   in Loop: Header=BB4_5820 Depth=3
	s_or_b32 exec_lo, exec_lo, s73
	v_add_nc_u32_e32 v5, 0xffffff81, v66
	v_lshrrev_b32_e32 v25, 23, v4
	s_mov_b32 s13, exec_lo
	s_delay_alu instid0(VALU_DEP_2) | instskip(NEXT) | instid1(VALU_DEP_1)
	v_cndmask_b32_e64 v5, v5, 0xffffff82, vcc_lo
	v_add3_u32 v25, v84, v5, v25
	v_and_b32_e32 v5, 0x1fffff, v24
                                        ; implicit-def: $vgpr24
	s_delay_alu instid0(VALU_DEP_1) | instskip(SKIP_1) | instid1(VALU_DEP_2)
	v_dual_add_nc_u32 v66, 14, v25 :: v_dual_add_nc_u32 v4, v5, v4
	v_mov_b32_e32 v5, v3
	v_cmpx_ne_u32_e32 0, v66
	s_xor_b32 s13, exec_lo, s13
; %bb.6006:                             ;   in Loop: Header=BB4_5820 Depth=3
	s_delay_alu instid0(VALU_DEP_2) | instskip(SKIP_2) | instid1(VALU_DEP_2)
	v_cmp_lt_u64_e32 vcc_lo, 0xffffff, v[4:5]
	v_add_nc_u32_e32 v24, 15, v25
	v_cndmask_b32_e64 v25, 0, 1, vcc_lo
	v_cndmask_b32_e32 v24, v66, v24, vcc_lo
	s_delay_alu instid0(VALU_DEP_2)
	v_lshrrev_b64 v[4:5], v25, v[4:5]
; %bb.6007:                             ;   in Loop: Header=BB4_5820 Depth=3
	s_and_not1_saveexec_b32 s13, s13
; %bb.6008:                             ;   in Loop: Header=BB4_5820 Depth=3
	s_delay_alu instid0(VALU_DEP_1)
	v_bfe_u32 v24, v4, 23, 1
; %bb.6009:                             ;   in Loop: Header=BB4_5820 Depth=3
	s_or_b32 exec_lo, exec_lo, s13
	s_delay_alu instid0(VALU_DEP_2) | instskip(NEXT) | instid1(VALU_DEP_2)
	v_lshrrev_b64 v[4:5], 21, v[4:5]
	v_cmp_gt_i32_e32 vcc_lo, 32, v24
	v_min_i32_e32 v25, 31, v24
	v_cmp_eq_u32_e64 s13, 0, v24
	s_delay_alu instid0(VALU_DEP_4) | instskip(NEXT) | instid1(VALU_DEP_3)
	v_cndmask_b32_e32 v5, 0, v5, vcc_lo
	v_dual_cndmask_b32 v4, 3, v4 :: v_dual_lshlrev_b32 v25, 2, v25
	s_delay_alu instid0(VALU_DEP_1) | instskip(NEXT) | instid1(VALU_DEP_2)
	v_and_b32_e32 v25, 0xfc, v25
	v_cmp_eq_u64_e32 vcc_lo, 0, v[4:5]
	s_delay_alu instid0(VALU_DEP_2)
	v_and_or_b32 v4, v4, 3, v25
	s_and_b32 s13, s13, vcc_lo
	s_delay_alu instid0(VALU_DEP_1) | instid1(SALU_CYCLE_1)
	v_cndmask_b32_e64 v4, v4, 0, s13
	s_delay_alu instid0(VALU_DEP_1)
	v_or_b32_e32 v66, v4, v67
.LBB4_6010:                             ;   in Loop: Header=BB4_5820 Depth=3
	s_or_b32 exec_lo, exec_lo, s72
                                        ; implicit-def: $vgpr67
.LBB4_6011:                             ;   in Loop: Header=BB4_5820 Depth=3
	s_and_not1_saveexec_b32 s13, s43
; %bb.6012:                             ;   in Loop: Header=BB4_5820 Depth=3
	v_or_b32_e32 v66, 0x7b, v67
; %bb.6013:                             ;   in Loop: Header=BB4_5820 Depth=3
	s_or_b32 exec_lo, exec_lo, s13
                                        ; implicit-def: $vgpr24
                                        ; implicit-def: $vgpr4_vgpr5
                                        ; implicit-def: $vgpr25
.LBB4_6014:                             ;   in Loop: Header=BB4_5820 Depth=3
	s_and_not1_saveexec_b32 s13, s42
	s_cbranch_execz .LBB4_6020
; %bb.6015:                             ;   in Loop: Header=BB4_5820 Depth=3
	s_mov_b32 s42, exec_lo
                                        ; implicit-def: $vgpr66
	v_cmpx_ne_u64_e32 0, v[4:5]
	s_xor_b32 s42, exec_lo, s42
; %bb.6016:                             ;   in Loop: Header=BB4_5820 Depth=3
	v_or_b32_e32 v66, 0x7f, v25
                                        ; implicit-def: $vgpr24
; %bb.6017:                             ;   in Loop: Header=BB4_5820 Depth=3
	s_and_not1_saveexec_b32 s42, s42
; %bb.6018:                             ;   in Loop: Header=BB4_5820 Depth=3
	v_cmp_lt_i32_e32 vcc_lo, -1, v24
	v_cndmask_b32_e32 v66, 0xfc, v113, vcc_lo
; %bb.6019:                             ;   in Loop: Header=BB4_5820 Depth=3
	s_or_b32 exec_lo, exec_lo, s42
.LBB4_6020:                             ;   in Loop: Header=BB4_5820 Depth=3
	s_delay_alu instid0(SALU_CYCLE_1) | instskip(SKIP_3) | instid1(VALU_DEP_2)
	s_or_b32 exec_lo, exec_lo, s13
	v_lshrrev_b16 v4, 8, v2
	v_dual_mov_b32 v24, 0 :: v_dual_mov_b32 v25, 0
	s_mov_b32 s13, exec_lo
	v_cmpx_ne_u16_e32 0, v4
	s_cbranch_execz .LBB4_6030
; %bb.6021:                             ;   in Loop: Header=BB4_5820 Depth=3
	v_bfrev_b32_e32 v25, 1
	s_mov_b32 s42, exec_lo
	v_cmpx_ne_u16_e32 0x80, v4
	s_cbranch_execz .LBB4_6029
; %bb.6022:                             ;   in Loop: Header=BB4_5820 Depth=3
	v_and_b32_e32 v67, 0xffff, v4
	s_delay_alu instid0(VALU_DEP_1) | instskip(SKIP_1) | instid1(VALU_DEP_2)
	v_and_b32_e32 v25, 0x7c, v67
	v_and_b32_e32 v5, 3, v67
	v_cmp_ne_u32_e32 vcc_lo, 0x7c, v25
                                        ; implicit-def: $vgpr25
	s_and_saveexec_b32 s43, vcc_lo
	s_delay_alu instid0(SALU_CYCLE_1)
	s_xor_b32 s43, exec_lo, s43
	s_cbranch_execz .LBB4_6026
; %bb.6023:                             ;   in Loop: Header=BB4_5820 Depth=3
	v_bfe_u32 v25, v67, 2, 5
	s_mov_b32 s72, exec_lo
	s_delay_alu instid0(VALU_DEP_1)
	v_cmpx_eq_u32_e32 0, v25
	s_cbranch_execz .LBB4_6025
; %bb.6024:                             ;   in Loop: Header=BB4_5820 Depth=3
	v_clz_i32_u32_e32 v5, v5
	s_delay_alu instid0(VALU_DEP_1) | instskip(SKIP_1) | instid1(VALU_DEP_2)
	v_min_u32_e32 v25, 32, v5
	v_mov_b32_e32 v5, v3
	v_subrev_nc_u32_e32 v67, 29, v25
	v_sub_nc_u32_e32 v25, 30, v25
	s_delay_alu instid0(VALU_DEP_2) | instskip(NEXT) | instid1(VALU_DEP_1)
	v_lshlrev_b64_e32 v[4:5], v67, v[4:5]
	v_and_b32_e32 v5, 3, v4
.LBB4_6025:                             ;   in Loop: Header=BB4_5820 Depth=3
	s_or_b32 exec_lo, exec_lo, s72
	v_lshlrev_b32_e32 v2, 16, v2
	s_delay_alu instid0(VALU_DEP_1) | instskip(NEXT) | instid1(VALU_DEP_1)
	v_and_b32_e32 v2, 0x80000000, v2
	v_lshl_add_u32 v2, v25, 23, v2
	s_delay_alu instid0(VALU_DEP_1) | instskip(NEXT) | instid1(VALU_DEP_1)
	v_lshl_or_b32 v2, v5, 21, v2
                                        ; implicit-def: $vgpr5
	v_add_nc_u32_e32 v25, 0x38000000, v2
.LBB4_6026:                             ;   in Loop: Header=BB4_5820 Depth=3
	s_and_not1_saveexec_b32 s43, s43
; %bb.6027:                             ;   in Loop: Header=BB4_5820 Depth=3
	v_cmp_lt_i16_e32 vcc_lo, -1, v2
	v_cndmask_b32_e32 v2, 0xff800000, v112, vcc_lo
	v_cmp_eq_u32_e32 vcc_lo, 0, v5
	s_delay_alu instid0(VALU_DEP_2)
	v_cndmask_b32_e32 v25, 0x7f800001, v2, vcc_lo
; %bb.6028:                             ;   in Loop: Header=BB4_5820 Depth=3
	s_or_b32 exec_lo, exec_lo, s43
.LBB4_6029:                             ;   in Loop: Header=BB4_5820 Depth=3
	s_delay_alu instid0(SALU_CYCLE_1)
	s_or_b32 exec_lo, exec_lo, s42
.LBB4_6030:                             ;   in Loop: Header=BB4_5820 Depth=3
	s_delay_alu instid0(SALU_CYCLE_1) | instskip(SKIP_2) | instid1(VALU_DEP_1)
	s_or_b32 exec_lo, exec_lo, s13
	v_lshrrev_b16 v4, 8, v17
	s_mov_b32 s13, exec_lo
	v_cmpx_ne_u16_e32 0, v4
	s_cbranch_execz .LBB4_6040
; %bb.6031:                             ;   in Loop: Header=BB4_5820 Depth=3
	v_bfrev_b32_e32 v24, 1
	s_mov_b32 s42, exec_lo
	v_cmpx_ne_u16_e32 0x80, v4
	s_cbranch_execz .LBB4_6039
; %bb.6032:                             ;   in Loop: Header=BB4_5820 Depth=3
	v_and_b32_e32 v5, 0xffff, v4
	s_delay_alu instid0(VALU_DEP_1) | instskip(SKIP_1) | instid1(VALU_DEP_2)
	v_and_b32_e32 v24, 0x7c, v5
	v_and_b32_e32 v2, 3, v5
	v_cmp_ne_u32_e32 vcc_lo, 0x7c, v24
                                        ; implicit-def: $vgpr24
	s_and_saveexec_b32 s43, vcc_lo
	s_delay_alu instid0(SALU_CYCLE_1)
	s_xor_b32 s43, exec_lo, s43
	s_cbranch_execz .LBB4_6036
; %bb.6033:                             ;   in Loop: Header=BB4_5820 Depth=3
	v_bfe_u32 v5, v5, 2, 5
	s_mov_b32 s72, exec_lo
	s_delay_alu instid0(VALU_DEP_1)
	v_cmpx_eq_u32_e32 0, v5
; %bb.6034:                             ;   in Loop: Header=BB4_5820 Depth=3
	v_clz_i32_u32_e32 v2, v2
	v_mov_b32_e32 v5, v3
	s_delay_alu instid0(VALU_DEP_2) | instskip(NEXT) | instid1(VALU_DEP_1)
	v_min_u32_e32 v2, 32, v2
	v_subrev_nc_u32_e32 v24, 29, v2
	s_delay_alu instid0(VALU_DEP_1) | instskip(NEXT) | instid1(VALU_DEP_1)
	v_lshlrev_b64_e32 v[4:5], v24, v[4:5]
	v_dual_sub_nc_u32 v5, 30, v2 :: v_dual_bitop2_b32 v2, 3, v4 bitop3:0x40
; %bb.6035:                             ;   in Loop: Header=BB4_5820 Depth=3
	s_or_b32 exec_lo, exec_lo, s72
	v_lshlrev_b32_e32 v4, 16, v17
	s_delay_alu instid0(VALU_DEP_1) | instskip(NEXT) | instid1(VALU_DEP_1)
	v_and_b32_e32 v4, 0x80000000, v4
	v_lshl_add_u32 v4, v5, 23, v4
	s_delay_alu instid0(VALU_DEP_1) | instskip(NEXT) | instid1(VALU_DEP_1)
	v_lshl_or_b32 v2, v2, 21, v4
	v_add_nc_u32_e32 v24, 0x38000000, v2
                                        ; implicit-def: $vgpr2
.LBB4_6036:                             ;   in Loop: Header=BB4_5820 Depth=3
	s_and_not1_saveexec_b32 s43, s43
; %bb.6037:                             ;   in Loop: Header=BB4_5820 Depth=3
	v_cmp_lt_i16_e32 vcc_lo, -1, v17
	v_cndmask_b32_e32 v4, 0xff800000, v112, vcc_lo
	v_cmp_eq_u32_e32 vcc_lo, 0, v2
	s_delay_alu instid0(VALU_DEP_2)
	v_cndmask_b32_e32 v24, 0x7f800001, v4, vcc_lo
; %bb.6038:                             ;   in Loop: Header=BB4_5820 Depth=3
	s_or_b32 exec_lo, exec_lo, s43
.LBB4_6039:                             ;   in Loop: Header=BB4_5820 Depth=3
	s_delay_alu instid0(SALU_CYCLE_1)
	s_or_b32 exec_lo, exec_lo, s42
.LBB4_6040:                             ;   in Loop: Header=BB4_5820 Depth=3
	s_delay_alu instid0(SALU_CYCLE_1) | instskip(NEXT) | instid1(VALU_DEP_1)
	s_or_b32 exec_lo, exec_lo, s13
	v_dual_mul_f32 v4, v25, v24 :: v_dual_mov_b32 v25, v3
                                        ; implicit-def: $vgpr67
	s_mov_b32 s13, exec_lo
	s_delay_alu instid0(VALU_DEP_1) | instskip(SKIP_2) | instid1(VALU_DEP_3)
	v_and_b32_e32 v24, 0x7f800000, v4
	v_and_b32_e32 v2, 0x7fffff, v4
	v_lshrrev_b32_e32 v5, 24, v4
	v_cmpx_ne_u64_e32 0x7f800000, v[24:25]
	s_xor_b32 s42, exec_lo, s13
	s_cbranch_execz .LBB4_6054
; %bb.6041:                             ;   in Loop: Header=BB4_5820 Depth=3
	v_and_b32_e32 v24, 0x7fffffff, v4
	v_mov_b32_e32 v25, v3
	v_and_b32_e32 v84, 0x80, v5
                                        ; implicit-def: $vgpr67
	s_mov_b32 s13, exec_lo
	s_delay_alu instid0(VALU_DEP_2)
	v_cmpx_gt_u64_e32 0x47600001, v[24:25]
	s_xor_b32 s43, exec_lo, s13
	s_cbranch_execz .LBB4_6051
; %bb.6042:                             ;   in Loop: Header=BB4_5820 Depth=3
	v_mov_b32_e32 v67, 0
	s_mov_b32 s72, exec_lo
	v_cmpx_ne_u32_e32 0, v4
	s_cbranch_execz .LBB4_6050
; %bb.6043:                             ;   in Loop: Header=BB4_5820 Depth=3
	v_bfe_u32 v67, v4, 23, 8
	v_or_b32_e32 v24, 0x800000, v2
	s_mov_b32 s73, exec_lo
	s_delay_alu instid0(VALU_DEP_2) | instskip(SKIP_1) | instid1(VALU_DEP_2)
	v_dual_mov_b32 v25, v3 :: v_dual_sub_nc_u32 v4, 0x71, v67
	v_cmp_gt_u32_e32 vcc_lo, 0x72, v67
	v_cndmask_b32_e32 v4, 0, v4, vcc_lo
	v_cmp_eq_u32_e32 vcc_lo, 0, v67
	s_delay_alu instid0(VALU_DEP_2) | instskip(NEXT) | instid1(VALU_DEP_1)
	v_cndmask_b32_e64 v85, v4, 0x70, vcc_lo
	v_dual_cndmask_b32 v24, v24, v2, vcc_lo :: v_dual_add_nc_u32 v4, 21, v85
	v_add_nc_u32_e32 v100, 20, v85
	s_delay_alu instid0(VALU_DEP_2) | instskip(NEXT) | instid1(VALU_DEP_2)
	v_lshlrev_b64_e64 v[4:5], v4, -1
	v_lshlrev_b64_e64 v[100:101], v100, 1
	s_delay_alu instid0(VALU_DEP_2) | instskip(NEXT) | instid1(VALU_DEP_3)
	v_bfi_b32 v103, v5, 0, 0
	v_bfi_b32 v102, v4, 0, v24
	v_lshrrev_b64 v[4:5], v85, v[24:25]
	s_delay_alu instid0(VALU_DEP_1) | instskip(NEXT) | instid1(VALU_DEP_3)
	v_mov_b64_e32 v[24:25], v[4:5]
	v_cmpx_eq_u64_e64 v[102:103], v[100:101]
; %bb.6044:                             ;   in Loop: Header=BB4_5820 Depth=3
	v_bfe_u32 v24, v4, 21, 1
	v_mov_b32_e32 v25, v3
	s_delay_alu instid0(VALU_DEP_1) | instskip(NEXT) | instid1(VALU_DEP_1)
	v_add_nc_u64_e32 v[24:25], v[4:5], v[24:25]
	v_add_nc_u64_e32 v[24:25], -1, v[24:25]
; %bb.6045:                             ;   in Loop: Header=BB4_5820 Depth=3
	s_or_b32 exec_lo, exec_lo, s73
	v_add_nc_u32_e32 v2, 0xffffff81, v67
	v_lshrrev_b32_e32 v5, 23, v4
	s_mov_b32 s13, exec_lo
	s_delay_alu instid0(VALU_DEP_2) | instskip(NEXT) | instid1(VALU_DEP_1)
	v_cndmask_b32_e64 v2, v2, 0xffffff82, vcc_lo
	v_add3_u32 v25, v85, v2, v5
	v_and_b32_e32 v2, 0x1fffff, v24
                                        ; implicit-def: $vgpr24
	s_delay_alu instid0(VALU_DEP_1) | instskip(NEXT) | instid1(VALU_DEP_1)
	v_dual_add_nc_u32 v67, 14, v25 :: v_dual_add_nc_u32 v2, v2, v4
                                        ; implicit-def: $vgpr4_vgpr5
	v_cmpx_ne_u32_e32 0, v67
	s_xor_b32 s13, exec_lo, s13
; %bb.6046:                             ;   in Loop: Header=BB4_5820 Depth=3
	s_delay_alu instid0(VALU_DEP_2) | instskip(SKIP_1) | instid1(VALU_DEP_1)
	v_cmp_lt_u64_e32 vcc_lo, 0xffffff, v[2:3]
	v_add_nc_u32_e32 v4, 15, v25
	v_cndmask_b32_e32 v24, v67, v4, vcc_lo
	v_cndmask_b32_e64 v4, 0, 1, vcc_lo
	s_delay_alu instid0(VALU_DEP_1)
	v_lshrrev_b64 v[4:5], v4, v[2:3]
; %bb.6047:                             ;   in Loop: Header=BB4_5820 Depth=3
	s_and_not1_saveexec_b32 s13, s13
; %bb.6048:                             ;   in Loop: Header=BB4_5820 Depth=3
	v_mov_b64_e32 v[4:5], v[2:3]
	v_bfe_u32 v24, v2, 23, 1
; %bb.6049:                             ;   in Loop: Header=BB4_5820 Depth=3
	s_or_b32 exec_lo, exec_lo, s13
	s_delay_alu instid0(VALU_DEP_2) | instskip(NEXT) | instid1(VALU_DEP_2)
	v_lshrrev_b64 v[4:5], 21, v[4:5]
	v_cmp_gt_i32_e32 vcc_lo, 32, v24
	v_min_i32_e32 v2, 31, v24
	v_cmp_eq_u32_e64 s13, 0, v24
	s_delay_alu instid0(VALU_DEP_2) | instskip(SKIP_1) | instid1(VALU_DEP_2)
	v_dual_cndmask_b32 v5, 0, v5 :: v_dual_lshlrev_b32 v2, 2, v2
	v_cndmask_b32_e32 v4, 3, v4, vcc_lo
	v_and_b32_e32 v2, 0xfc, v2
	s_delay_alu instid0(VALU_DEP_2) | instskip(NEXT) | instid1(VALU_DEP_2)
	v_cmp_eq_u64_e32 vcc_lo, 0, v[4:5]
	v_and_or_b32 v2, v4, 3, v2
	s_and_b32 s13, s13, vcc_lo
	s_delay_alu instid0(VALU_DEP_1) | instid1(SALU_CYCLE_1)
	v_cndmask_b32_e64 v2, v2, 0, s13
	s_delay_alu instid0(VALU_DEP_1)
	v_or_b32_e32 v67, v2, v84
.LBB4_6050:                             ;   in Loop: Header=BB4_5820 Depth=3
	s_or_b32 exec_lo, exec_lo, s72
                                        ; implicit-def: $vgpr84
.LBB4_6051:                             ;   in Loop: Header=BB4_5820 Depth=3
	s_and_not1_saveexec_b32 s13, s43
; %bb.6052:                             ;   in Loop: Header=BB4_5820 Depth=3
	v_or_b32_e32 v67, 0x7b, v84
; %bb.6053:                             ;   in Loop: Header=BB4_5820 Depth=3
	s_or_b32 exec_lo, exec_lo, s13
                                        ; implicit-def: $vgpr4
                                        ; implicit-def: $vgpr5
.LBB4_6054:                             ;   in Loop: Header=BB4_5820 Depth=3
	s_and_not1_saveexec_b32 s13, s42
	s_cbranch_execz .LBB4_6060
; %bb.6055:                             ;   in Loop: Header=BB4_5820 Depth=3
	s_mov_b32 s42, exec_lo
                                        ; implicit-def: $vgpr67
	v_cmpx_ne_u64_e32 0, v[2:3]
	s_xor_b32 s42, exec_lo, s42
; %bb.6056:                             ;   in Loop: Header=BB4_5820 Depth=3
	v_or_b32_e32 v67, 0x7f, v5
                                        ; implicit-def: $vgpr4
; %bb.6057:                             ;   in Loop: Header=BB4_5820 Depth=3
	s_and_not1_saveexec_b32 s42, s42
; %bb.6058:                             ;   in Loop: Header=BB4_5820 Depth=3
	v_cmp_lt_i32_e32 vcc_lo, -1, v4
	v_cndmask_b32_e32 v67, 0xfc, v113, vcc_lo
; %bb.6059:                             ;   in Loop: Header=BB4_5820 Depth=3
	s_or_b32 exec_lo, exec_lo, s42
.LBB4_6060:                             ;   in Loop: Header=BB4_5820 Depth=3
	s_delay_alu instid0(SALU_CYCLE_1) | instskip(SKIP_3) | instid1(VALU_DEP_2)
	s_or_b32 exec_lo, exec_lo, s13
	v_dual_lshrrev_b32 v2, 16, v21 :: v_dual_mov_b32 v4, 0
	v_mov_b32_e32 v5, 0
	s_mov_b32 s13, exec_lo
	v_and_b32_e32 v24, 0xff, v2
	s_delay_alu instid0(VALU_DEP_1)
	v_cmpx_ne_u16_e32 0, v24
	s_cbranch_execz .LBB4_6070
; %bb.6061:                             ;   in Loop: Header=BB4_5820 Depth=3
	v_bfrev_b32_e32 v5, 1
	s_mov_b32 s42, exec_lo
	v_cmpx_ne_u16_e32 0x80, v24
	s_cbranch_execz .LBB4_6069
; %bb.6062:                             ;   in Loop: Header=BB4_5820 Depth=3
	v_and_b32_e32 v5, 0x7c0000, v21
	v_bfe_u32 v24, v21, 16, 2
	s_delay_alu instid0(VALU_DEP_2) | instskip(SKIP_1) | instid1(SALU_CYCLE_1)
	v_cmp_ne_u32_e32 vcc_lo, 0x7c0000, v5
                                        ; implicit-def: $vgpr5
	s_and_saveexec_b32 s43, vcc_lo
	s_xor_b32 s43, exec_lo, s43
	s_cbranch_execz .LBB4_6066
; %bb.6063:                             ;   in Loop: Header=BB4_5820 Depth=3
	v_bfe_u32 v5, v21, 18, 5
	s_mov_b32 s72, exec_lo
	s_delay_alu instid0(VALU_DEP_1)
	v_cmpx_eq_u32_e32 0, v5
; %bb.6064:                             ;   in Loop: Header=BB4_5820 Depth=3
	v_clz_i32_u32_e32 v5, v24
	s_delay_alu instid0(VALU_DEP_1) | instskip(NEXT) | instid1(VALU_DEP_1)
	v_min_u32_e32 v5, 32, v5
	v_subrev_nc_u32_e32 v24, 29, v5
	s_delay_alu instid0(VALU_DEP_1) | instskip(NEXT) | instid1(VALU_DEP_1)
	v_lshlrev_b64_e32 v[24:25], v24, v[2:3]
	v_dual_sub_nc_u32 v5, 30, v5 :: v_dual_bitop2_b32 v24, 3, v24 bitop3:0x40
; %bb.6065:                             ;   in Loop: Header=BB4_5820 Depth=3
	s_or_b32 exec_lo, exec_lo, s72
	v_lshlrev_b32_e32 v2, 24, v2
	s_delay_alu instid0(VALU_DEP_1) | instskip(NEXT) | instid1(VALU_DEP_1)
	v_and_b32_e32 v2, 0x80000000, v2
	v_lshl_add_u32 v2, v5, 23, v2
	s_delay_alu instid0(VALU_DEP_1) | instskip(NEXT) | instid1(VALU_DEP_1)
	v_lshl_or_b32 v2, v24, 21, v2
                                        ; implicit-def: $vgpr24
	v_add_nc_u32_e32 v5, 0x38000000, v2
                                        ; implicit-def: $vgpr2
.LBB4_6066:                             ;   in Loop: Header=BB4_5820 Depth=3
	s_and_not1_saveexec_b32 s43, s43
; %bb.6067:                             ;   in Loop: Header=BB4_5820 Depth=3
	v_bfe_i32 v2, v2, 0, 8
	s_delay_alu instid0(VALU_DEP_1) | instskip(SKIP_2) | instid1(VALU_DEP_2)
	v_cmp_lt_i16_e32 vcc_lo, -1, v2
	v_cndmask_b32_e32 v2, 0xff800000, v112, vcc_lo
	v_cmp_eq_u32_e32 vcc_lo, 0, v24
	v_cndmask_b32_e32 v5, 0x7f800001, v2, vcc_lo
; %bb.6068:                             ;   in Loop: Header=BB4_5820 Depth=3
	s_or_b32 exec_lo, exec_lo, s43
.LBB4_6069:                             ;   in Loop: Header=BB4_5820 Depth=3
	s_delay_alu instid0(SALU_CYCLE_1)
	s_or_b32 exec_lo, exec_lo, s42
.LBB4_6070:                             ;   in Loop: Header=BB4_5820 Depth=3
	s_delay_alu instid0(SALU_CYCLE_1) | instskip(SKIP_2) | instid1(VALU_DEP_1)
	s_or_b32 exec_lo, exec_lo, s13
	v_lshrrev_b32_e32 v2, 16, v17
	s_mov_b32 s13, exec_lo
	v_and_b32_e32 v24, 0xff, v2
	s_delay_alu instid0(VALU_DEP_1)
	v_cmpx_ne_u16_e32 0, v24
	s_cbranch_execz .LBB4_6080
; %bb.6071:                             ;   in Loop: Header=BB4_5820 Depth=3
	v_bfrev_b32_e32 v4, 1
	s_mov_b32 s42, exec_lo
	v_cmpx_ne_u16_e32 0x80, v24
	s_cbranch_execz .LBB4_6079
; %bb.6072:                             ;   in Loop: Header=BB4_5820 Depth=3
	v_and_b32_e32 v4, 0x7c0000, v17
	v_bfe_u32 v24, v17, 16, 2
	s_delay_alu instid0(VALU_DEP_2) | instskip(SKIP_1) | instid1(SALU_CYCLE_1)
	v_cmp_ne_u32_e32 vcc_lo, 0x7c0000, v4
                                        ; implicit-def: $vgpr4
	s_and_saveexec_b32 s43, vcc_lo
	s_xor_b32 s43, exec_lo, s43
	s_cbranch_execz .LBB4_6076
; %bb.6073:                             ;   in Loop: Header=BB4_5820 Depth=3
	v_bfe_u32 v4, v17, 18, 5
	s_mov_b32 s72, exec_lo
	s_delay_alu instid0(VALU_DEP_1)
	v_cmpx_eq_u32_e32 0, v4
; %bb.6074:                             ;   in Loop: Header=BB4_5820 Depth=3
	v_clz_i32_u32_e32 v4, v24
	s_delay_alu instid0(VALU_DEP_1) | instskip(NEXT) | instid1(VALU_DEP_1)
	v_min_u32_e32 v4, 32, v4
	v_subrev_nc_u32_e32 v24, 29, v4
	v_sub_nc_u32_e32 v4, 30, v4
	s_delay_alu instid0(VALU_DEP_2) | instskip(NEXT) | instid1(VALU_DEP_1)
	v_lshlrev_b64_e32 v[24:25], v24, v[2:3]
	v_and_b32_e32 v24, 3, v24
; %bb.6075:                             ;   in Loop: Header=BB4_5820 Depth=3
	s_or_b32 exec_lo, exec_lo, s72
	v_lshlrev_b32_e32 v2, 24, v2
	s_delay_alu instid0(VALU_DEP_1) | instskip(NEXT) | instid1(VALU_DEP_1)
	v_and_b32_e32 v2, 0x80000000, v2
	v_lshl_add_u32 v2, v4, 23, v2
	s_delay_alu instid0(VALU_DEP_1) | instskip(NEXT) | instid1(VALU_DEP_1)
	v_lshl_or_b32 v2, v24, 21, v2
                                        ; implicit-def: $vgpr24
	v_add_nc_u32_e32 v4, 0x38000000, v2
                                        ; implicit-def: $vgpr2
.LBB4_6076:                             ;   in Loop: Header=BB4_5820 Depth=3
	s_and_not1_saveexec_b32 s43, s43
; %bb.6077:                             ;   in Loop: Header=BB4_5820 Depth=3
	v_bfe_i32 v2, v2, 0, 8
	s_delay_alu instid0(VALU_DEP_1) | instskip(SKIP_2) | instid1(VALU_DEP_2)
	v_cmp_lt_i16_e32 vcc_lo, -1, v2
	v_cndmask_b32_e32 v2, 0xff800000, v112, vcc_lo
	v_cmp_eq_u32_e32 vcc_lo, 0, v24
	v_cndmask_b32_e32 v4, 0x7f800001, v2, vcc_lo
; %bb.6078:                             ;   in Loop: Header=BB4_5820 Depth=3
	s_or_b32 exec_lo, exec_lo, s43
.LBB4_6079:                             ;   in Loop: Header=BB4_5820 Depth=3
	s_delay_alu instid0(SALU_CYCLE_1)
	s_or_b32 exec_lo, exec_lo, s42
.LBB4_6080:                             ;   in Loop: Header=BB4_5820 Depth=3
	s_delay_alu instid0(SALU_CYCLE_1) | instskip(NEXT) | instid1(VALU_DEP_1)
	s_or_b32 exec_lo, exec_lo, s13
	v_dual_mul_f32 v4, v5, v4 :: v_dual_mov_b32 v25, v3
	s_delay_alu instid0(VALU_DEP_1) | instskip(SKIP_2) | instid1(VALU_DEP_3)
	v_and_b32_e32 v24, 0x7f800000, v4
	v_and_b32_e32 v2, 0x7fffff, v4
	v_lshrrev_b32_e32 v5, 24, v4
	v_cmp_ne_u64_e32 vcc_lo, 0x7f800000, v[24:25]
                                        ; implicit-def: $vgpr24
	s_and_saveexec_b32 s13, vcc_lo
	s_delay_alu instid0(SALU_CYCLE_1)
	s_xor_b32 s42, exec_lo, s13
	s_cbranch_execz .LBB4_6094
; %bb.6081:                             ;   in Loop: Header=BB4_5820 Depth=3
	v_and_b32_e32 v24, 0x7fffffff, v4
	v_mov_b32_e32 v25, v3
	v_and_b32_e32 v84, 0x80, v5
	s_delay_alu instid0(VALU_DEP_2) | instskip(SKIP_1) | instid1(SALU_CYCLE_1)
	v_cmp_gt_u64_e32 vcc_lo, 0x47600001, v[24:25]
                                        ; implicit-def: $vgpr24
	s_and_saveexec_b32 s13, vcc_lo
	s_xor_b32 s43, exec_lo, s13
	s_cbranch_execz .LBB4_6091
; %bb.6082:                             ;   in Loop: Header=BB4_5820 Depth=3
	v_mov_b32_e32 v24, 0
	s_mov_b32 s72, exec_lo
	v_cmpx_ne_u32_e32 0, v4
	s_cbranch_execz .LBB4_6090
; %bb.6083:                             ;   in Loop: Header=BB4_5820 Depth=3
	v_bfe_u32 v85, v4, 23, 8
	v_or_b32_e32 v24, 0x800000, v2
	s_mov_b32 s73, exec_lo
	s_delay_alu instid0(VALU_DEP_2) | instskip(SKIP_1) | instid1(VALU_DEP_2)
	v_dual_mov_b32 v25, v3 :: v_dual_sub_nc_u32 v4, 0x71, v85
	v_cmp_gt_u32_e32 vcc_lo, 0x72, v85
	v_cndmask_b32_e32 v4, 0, v4, vcc_lo
	v_cmp_eq_u32_e32 vcc_lo, 0, v85
	v_cndmask_b32_e32 v24, v24, v2, vcc_lo
	s_delay_alu instid0(VALU_DEP_3) | instskip(NEXT) | instid1(VALU_DEP_1)
	v_cndmask_b32_e64 v100, v4, 0x70, vcc_lo
	v_dual_add_nc_u32 v4, 21, v100 :: v_dual_add_nc_u32 v101, 20, v100
	s_delay_alu instid0(VALU_DEP_1) | instskip(NEXT) | instid1(VALU_DEP_2)
	v_lshlrev_b64_e64 v[4:5], v4, -1
	v_lshlrev_b64_e64 v[102:103], v101, 1
	s_delay_alu instid0(VALU_DEP_2) | instskip(NEXT) | instid1(VALU_DEP_3)
	v_bfi_b32 v117, v5, 0, 0
	v_bfi_b32 v116, v4, 0, v24
	v_lshrrev_b64 v[4:5], v100, v[24:25]
	s_delay_alu instid0(VALU_DEP_1) | instskip(NEXT) | instid1(VALU_DEP_3)
	v_mov_b64_e32 v[24:25], v[4:5]
	v_cmpx_eq_u64_e64 v[116:117], v[102:103]
; %bb.6084:                             ;   in Loop: Header=BB4_5820 Depth=3
	v_bfe_u32 v24, v4, 21, 1
	v_mov_b32_e32 v25, v3
	s_delay_alu instid0(VALU_DEP_1) | instskip(NEXT) | instid1(VALU_DEP_1)
	v_add_nc_u64_e32 v[24:25], v[4:5], v[24:25]
	v_add_nc_u64_e32 v[24:25], -1, v[24:25]
; %bb.6085:                             ;   in Loop: Header=BB4_5820 Depth=3
	s_or_b32 exec_lo, exec_lo, s73
	v_add_nc_u32_e32 v2, 0xffffff81, v85
	v_lshrrev_b32_e32 v5, 23, v4
	s_mov_b32 s13, exec_lo
	s_delay_alu instid0(VALU_DEP_2) | instskip(NEXT) | instid1(VALU_DEP_1)
	v_cndmask_b32_e64 v2, v2, 0xffffff82, vcc_lo
	v_add3_u32 v25, v100, v2, v5
	v_and_b32_e32 v2, 0x1fffff, v24
                                        ; implicit-def: $vgpr24
	s_delay_alu instid0(VALU_DEP_1) | instskip(NEXT) | instid1(VALU_DEP_1)
	v_dual_add_nc_u32 v85, 14, v25 :: v_dual_add_nc_u32 v2, v2, v4
                                        ; implicit-def: $vgpr4_vgpr5
	v_cmpx_ne_u32_e32 0, v85
	s_xor_b32 s13, exec_lo, s13
; %bb.6086:                             ;   in Loop: Header=BB4_5820 Depth=3
	s_delay_alu instid0(VALU_DEP_2) | instskip(SKIP_1) | instid1(VALU_DEP_1)
	v_cmp_lt_u64_e32 vcc_lo, 0xffffff, v[2:3]
	v_add_nc_u32_e32 v4, 15, v25
	v_cndmask_b32_e32 v24, v85, v4, vcc_lo
	v_cndmask_b32_e64 v4, 0, 1, vcc_lo
	s_delay_alu instid0(VALU_DEP_1)
	v_lshrrev_b64 v[4:5], v4, v[2:3]
; %bb.6087:                             ;   in Loop: Header=BB4_5820 Depth=3
	s_and_not1_saveexec_b32 s13, s13
; %bb.6088:                             ;   in Loop: Header=BB4_5820 Depth=3
	v_mov_b64_e32 v[4:5], v[2:3]
	v_bfe_u32 v24, v2, 23, 1
; %bb.6089:                             ;   in Loop: Header=BB4_5820 Depth=3
	s_or_b32 exec_lo, exec_lo, s13
	s_delay_alu instid0(VALU_DEP_2) | instskip(NEXT) | instid1(VALU_DEP_2)
	v_lshrrev_b64 v[4:5], 21, v[4:5]
	v_cmp_gt_i32_e32 vcc_lo, 32, v24
	v_min_i32_e32 v2, 31, v24
	v_cmp_eq_u32_e64 s13, 0, v24
	s_delay_alu instid0(VALU_DEP_2) | instskip(SKIP_1) | instid1(VALU_DEP_2)
	v_dual_cndmask_b32 v5, 0, v5 :: v_dual_lshlrev_b32 v2, 2, v2
	v_cndmask_b32_e32 v4, 3, v4, vcc_lo
	v_and_b32_e32 v2, 0xfc, v2
	s_delay_alu instid0(VALU_DEP_2) | instskip(NEXT) | instid1(VALU_DEP_2)
	v_cmp_eq_u64_e32 vcc_lo, 0, v[4:5]
	v_and_or_b32 v2, v4, 3, v2
	s_and_b32 s13, s13, vcc_lo
	s_delay_alu instid0(VALU_DEP_1) | instid1(SALU_CYCLE_1)
	v_cndmask_b32_e64 v2, v2, 0, s13
	s_delay_alu instid0(VALU_DEP_1)
	v_or_b32_e32 v24, v2, v84
.LBB4_6090:                             ;   in Loop: Header=BB4_5820 Depth=3
	s_or_b32 exec_lo, exec_lo, s72
                                        ; implicit-def: $vgpr84
.LBB4_6091:                             ;   in Loop: Header=BB4_5820 Depth=3
	s_and_not1_saveexec_b32 s13, s43
; %bb.6092:                             ;   in Loop: Header=BB4_5820 Depth=3
	v_or_b32_e32 v24, 0x7b, v84
; %bb.6093:                             ;   in Loop: Header=BB4_5820 Depth=3
	s_or_b32 exec_lo, exec_lo, s13
                                        ; implicit-def: $vgpr4
                                        ; implicit-def: $vgpr5
.LBB4_6094:                             ;   in Loop: Header=BB4_5820 Depth=3
	s_and_not1_saveexec_b32 s13, s42
	s_cbranch_execz .LBB4_6100
; %bb.6095:                             ;   in Loop: Header=BB4_5820 Depth=3
	s_mov_b32 s42, exec_lo
                                        ; implicit-def: $vgpr24
	v_cmpx_ne_u64_e32 0, v[2:3]
	s_xor_b32 s42, exec_lo, s42
; %bb.6096:                             ;   in Loop: Header=BB4_5820 Depth=3
	v_or_b32_e32 v24, 0x7f, v5
                                        ; implicit-def: $vgpr4
; %bb.6097:                             ;   in Loop: Header=BB4_5820 Depth=3
	s_and_not1_saveexec_b32 s42, s42
; %bb.6098:                             ;   in Loop: Header=BB4_5820 Depth=3
	v_cmp_lt_i32_e32 vcc_lo, -1, v4
	v_cndmask_b32_e32 v24, 0xfc, v113, vcc_lo
; %bb.6099:                             ;   in Loop: Header=BB4_5820 Depth=3
	s_or_b32 exec_lo, exec_lo, s42
.LBB4_6100:                             ;   in Loop: Header=BB4_5820 Depth=3
	s_delay_alu instid0(SALU_CYCLE_1)
	s_or_b32 exec_lo, exec_lo, s13
	v_dual_mov_b32 v4, 0 :: v_dual_mov_b32 v5, 0
	s_mov_b32 s13, exec_lo
	v_cmpx_lt_u64_e64 s[22:23], v[20:21]
	s_cbranch_execz .LBB4_6110
; %bb.6101:                             ;   in Loop: Header=BB4_5820 Depth=3
	v_lshrrev_b32_e32 v2, 24, v21
	v_bfrev_b32_e32 v5, 1
	s_mov_b32 s42, exec_lo
	s_delay_alu instid0(VALU_DEP_2)
	v_cmpx_ne_u32_e32 0x80, v2
	s_cbranch_execz .LBB4_6109
; %bb.6102:                             ;   in Loop: Header=BB4_5820 Depth=3
	v_and_b32_e32 v5, 0x7c000000, v21
	v_bfe_u32 v25, v21, 24, 2
	s_delay_alu instid0(VALU_DEP_2) | instskip(SKIP_1) | instid1(SALU_CYCLE_1)
	v_cmp_ne_u32_e32 vcc_lo, 0x7c000000, v5
                                        ; implicit-def: $vgpr5
	s_and_saveexec_b32 s43, vcc_lo
	s_xor_b32 s43, exec_lo, s43
	s_cbranch_execz .LBB4_6106
; %bb.6103:                             ;   in Loop: Header=BB4_5820 Depth=3
	v_bfe_u32 v5, v21, 26, 5
	s_mov_b32 s72, exec_lo
	s_delay_alu instid0(VALU_DEP_1)
	v_cmpx_eq_u32_e32 0, v5
; %bb.6104:                             ;   in Loop: Header=BB4_5820 Depth=3
	v_clz_i32_u32_e32 v5, v25
	s_delay_alu instid0(VALU_DEP_1) | instskip(NEXT) | instid1(VALU_DEP_1)
	v_min_u32_e32 v5, 32, v5
	v_subrev_nc_u32_e32 v25, 29, v5
	s_delay_alu instid0(VALU_DEP_1) | instskip(NEXT) | instid1(VALU_DEP_1)
	v_lshlrev_b64_e32 v[84:85], v25, v[2:3]
	v_dual_sub_nc_u32 v5, 30, v5 :: v_dual_bitop2_b32 v25, 3, v84 bitop3:0x40
; %bb.6105:                             ;   in Loop: Header=BB4_5820 Depth=3
	s_or_b32 exec_lo, exec_lo, s72
	v_and_b32_e32 v2, 0x80000000, v21
	s_delay_alu instid0(VALU_DEP_1) | instskip(NEXT) | instid1(VALU_DEP_1)
	v_lshl_add_u32 v2, v5, 23, v2
	v_lshl_or_b32 v2, v25, 21, v2
                                        ; implicit-def: $vgpr25
	s_delay_alu instid0(VALU_DEP_1)
	v_add_nc_u32_e32 v5, 0x38000000, v2
.LBB4_6106:                             ;   in Loop: Header=BB4_5820 Depth=3
	s_and_not1_saveexec_b32 s43, s43
; %bb.6107:                             ;   in Loop: Header=BB4_5820 Depth=3
	v_cmp_lt_i64_e32 vcc_lo, -1, v[20:21]
	v_cndmask_b32_e32 v2, 0xff800000, v112, vcc_lo
	v_cmp_eq_u32_e32 vcc_lo, 0, v25
	s_delay_alu instid0(VALU_DEP_2)
	v_cndmask_b32_e32 v5, 0x7f800001, v2, vcc_lo
; %bb.6108:                             ;   in Loop: Header=BB4_5820 Depth=3
	s_or_b32 exec_lo, exec_lo, s43
.LBB4_6109:                             ;   in Loop: Header=BB4_5820 Depth=3
	s_delay_alu instid0(SALU_CYCLE_1)
	s_or_b32 exec_lo, exec_lo, s42
.LBB4_6110:                             ;   in Loop: Header=BB4_5820 Depth=3
	s_delay_alu instid0(SALU_CYCLE_1) | instskip(NEXT) | instid1(SALU_CYCLE_1)
	s_or_b32 exec_lo, exec_lo, s13
	s_mov_b32 s13, exec_lo
	v_cmpx_lt_u64_e64 s[22:23], v[16:17]
	s_cbranch_execz .LBB4_6120
; %bb.6111:                             ;   in Loop: Header=BB4_5820 Depth=3
	v_lshrrev_b32_e32 v2, 24, v17
	v_bfrev_b32_e32 v4, 1
	s_mov_b32 s42, exec_lo
	s_delay_alu instid0(VALU_DEP_2)
	v_cmpx_ne_u32_e32 0x80, v2
	s_cbranch_execz .LBB4_6119
; %bb.6112:                             ;   in Loop: Header=BB4_5820 Depth=3
	v_and_b32_e32 v4, 0x7c000000, v17
	v_bfe_u32 v20, v17, 24, 2
	s_delay_alu instid0(VALU_DEP_2) | instskip(SKIP_1) | instid1(SALU_CYCLE_1)
	v_cmp_ne_u32_e32 vcc_lo, 0x7c000000, v4
                                        ; implicit-def: $vgpr4
	s_and_saveexec_b32 s43, vcc_lo
	s_xor_b32 s43, exec_lo, s43
	s_cbranch_execz .LBB4_6116
; %bb.6113:                             ;   in Loop: Header=BB4_5820 Depth=3
	v_bfe_u32 v4, v17, 26, 5
	s_mov_b32 s72, exec_lo
	s_delay_alu instid0(VALU_DEP_1)
	v_cmpx_eq_u32_e32 0, v4
; %bb.6114:                             ;   in Loop: Header=BB4_5820 Depth=3
	v_clz_i32_u32_e32 v4, v20
	s_delay_alu instid0(VALU_DEP_1) | instskip(NEXT) | instid1(VALU_DEP_1)
	v_min_u32_e32 v4, 32, v4
	v_subrev_nc_u32_e32 v20, 29, v4
	v_sub_nc_u32_e32 v4, 30, v4
	s_delay_alu instid0(VALU_DEP_2) | instskip(NEXT) | instid1(VALU_DEP_1)
	v_lshlrev_b64_e32 v[20:21], v20, v[2:3]
	v_and_b32_e32 v20, 3, v20
; %bb.6115:                             ;   in Loop: Header=BB4_5820 Depth=3
	s_or_b32 exec_lo, exec_lo, s72
	v_and_b32_e32 v2, 0x80000000, v17
	s_delay_alu instid0(VALU_DEP_1) | instskip(NEXT) | instid1(VALU_DEP_1)
	v_lshl_add_u32 v2, v4, 23, v2
	v_lshl_or_b32 v2, v20, 21, v2
                                        ; implicit-def: $vgpr20
	s_delay_alu instid0(VALU_DEP_1)
	v_add_nc_u32_e32 v4, 0x38000000, v2
.LBB4_6116:                             ;   in Loop: Header=BB4_5820 Depth=3
	s_and_not1_saveexec_b32 s43, s43
; %bb.6117:                             ;   in Loop: Header=BB4_5820 Depth=3
	v_cmp_lt_i64_e32 vcc_lo, -1, v[16:17]
	v_cndmask_b32_e32 v2, 0xff800000, v112, vcc_lo
	v_cmp_eq_u32_e32 vcc_lo, 0, v20
	s_delay_alu instid0(VALU_DEP_2)
	v_cndmask_b32_e32 v4, 0x7f800001, v2, vcc_lo
; %bb.6118:                             ;   in Loop: Header=BB4_5820 Depth=3
	s_or_b32 exec_lo, exec_lo, s43
.LBB4_6119:                             ;   in Loop: Header=BB4_5820 Depth=3
	s_delay_alu instid0(SALU_CYCLE_1)
	s_or_b32 exec_lo, exec_lo, s42
.LBB4_6120:                             ;   in Loop: Header=BB4_5820 Depth=3
	s_delay_alu instid0(SALU_CYCLE_1) | instskip(NEXT) | instid1(VALU_DEP_1)
	s_or_b32 exec_lo, exec_lo, s13
	v_dual_mul_f32 v4, v5, v4 :: v_dual_mov_b32 v17, v3
                                        ; implicit-def: $vgpr20
	s_mov_b32 s13, exec_lo
	s_delay_alu instid0(VALU_DEP_1) | instskip(SKIP_2) | instid1(VALU_DEP_3)
	v_and_b32_e32 v16, 0x7f800000, v4
	v_and_b32_e32 v2, 0x7fffff, v4
	v_lshrrev_b32_e32 v5, 24, v4
	v_cmpx_ne_u64_e32 0x7f800000, v[16:17]
	s_xor_b32 s42, exec_lo, s13
	s_cbranch_execz .LBB4_6134
; %bb.6121:                             ;   in Loop: Header=BB4_5820 Depth=3
	v_and_b32_e32 v16, 0x7fffffff, v4
	v_mov_b32_e32 v17, v3
	v_and_b32_e32 v21, 0x80, v5
                                        ; implicit-def: $vgpr20
	s_mov_b32 s13, exec_lo
	s_delay_alu instid0(VALU_DEP_2)
	v_cmpx_gt_u64_e32 0x47600001, v[16:17]
	s_xor_b32 s43, exec_lo, s13
	s_cbranch_execz .LBB4_6131
; %bb.6122:                             ;   in Loop: Header=BB4_5820 Depth=3
	v_mov_b32_e32 v20, 0
	s_mov_b32 s72, exec_lo
	v_cmpx_ne_u32_e32 0, v4
	s_cbranch_execz .LBB4_6130
; %bb.6123:                             ;   in Loop: Header=BB4_5820 Depth=3
	v_bfe_u32 v20, v4, 23, 8
	v_or_b32_e32 v16, 0x800000, v2
	s_mov_b32 s73, exec_lo
	s_delay_alu instid0(VALU_DEP_2) | instskip(SKIP_1) | instid1(VALU_DEP_2)
	v_dual_mov_b32 v17, v3 :: v_dual_sub_nc_u32 v4, 0x71, v20
	v_cmp_gt_u32_e32 vcc_lo, 0x72, v20
	v_cndmask_b32_e32 v4, 0, v4, vcc_lo
	v_cmp_eq_u32_e32 vcc_lo, 0, v20
	s_delay_alu instid0(VALU_DEP_2) | instskip(NEXT) | instid1(VALU_DEP_1)
	v_cndmask_b32_e64 v25, v4, 0x70, vcc_lo
	v_dual_cndmask_b32 v16, v16, v2, vcc_lo :: v_dual_add_nc_u32 v4, 21, v25
	v_add_nc_u32_e32 v84, 20, v25
	s_delay_alu instid0(VALU_DEP_2) | instskip(NEXT) | instid1(VALU_DEP_2)
	v_lshlrev_b64_e64 v[4:5], v4, -1
	v_lshlrev_b64_e64 v[84:85], v84, 1
	s_delay_alu instid0(VALU_DEP_2) | instskip(NEXT) | instid1(VALU_DEP_3)
	v_bfi_b32 v101, v5, 0, 0
	v_bfi_b32 v100, v4, 0, v16
	v_lshrrev_b64 v[4:5], v25, v[16:17]
	s_delay_alu instid0(VALU_DEP_1) | instskip(NEXT) | instid1(VALU_DEP_3)
	v_mov_b64_e32 v[16:17], v[4:5]
	v_cmpx_eq_u64_e64 v[100:101], v[84:85]
; %bb.6124:                             ;   in Loop: Header=BB4_5820 Depth=3
	v_bfe_u32 v16, v4, 21, 1
	v_mov_b32_e32 v17, v3
	s_delay_alu instid0(VALU_DEP_1) | instskip(NEXT) | instid1(VALU_DEP_1)
	v_add_nc_u64_e32 v[16:17], v[4:5], v[16:17]
	v_add_nc_u64_e32 v[16:17], -1, v[16:17]
; %bb.6125:                             ;   in Loop: Header=BB4_5820 Depth=3
	s_or_b32 exec_lo, exec_lo, s73
	v_add_nc_u32_e32 v2, 0xffffff81, v20
	v_lshrrev_b32_e32 v5, 23, v4
	s_mov_b32 s13, exec_lo
	s_delay_alu instid0(VALU_DEP_2) | instskip(NEXT) | instid1(VALU_DEP_1)
	v_cndmask_b32_e64 v2, v2, 0xffffff82, vcc_lo
	v_add3_u32 v17, v25, v2, v5
	v_and_b32_e32 v2, 0x1fffff, v16
                                        ; implicit-def: $vgpr16
	s_delay_alu instid0(VALU_DEP_1) | instskip(NEXT) | instid1(VALU_DEP_1)
	v_dual_add_nc_u32 v20, 14, v17 :: v_dual_add_nc_u32 v2, v2, v4
                                        ; implicit-def: $vgpr4_vgpr5
	v_cmpx_ne_u32_e32 0, v20
	s_xor_b32 s13, exec_lo, s13
; %bb.6126:                             ;   in Loop: Header=BB4_5820 Depth=3
	s_delay_alu instid0(VALU_DEP_2) | instskip(SKIP_1) | instid1(VALU_DEP_1)
	v_cmp_lt_u64_e32 vcc_lo, 0xffffff, v[2:3]
	v_add_nc_u32_e32 v4, 15, v17
	v_cndmask_b32_e32 v16, v20, v4, vcc_lo
	v_cndmask_b32_e64 v4, 0, 1, vcc_lo
	s_delay_alu instid0(VALU_DEP_1)
	v_lshrrev_b64 v[4:5], v4, v[2:3]
; %bb.6127:                             ;   in Loop: Header=BB4_5820 Depth=3
	s_and_not1_saveexec_b32 s13, s13
; %bb.6128:                             ;   in Loop: Header=BB4_5820 Depth=3
	v_mov_b64_e32 v[4:5], v[2:3]
	v_bfe_u32 v16, v2, 23, 1
; %bb.6129:                             ;   in Loop: Header=BB4_5820 Depth=3
	s_or_b32 exec_lo, exec_lo, s13
	s_delay_alu instid0(VALU_DEP_2) | instskip(NEXT) | instid1(VALU_DEP_2)
	v_lshrrev_b64 v[4:5], 21, v[4:5]
	v_cmp_gt_i32_e32 vcc_lo, 32, v16
	v_min_i32_e32 v2, 31, v16
	v_cmp_eq_u32_e64 s13, 0, v16
	s_delay_alu instid0(VALU_DEP_2) | instskip(SKIP_1) | instid1(VALU_DEP_2)
	v_dual_cndmask_b32 v5, 0, v5 :: v_dual_lshlrev_b32 v2, 2, v2
	v_cndmask_b32_e32 v4, 3, v4, vcc_lo
	v_and_b32_e32 v2, 0xfc, v2
	s_delay_alu instid0(VALU_DEP_2) | instskip(NEXT) | instid1(VALU_DEP_2)
	v_cmp_eq_u64_e32 vcc_lo, 0, v[4:5]
	v_and_or_b32 v2, v4, 3, v2
	s_and_b32 s13, s13, vcc_lo
	s_delay_alu instid0(VALU_DEP_1) | instid1(SALU_CYCLE_1)
	v_cndmask_b32_e64 v2, v2, 0, s13
	s_delay_alu instid0(VALU_DEP_1)
	v_or_b32_e32 v20, v2, v21
.LBB4_6130:                             ;   in Loop: Header=BB4_5820 Depth=3
	s_or_b32 exec_lo, exec_lo, s72
                                        ; implicit-def: $vgpr21
.LBB4_6131:                             ;   in Loop: Header=BB4_5820 Depth=3
	s_and_not1_saveexec_b32 s13, s43
; %bb.6132:                             ;   in Loop: Header=BB4_5820 Depth=3
	v_or_b32_e32 v20, 0x7b, v21
; %bb.6133:                             ;   in Loop: Header=BB4_5820 Depth=3
	s_or_b32 exec_lo, exec_lo, s13
                                        ; implicit-def: $vgpr4
                                        ; implicit-def: $vgpr5
.LBB4_6134:                             ;   in Loop: Header=BB4_5820 Depth=3
	s_and_not1_saveexec_b32 s13, s42
	s_cbranch_execz .LBB4_6140
; %bb.6135:                             ;   in Loop: Header=BB4_5820 Depth=3
	s_mov_b32 s42, exec_lo
                                        ; implicit-def: $vgpr20
	v_cmpx_ne_u64_e32 0, v[2:3]
	s_xor_b32 s42, exec_lo, s42
; %bb.6136:                             ;   in Loop: Header=BB4_5820 Depth=3
	v_or_b32_e32 v20, 0x7f, v5
                                        ; implicit-def: $vgpr4
; %bb.6137:                             ;   in Loop: Header=BB4_5820 Depth=3
	s_and_not1_saveexec_b32 s42, s42
; %bb.6138:                             ;   in Loop: Header=BB4_5820 Depth=3
	v_cmp_lt_i32_e32 vcc_lo, -1, v4
	v_cndmask_b32_e32 v20, 0xfc, v113, vcc_lo
; %bb.6139:                             ;   in Loop: Header=BB4_5820 Depth=3
	s_or_b32 exec_lo, exec_lo, s42
.LBB4_6140:                             ;   in Loop: Header=BB4_5820 Depth=3
	s_delay_alu instid0(SALU_CYCLE_1) | instskip(SKIP_2) | instid1(VALU_DEP_2)
	s_or_b32 exec_lo, exec_lo, s13
	v_and_b32_e32 v4, 0xff, v22
	v_mov_b32_e32 v2, 0
	v_cmp_ne_u16_e32 vcc_lo, 0, v4
	v_mov_b32_e32 v4, 0
	s_and_saveexec_b32 s13, vcc_lo
	s_cbranch_execz .LBB4_6150
; %bb.6141:                             ;   in Loop: Header=BB4_5820 Depth=3
	v_bfe_i32 v16, v22, 0, 8
	v_bfrev_b32_e32 v4, 1
	s_mov_b32 s42, exec_lo
	s_delay_alu instid0(VALU_DEP_2)
	v_cmpx_ne_u16_e32 0xff80, v16
	s_cbranch_execz .LBB4_6149
; %bb.6142:                             ;   in Loop: Header=BB4_5820 Depth=3
	v_and_b32_e32 v4, 0x7c, v22
	v_and_b32_e32 v5, 3, v22
	s_delay_alu instid0(VALU_DEP_2) | instskip(SKIP_1) | instid1(SALU_CYCLE_1)
	v_cmp_ne_u32_e32 vcc_lo, 0x7c, v4
                                        ; implicit-def: $vgpr4
	s_and_saveexec_b32 s43, vcc_lo
	s_xor_b32 s43, exec_lo, s43
	s_cbranch_execz .LBB4_6146
; %bb.6143:                             ;   in Loop: Header=BB4_5820 Depth=3
	v_bfe_u32 v4, v22, 2, 5
	s_mov_b32 s72, exec_lo
	s_delay_alu instid0(VALU_DEP_1)
	v_cmpx_eq_u32_e32 0, v4
; %bb.6144:                             ;   in Loop: Header=BB4_5820 Depth=3
	v_clz_i32_u32_e32 v4, v5
	s_delay_alu instid0(VALU_DEP_1) | instskip(NEXT) | instid1(VALU_DEP_1)
	v_min_u32_e32 v4, 32, v4
	v_subrev_nc_u32_e32 v5, 29, v4
	v_sub_nc_u32_e32 v4, 30, v4
	s_delay_alu instid0(VALU_DEP_2) | instskip(NEXT) | instid1(VALU_DEP_1)
	v_lshlrev_b64_e32 v[16:17], v5, v[22:23]
	v_and_b32_e32 v5, 3, v16
; %bb.6145:                             ;   in Loop: Header=BB4_5820 Depth=3
	s_or_b32 exec_lo, exec_lo, s72
	v_lshlrev_b32_e32 v16, 24, v22
	s_delay_alu instid0(VALU_DEP_1) | instskip(NEXT) | instid1(VALU_DEP_1)
	v_and_b32_e32 v16, 0x80000000, v16
	v_lshl_add_u32 v4, v4, 23, v16
                                        ; implicit-def: $vgpr16
	s_delay_alu instid0(VALU_DEP_1) | instskip(NEXT) | instid1(VALU_DEP_1)
	v_lshl_or_b32 v4, v5, 21, v4
                                        ; implicit-def: $vgpr5
	v_add_nc_u32_e32 v4, 0x38000000, v4
.LBB4_6146:                             ;   in Loop: Header=BB4_5820 Depth=3
	s_and_not1_saveexec_b32 s43, s43
; %bb.6147:                             ;   in Loop: Header=BB4_5820 Depth=3
	v_cmp_lt_i16_e32 vcc_lo, -1, v16
	v_cndmask_b32_e32 v4, 0xff800000, v112, vcc_lo
	v_cmp_eq_u32_e32 vcc_lo, 0, v5
	s_delay_alu instid0(VALU_DEP_2)
	v_cndmask_b32_e32 v4, 0x7f800001, v4, vcc_lo
; %bb.6148:                             ;   in Loop: Header=BB4_5820 Depth=3
	s_or_b32 exec_lo, exec_lo, s43
.LBB4_6149:                             ;   in Loop: Header=BB4_5820 Depth=3
	s_delay_alu instid0(SALU_CYCLE_1)
	s_or_b32 exec_lo, exec_lo, s42
.LBB4_6150:                             ;   in Loop: Header=BB4_5820 Depth=3
	s_delay_alu instid0(SALU_CYCLE_1) | instskip(SKIP_2) | instid1(VALU_DEP_1)
	s_or_b32 exec_lo, exec_lo, s13
	v_and_b32_e32 v5, 0xff, v18
	s_mov_b32 s13, exec_lo
	v_cmpx_ne_u16_e32 0, v5
	s_cbranch_execz .LBB4_6160
; %bb.6151:                             ;   in Loop: Header=BB4_5820 Depth=3
	v_bfe_i32 v16, v18, 0, 8
	v_bfrev_b32_e32 v2, 1
	s_mov_b32 s42, exec_lo
	s_delay_alu instid0(VALU_DEP_2)
	v_cmpx_ne_u16_e32 0xff80, v16
	s_cbranch_execz .LBB4_6159
; %bb.6152:                             ;   in Loop: Header=BB4_5820 Depth=3
	v_and_b32_e32 v2, 0x7c, v18
	v_and_b32_e32 v5, 3, v18
	s_delay_alu instid0(VALU_DEP_2) | instskip(SKIP_1) | instid1(SALU_CYCLE_1)
	v_cmp_ne_u32_e32 vcc_lo, 0x7c, v2
                                        ; implicit-def: $vgpr2
	s_and_saveexec_b32 s43, vcc_lo
	s_xor_b32 s43, exec_lo, s43
	s_cbranch_execz .LBB4_6156
; %bb.6153:                             ;   in Loop: Header=BB4_5820 Depth=3
	v_bfe_u32 v2, v18, 2, 5
	s_mov_b32 s72, exec_lo
	s_delay_alu instid0(VALU_DEP_1)
	v_cmpx_eq_u32_e32 0, v2
; %bb.6154:                             ;   in Loop: Header=BB4_5820 Depth=3
	v_clz_i32_u32_e32 v2, v5
	s_delay_alu instid0(VALU_DEP_1) | instskip(NEXT) | instid1(VALU_DEP_1)
	v_min_u32_e32 v2, 32, v2
	v_subrev_nc_u32_e32 v5, 29, v2
	s_delay_alu instid0(VALU_DEP_1) | instskip(NEXT) | instid1(VALU_DEP_1)
	v_lshlrev_b64_e32 v[16:17], v5, v[18:19]
	v_dual_sub_nc_u32 v2, 30, v2 :: v_dual_bitop2_b32 v5, 3, v16 bitop3:0x40
; %bb.6155:                             ;   in Loop: Header=BB4_5820 Depth=3
	s_or_b32 exec_lo, exec_lo, s72
	v_lshlrev_b32_e32 v16, 24, v18
	s_delay_alu instid0(VALU_DEP_1) | instskip(NEXT) | instid1(VALU_DEP_1)
	v_and_b32_e32 v16, 0x80000000, v16
	v_lshl_add_u32 v2, v2, 23, v16
                                        ; implicit-def: $vgpr16
	s_delay_alu instid0(VALU_DEP_1) | instskip(NEXT) | instid1(VALU_DEP_1)
	v_lshl_or_b32 v2, v5, 21, v2
                                        ; implicit-def: $vgpr5
	v_add_nc_u32_e32 v2, 0x38000000, v2
.LBB4_6156:                             ;   in Loop: Header=BB4_5820 Depth=3
	s_and_not1_saveexec_b32 s43, s43
; %bb.6157:                             ;   in Loop: Header=BB4_5820 Depth=3
	v_cmp_lt_i16_e32 vcc_lo, -1, v16
	v_cndmask_b32_e32 v2, 0xff800000, v112, vcc_lo
	v_cmp_eq_u32_e32 vcc_lo, 0, v5
	s_delay_alu instid0(VALU_DEP_2)
	v_cndmask_b32_e32 v2, 0x7f800001, v2, vcc_lo
; %bb.6158:                             ;   in Loop: Header=BB4_5820 Depth=3
	s_or_b32 exec_lo, exec_lo, s43
.LBB4_6159:                             ;   in Loop: Header=BB4_5820 Depth=3
	s_delay_alu instid0(SALU_CYCLE_1)
	s_or_b32 exec_lo, exec_lo, s42
.LBB4_6160:                             ;   in Loop: Header=BB4_5820 Depth=3
	s_delay_alu instid0(SALU_CYCLE_1) | instskip(NEXT) | instid1(VALU_DEP_1)
	s_or_b32 exec_lo, exec_lo, s13
	v_dual_mul_f32 v4, v4, v2 :: v_dual_mov_b32 v17, v3
                                        ; implicit-def: $vgpr21
	s_mov_b32 s13, exec_lo
	s_delay_alu instid0(VALU_DEP_1) | instskip(SKIP_2) | instid1(VALU_DEP_3)
	v_and_b32_e32 v16, 0x7f800000, v4
	v_and_b32_e32 v2, 0x7fffff, v4
	v_lshrrev_b32_e32 v5, 24, v4
	v_cmpx_ne_u64_e32 0x7f800000, v[16:17]
	s_xor_b32 s42, exec_lo, s13
	s_cbranch_execz .LBB4_6174
; %bb.6161:                             ;   in Loop: Header=BB4_5820 Depth=3
	v_and_b32_e32 v16, 0x7fffffff, v4
	v_mov_b32_e32 v17, v3
	v_and_b32_e32 v25, 0x80, v5
                                        ; implicit-def: $vgpr21
	s_mov_b32 s13, exec_lo
	s_delay_alu instid0(VALU_DEP_2)
	v_cmpx_gt_u64_e32 0x47600001, v[16:17]
	s_xor_b32 s43, exec_lo, s13
	s_cbranch_execz .LBB4_6171
; %bb.6162:                             ;   in Loop: Header=BB4_5820 Depth=3
	v_mov_b32_e32 v21, 0
	s_mov_b32 s72, exec_lo
	v_cmpx_ne_u32_e32 0, v4
	s_cbranch_execz .LBB4_6170
; %bb.6163:                             ;   in Loop: Header=BB4_5820 Depth=3
	v_bfe_u32 v21, v4, 23, 8
	v_or_b32_e32 v16, 0x800000, v2
	s_mov_b32 s73, exec_lo
	s_delay_alu instid0(VALU_DEP_2) | instskip(SKIP_1) | instid1(VALU_DEP_2)
	v_dual_mov_b32 v17, v3 :: v_dual_sub_nc_u32 v4, 0x71, v21
	v_cmp_gt_u32_e32 vcc_lo, 0x72, v21
	v_cndmask_b32_e32 v4, 0, v4, vcc_lo
	v_cmp_eq_u32_e32 vcc_lo, 0, v21
	v_cndmask_b32_e32 v16, v16, v2, vcc_lo
	s_delay_alu instid0(VALU_DEP_3) | instskip(NEXT) | instid1(VALU_DEP_1)
	v_cndmask_b32_e64 v84, v4, 0x70, vcc_lo
	v_dual_add_nc_u32 v4, 21, v84 :: v_dual_add_nc_u32 v85, 20, v84
	s_delay_alu instid0(VALU_DEP_1) | instskip(NEXT) | instid1(VALU_DEP_2)
	v_lshlrev_b64_e64 v[4:5], v4, -1
	v_lshlrev_b64_e64 v[100:101], v85, 1
	s_delay_alu instid0(VALU_DEP_2) | instskip(NEXT) | instid1(VALU_DEP_3)
	v_bfi_b32 v103, v5, 0, 0
	v_bfi_b32 v102, v4, 0, v16
	v_lshrrev_b64 v[4:5], v84, v[16:17]
	s_delay_alu instid0(VALU_DEP_1) | instskip(NEXT) | instid1(VALU_DEP_3)
	v_mov_b64_e32 v[16:17], v[4:5]
	v_cmpx_eq_u64_e64 v[102:103], v[100:101]
; %bb.6164:                             ;   in Loop: Header=BB4_5820 Depth=3
	v_bfe_u32 v16, v4, 21, 1
	v_mov_b32_e32 v17, v3
	s_delay_alu instid0(VALU_DEP_1) | instskip(NEXT) | instid1(VALU_DEP_1)
	v_add_nc_u64_e32 v[16:17], v[4:5], v[16:17]
	v_add_nc_u64_e32 v[16:17], -1, v[16:17]
; %bb.6165:                             ;   in Loop: Header=BB4_5820 Depth=3
	s_or_b32 exec_lo, exec_lo, s73
	v_add_nc_u32_e32 v2, 0xffffff81, v21
	v_lshrrev_b32_e32 v5, 23, v4
	s_mov_b32 s13, exec_lo
	s_delay_alu instid0(VALU_DEP_2) | instskip(NEXT) | instid1(VALU_DEP_1)
	v_cndmask_b32_e64 v2, v2, 0xffffff82, vcc_lo
	v_add3_u32 v17, v84, v2, v5
	v_and_b32_e32 v2, 0x1fffff, v16
                                        ; implicit-def: $vgpr16
	s_delay_alu instid0(VALU_DEP_1) | instskip(NEXT) | instid1(VALU_DEP_1)
	v_dual_add_nc_u32 v21, 14, v17 :: v_dual_add_nc_u32 v2, v2, v4
                                        ; implicit-def: $vgpr4_vgpr5
	v_cmpx_ne_u32_e32 0, v21
	s_xor_b32 s13, exec_lo, s13
; %bb.6166:                             ;   in Loop: Header=BB4_5820 Depth=3
	s_delay_alu instid0(VALU_DEP_2) | instskip(SKIP_1) | instid1(VALU_DEP_1)
	v_cmp_lt_u64_e32 vcc_lo, 0xffffff, v[2:3]
	v_add_nc_u32_e32 v4, 15, v17
	v_cndmask_b32_e32 v16, v21, v4, vcc_lo
	v_cndmask_b32_e64 v4, 0, 1, vcc_lo
	s_delay_alu instid0(VALU_DEP_1)
	v_lshrrev_b64 v[4:5], v4, v[2:3]
; %bb.6167:                             ;   in Loop: Header=BB4_5820 Depth=3
	s_and_not1_saveexec_b32 s13, s13
; %bb.6168:                             ;   in Loop: Header=BB4_5820 Depth=3
	v_mov_b64_e32 v[4:5], v[2:3]
	v_bfe_u32 v16, v2, 23, 1
; %bb.6169:                             ;   in Loop: Header=BB4_5820 Depth=3
	s_or_b32 exec_lo, exec_lo, s13
	s_delay_alu instid0(VALU_DEP_2) | instskip(NEXT) | instid1(VALU_DEP_2)
	v_lshrrev_b64 v[4:5], 21, v[4:5]
	v_cmp_gt_i32_e32 vcc_lo, 32, v16
	v_min_i32_e32 v2, 31, v16
	v_cmp_eq_u32_e64 s13, 0, v16
	s_delay_alu instid0(VALU_DEP_2) | instskip(SKIP_1) | instid1(VALU_DEP_2)
	v_dual_cndmask_b32 v5, 0, v5 :: v_dual_lshlrev_b32 v2, 2, v2
	v_cndmask_b32_e32 v4, 3, v4, vcc_lo
	v_and_b32_e32 v2, 0xfc, v2
	s_delay_alu instid0(VALU_DEP_2) | instskip(NEXT) | instid1(VALU_DEP_2)
	v_cmp_eq_u64_e32 vcc_lo, 0, v[4:5]
	v_and_or_b32 v2, v4, 3, v2
	s_and_b32 s13, s13, vcc_lo
	s_delay_alu instid0(VALU_DEP_1) | instid1(SALU_CYCLE_1)
	v_cndmask_b32_e64 v2, v2, 0, s13
	s_delay_alu instid0(VALU_DEP_1)
	v_or_b32_e32 v21, v2, v25
.LBB4_6170:                             ;   in Loop: Header=BB4_5820 Depth=3
	s_or_b32 exec_lo, exec_lo, s72
                                        ; implicit-def: $vgpr25
.LBB4_6171:                             ;   in Loop: Header=BB4_5820 Depth=3
	s_and_not1_saveexec_b32 s13, s43
; %bb.6172:                             ;   in Loop: Header=BB4_5820 Depth=3
	v_or_b32_e32 v21, 0x7b, v25
; %bb.6173:                             ;   in Loop: Header=BB4_5820 Depth=3
	s_or_b32 exec_lo, exec_lo, s13
                                        ; implicit-def: $vgpr4
                                        ; implicit-def: $vgpr5
.LBB4_6174:                             ;   in Loop: Header=BB4_5820 Depth=3
	s_and_not1_saveexec_b32 s13, s42
	s_cbranch_execz .LBB4_6180
; %bb.6175:                             ;   in Loop: Header=BB4_5820 Depth=3
	s_mov_b32 s42, exec_lo
                                        ; implicit-def: $vgpr21
	v_cmpx_ne_u64_e32 0, v[2:3]
	s_xor_b32 s42, exec_lo, s42
; %bb.6176:                             ;   in Loop: Header=BB4_5820 Depth=3
	v_or_b32_e32 v21, 0x7f, v5
                                        ; implicit-def: $vgpr4
; %bb.6177:                             ;   in Loop: Header=BB4_5820 Depth=3
	s_and_not1_saveexec_b32 s42, s42
; %bb.6178:                             ;   in Loop: Header=BB4_5820 Depth=3
	v_cmp_lt_i32_e32 vcc_lo, -1, v4
	v_cndmask_b32_e32 v21, 0xfc, v113, vcc_lo
; %bb.6179:                             ;   in Loop: Header=BB4_5820 Depth=3
	s_or_b32 exec_lo, exec_lo, s42
.LBB4_6180:                             ;   in Loop: Header=BB4_5820 Depth=3
	s_delay_alu instid0(SALU_CYCLE_1) | instskip(SKIP_3) | instid1(VALU_DEP_2)
	s_or_b32 exec_lo, exec_lo, s13
	v_lshrrev_b16 v4, 8, v22
	v_dual_mov_b32 v2, 0 :: v_dual_mov_b32 v16, 0
	s_mov_b32 s13, exec_lo
	v_cmpx_ne_u16_e32 0, v4
	s_cbranch_execz .LBB4_6190
; %bb.6181:                             ;   in Loop: Header=BB4_5820 Depth=3
	v_bfrev_b32_e32 v16, 1
	s_mov_b32 s42, exec_lo
	v_cmpx_ne_u16_e32 0x80, v4
	s_cbranch_execz .LBB4_6189
; %bb.6182:                             ;   in Loop: Header=BB4_5820 Depth=3
	v_and_b32_e32 v17, 0xffff, v4
	s_delay_alu instid0(VALU_DEP_1) | instskip(SKIP_1) | instid1(VALU_DEP_2)
	v_and_b32_e32 v16, 0x7c, v17
	v_and_b32_e32 v5, 3, v17
	v_cmp_ne_u32_e32 vcc_lo, 0x7c, v16
                                        ; implicit-def: $vgpr16
	s_and_saveexec_b32 s43, vcc_lo
	s_delay_alu instid0(SALU_CYCLE_1)
	s_xor_b32 s43, exec_lo, s43
	s_cbranch_execz .LBB4_6186
; %bb.6183:                             ;   in Loop: Header=BB4_5820 Depth=3
	v_bfe_u32 v16, v17, 2, 5
	s_mov_b32 s72, exec_lo
	s_delay_alu instid0(VALU_DEP_1)
	v_cmpx_eq_u32_e32 0, v16
	s_cbranch_execz .LBB4_6185
; %bb.6184:                             ;   in Loop: Header=BB4_5820 Depth=3
	v_clz_i32_u32_e32 v5, v5
	s_delay_alu instid0(VALU_DEP_1) | instskip(SKIP_1) | instid1(VALU_DEP_2)
	v_min_u32_e32 v16, 32, v5
	v_mov_b32_e32 v5, v3
	v_subrev_nc_u32_e32 v17, 29, v16
	v_sub_nc_u32_e32 v16, 30, v16
	s_delay_alu instid0(VALU_DEP_2) | instskip(NEXT) | instid1(VALU_DEP_1)
	v_lshlrev_b64_e32 v[4:5], v17, v[4:5]
	v_and_b32_e32 v5, 3, v4
.LBB4_6185:                             ;   in Loop: Header=BB4_5820 Depth=3
	s_or_b32 exec_lo, exec_lo, s72
	v_lshlrev_b32_e32 v4, 16, v22
	s_delay_alu instid0(VALU_DEP_1) | instskip(NEXT) | instid1(VALU_DEP_1)
	v_and_b32_e32 v4, 0x80000000, v4
	v_lshl_add_u32 v4, v16, 23, v4
	s_delay_alu instid0(VALU_DEP_1) | instskip(NEXT) | instid1(VALU_DEP_1)
	v_lshl_or_b32 v4, v5, 21, v4
                                        ; implicit-def: $vgpr5
	v_add_nc_u32_e32 v16, 0x38000000, v4
.LBB4_6186:                             ;   in Loop: Header=BB4_5820 Depth=3
	s_and_not1_saveexec_b32 s43, s43
; %bb.6187:                             ;   in Loop: Header=BB4_5820 Depth=3
	v_cmp_lt_i16_e32 vcc_lo, -1, v22
	v_cndmask_b32_e32 v4, 0xff800000, v112, vcc_lo
	v_cmp_eq_u32_e32 vcc_lo, 0, v5
	s_delay_alu instid0(VALU_DEP_2)
	v_cndmask_b32_e32 v16, 0x7f800001, v4, vcc_lo
; %bb.6188:                             ;   in Loop: Header=BB4_5820 Depth=3
	s_or_b32 exec_lo, exec_lo, s43
.LBB4_6189:                             ;   in Loop: Header=BB4_5820 Depth=3
	s_delay_alu instid0(SALU_CYCLE_1)
	s_or_b32 exec_lo, exec_lo, s42
.LBB4_6190:                             ;   in Loop: Header=BB4_5820 Depth=3
	s_delay_alu instid0(SALU_CYCLE_1) | instskip(SKIP_2) | instid1(VALU_DEP_1)
	s_or_b32 exec_lo, exec_lo, s13
	v_lshrrev_b16 v4, 8, v18
	s_mov_b32 s13, exec_lo
	v_cmpx_ne_u16_e32 0, v4
	s_cbranch_execz .LBB4_6200
; %bb.6191:                             ;   in Loop: Header=BB4_5820 Depth=3
	v_bfrev_b32_e32 v2, 1
	s_mov_b32 s42, exec_lo
	v_cmpx_ne_u16_e32 0x80, v4
	s_cbranch_execz .LBB4_6199
; %bb.6192:                             ;   in Loop: Header=BB4_5820 Depth=3
	v_and_b32_e32 v17, 0xffff, v4
	s_delay_alu instid0(VALU_DEP_1) | instskip(SKIP_1) | instid1(VALU_DEP_2)
	v_and_b32_e32 v2, 0x7c, v17
	v_and_b32_e32 v5, 3, v17
	v_cmp_ne_u32_e32 vcc_lo, 0x7c, v2
                                        ; implicit-def: $vgpr2
	s_and_saveexec_b32 s43, vcc_lo
	s_delay_alu instid0(SALU_CYCLE_1)
	s_xor_b32 s43, exec_lo, s43
	s_cbranch_execz .LBB4_6196
; %bb.6193:                             ;   in Loop: Header=BB4_5820 Depth=3
	v_bfe_u32 v2, v17, 2, 5
	s_mov_b32 s72, exec_lo
	s_delay_alu instid0(VALU_DEP_1)
	v_cmpx_eq_u32_e32 0, v2
	s_cbranch_execz .LBB4_6195
; %bb.6194:                             ;   in Loop: Header=BB4_5820 Depth=3
	v_clz_i32_u32_e32 v2, v5
	s_delay_alu instid0(VALU_DEP_1) | instskip(SKIP_1) | instid1(VALU_DEP_2)
	v_min_u32_e32 v2, 32, v2
	v_mov_b32_e32 v5, v3
	v_subrev_nc_u32_e32 v17, 29, v2
	v_sub_nc_u32_e32 v2, 30, v2
	s_delay_alu instid0(VALU_DEP_2) | instskip(NEXT) | instid1(VALU_DEP_1)
	v_lshlrev_b64_e32 v[4:5], v17, v[4:5]
	v_and_b32_e32 v5, 3, v4
.LBB4_6195:                             ;   in Loop: Header=BB4_5820 Depth=3
	s_or_b32 exec_lo, exec_lo, s72
	v_lshlrev_b32_e32 v4, 16, v18
	s_delay_alu instid0(VALU_DEP_1) | instskip(NEXT) | instid1(VALU_DEP_1)
	v_and_b32_e32 v4, 0x80000000, v4
	v_lshl_add_u32 v2, v2, 23, v4
	s_delay_alu instid0(VALU_DEP_1) | instskip(NEXT) | instid1(VALU_DEP_1)
	v_lshl_or_b32 v2, v5, 21, v2
                                        ; implicit-def: $vgpr5
	v_add_nc_u32_e32 v2, 0x38000000, v2
.LBB4_6196:                             ;   in Loop: Header=BB4_5820 Depth=3
	s_and_not1_saveexec_b32 s43, s43
; %bb.6197:                             ;   in Loop: Header=BB4_5820 Depth=3
	v_cmp_lt_i16_e32 vcc_lo, -1, v18
	v_cndmask_b32_e32 v2, 0xff800000, v112, vcc_lo
	v_cmp_eq_u32_e32 vcc_lo, 0, v5
	s_delay_alu instid0(VALU_DEP_2)
	v_cndmask_b32_e32 v2, 0x7f800001, v2, vcc_lo
; %bb.6198:                             ;   in Loop: Header=BB4_5820 Depth=3
	s_or_b32 exec_lo, exec_lo, s43
.LBB4_6199:                             ;   in Loop: Header=BB4_5820 Depth=3
	s_delay_alu instid0(SALU_CYCLE_1)
	s_or_b32 exec_lo, exec_lo, s42
.LBB4_6200:                             ;   in Loop: Header=BB4_5820 Depth=3
	s_delay_alu instid0(SALU_CYCLE_1) | instskip(NEXT) | instid1(VALU_DEP_1)
	s_or_b32 exec_lo, exec_lo, s13
	v_dual_mul_f32 v4, v16, v2 :: v_dual_mov_b32 v17, v3
                                        ; implicit-def: $vgpr25
	s_mov_b32 s13, exec_lo
	s_delay_alu instid0(VALU_DEP_1) | instskip(SKIP_2) | instid1(VALU_DEP_3)
	v_and_b32_e32 v16, 0x7f800000, v4
	v_and_b32_e32 v2, 0x7fffff, v4
	v_lshrrev_b32_e32 v5, 24, v4
	v_cmpx_ne_u64_e32 0x7f800000, v[16:17]
	s_xor_b32 s42, exec_lo, s13
	s_cbranch_execz .LBB4_6214
; %bb.6201:                             ;   in Loop: Header=BB4_5820 Depth=3
	v_and_b32_e32 v16, 0x7fffffff, v4
	v_mov_b32_e32 v17, v3
	v_and_b32_e32 v84, 0x80, v5
                                        ; implicit-def: $vgpr25
	s_mov_b32 s13, exec_lo
	s_delay_alu instid0(VALU_DEP_2)
	v_cmpx_gt_u64_e32 0x47600001, v[16:17]
	s_xor_b32 s43, exec_lo, s13
	s_cbranch_execz .LBB4_6211
; %bb.6202:                             ;   in Loop: Header=BB4_5820 Depth=3
	v_mov_b32_e32 v25, 0
	s_mov_b32 s72, exec_lo
	v_cmpx_ne_u32_e32 0, v4
	s_cbranch_execz .LBB4_6210
; %bb.6203:                             ;   in Loop: Header=BB4_5820 Depth=3
	v_bfe_u32 v25, v4, 23, 8
	v_or_b32_e32 v16, 0x800000, v2
	s_mov_b32 s73, exec_lo
	s_delay_alu instid0(VALU_DEP_2) | instskip(SKIP_1) | instid1(VALU_DEP_2)
	v_dual_mov_b32 v17, v3 :: v_dual_sub_nc_u32 v4, 0x71, v25
	v_cmp_gt_u32_e32 vcc_lo, 0x72, v25
	v_cndmask_b32_e32 v4, 0, v4, vcc_lo
	v_cmp_eq_u32_e32 vcc_lo, 0, v25
	s_delay_alu instid0(VALU_DEP_2) | instskip(NEXT) | instid1(VALU_DEP_1)
	v_cndmask_b32_e64 v85, v4, 0x70, vcc_lo
	v_dual_cndmask_b32 v16, v16, v2, vcc_lo :: v_dual_add_nc_u32 v4, 21, v85
	v_add_nc_u32_e32 v100, 20, v85
	s_delay_alu instid0(VALU_DEP_2) | instskip(NEXT) | instid1(VALU_DEP_2)
	v_lshlrev_b64_e64 v[4:5], v4, -1
	v_lshlrev_b64_e64 v[100:101], v100, 1
	s_delay_alu instid0(VALU_DEP_2) | instskip(NEXT) | instid1(VALU_DEP_3)
	v_bfi_b32 v103, v5, 0, 0
	v_bfi_b32 v102, v4, 0, v16
	v_lshrrev_b64 v[4:5], v85, v[16:17]
	s_delay_alu instid0(VALU_DEP_1) | instskip(NEXT) | instid1(VALU_DEP_3)
	v_mov_b64_e32 v[16:17], v[4:5]
	v_cmpx_eq_u64_e64 v[102:103], v[100:101]
; %bb.6204:                             ;   in Loop: Header=BB4_5820 Depth=3
	v_bfe_u32 v16, v4, 21, 1
	v_mov_b32_e32 v17, v3
	s_delay_alu instid0(VALU_DEP_1) | instskip(NEXT) | instid1(VALU_DEP_1)
	v_add_nc_u64_e32 v[16:17], v[4:5], v[16:17]
	v_add_nc_u64_e32 v[16:17], -1, v[16:17]
; %bb.6205:                             ;   in Loop: Header=BB4_5820 Depth=3
	s_or_b32 exec_lo, exec_lo, s73
	v_add_nc_u32_e32 v2, 0xffffff81, v25
	v_lshrrev_b32_e32 v5, 23, v4
	s_mov_b32 s13, exec_lo
	s_delay_alu instid0(VALU_DEP_2) | instskip(NEXT) | instid1(VALU_DEP_1)
	v_cndmask_b32_e64 v2, v2, 0xffffff82, vcc_lo
	v_add3_u32 v17, v85, v2, v5
	v_and_b32_e32 v2, 0x1fffff, v16
                                        ; implicit-def: $vgpr16
	s_delay_alu instid0(VALU_DEP_1) | instskip(NEXT) | instid1(VALU_DEP_1)
	v_dual_add_nc_u32 v25, 14, v17 :: v_dual_add_nc_u32 v2, v2, v4
                                        ; implicit-def: $vgpr4_vgpr5
	v_cmpx_ne_u32_e32 0, v25
	s_xor_b32 s13, exec_lo, s13
; %bb.6206:                             ;   in Loop: Header=BB4_5820 Depth=3
	s_delay_alu instid0(VALU_DEP_2) | instskip(SKIP_1) | instid1(VALU_DEP_1)
	v_cmp_lt_u64_e32 vcc_lo, 0xffffff, v[2:3]
	v_add_nc_u32_e32 v4, 15, v17
	v_cndmask_b32_e32 v16, v25, v4, vcc_lo
	v_cndmask_b32_e64 v4, 0, 1, vcc_lo
	s_delay_alu instid0(VALU_DEP_1)
	v_lshrrev_b64 v[4:5], v4, v[2:3]
; %bb.6207:                             ;   in Loop: Header=BB4_5820 Depth=3
	s_and_not1_saveexec_b32 s13, s13
; %bb.6208:                             ;   in Loop: Header=BB4_5820 Depth=3
	v_mov_b64_e32 v[4:5], v[2:3]
	v_bfe_u32 v16, v2, 23, 1
; %bb.6209:                             ;   in Loop: Header=BB4_5820 Depth=3
	s_or_b32 exec_lo, exec_lo, s13
	s_delay_alu instid0(VALU_DEP_2) | instskip(NEXT) | instid1(VALU_DEP_2)
	v_lshrrev_b64 v[4:5], 21, v[4:5]
	v_cmp_gt_i32_e32 vcc_lo, 32, v16
	v_min_i32_e32 v2, 31, v16
	v_cmp_eq_u32_e64 s13, 0, v16
	s_delay_alu instid0(VALU_DEP_2) | instskip(SKIP_1) | instid1(VALU_DEP_2)
	v_dual_cndmask_b32 v5, 0, v5 :: v_dual_lshlrev_b32 v2, 2, v2
	v_cndmask_b32_e32 v4, 3, v4, vcc_lo
	v_and_b32_e32 v2, 0xfc, v2
	s_delay_alu instid0(VALU_DEP_2) | instskip(NEXT) | instid1(VALU_DEP_2)
	v_cmp_eq_u64_e32 vcc_lo, 0, v[4:5]
	v_and_or_b32 v2, v4, 3, v2
	s_and_b32 s13, s13, vcc_lo
	s_delay_alu instid0(VALU_DEP_1) | instid1(SALU_CYCLE_1)
	v_cndmask_b32_e64 v2, v2, 0, s13
	s_delay_alu instid0(VALU_DEP_1)
	v_or_b32_e32 v25, v2, v84
.LBB4_6210:                             ;   in Loop: Header=BB4_5820 Depth=3
	s_or_b32 exec_lo, exec_lo, s72
                                        ; implicit-def: $vgpr84
.LBB4_6211:                             ;   in Loop: Header=BB4_5820 Depth=3
	s_and_not1_saveexec_b32 s13, s43
; %bb.6212:                             ;   in Loop: Header=BB4_5820 Depth=3
	v_or_b32_e32 v25, 0x7b, v84
; %bb.6213:                             ;   in Loop: Header=BB4_5820 Depth=3
	s_or_b32 exec_lo, exec_lo, s13
                                        ; implicit-def: $vgpr4
                                        ; implicit-def: $vgpr5
.LBB4_6214:                             ;   in Loop: Header=BB4_5820 Depth=3
	s_and_not1_saveexec_b32 s13, s42
	s_cbranch_execz .LBB4_6220
; %bb.6215:                             ;   in Loop: Header=BB4_5820 Depth=3
	s_mov_b32 s42, exec_lo
                                        ; implicit-def: $vgpr25
	v_cmpx_ne_u64_e32 0, v[2:3]
	s_xor_b32 s42, exec_lo, s42
; %bb.6216:                             ;   in Loop: Header=BB4_5820 Depth=3
	v_or_b32_e32 v25, 0x7f, v5
                                        ; implicit-def: $vgpr4
; %bb.6217:                             ;   in Loop: Header=BB4_5820 Depth=3
	s_and_not1_saveexec_b32 s42, s42
; %bb.6218:                             ;   in Loop: Header=BB4_5820 Depth=3
	v_cmp_lt_i32_e32 vcc_lo, -1, v4
	v_cndmask_b32_e32 v25, 0xfc, v113, vcc_lo
; %bb.6219:                             ;   in Loop: Header=BB4_5820 Depth=3
	s_or_b32 exec_lo, exec_lo, s42
.LBB4_6220:                             ;   in Loop: Header=BB4_5820 Depth=3
	s_delay_alu instid0(SALU_CYCLE_1) | instskip(SKIP_3) | instid1(VALU_DEP_2)
	s_or_b32 exec_lo, exec_lo, s13
	v_dual_lshrrev_b32 v2, 16, v22 :: v_dual_mov_b32 v4, 0
	v_mov_b32_e32 v5, 0
	s_mov_b32 s13, exec_lo
	v_and_b32_e32 v16, 0xff, v2
	s_delay_alu instid0(VALU_DEP_1)
	v_cmpx_ne_u16_e32 0, v16
	s_cbranch_execz .LBB4_6230
; %bb.6221:                             ;   in Loop: Header=BB4_5820 Depth=3
	v_bfrev_b32_e32 v5, 1
	s_mov_b32 s42, exec_lo
	v_cmpx_ne_u16_e32 0x80, v16
	s_cbranch_execz .LBB4_6229
; %bb.6222:                             ;   in Loop: Header=BB4_5820 Depth=3
	v_and_b32_e32 v5, 0x7c0000, v22
	v_bfe_u32 v16, v22, 16, 2
	s_delay_alu instid0(VALU_DEP_2) | instskip(SKIP_1) | instid1(SALU_CYCLE_1)
	v_cmp_ne_u32_e32 vcc_lo, 0x7c0000, v5
                                        ; implicit-def: $vgpr5
	s_and_saveexec_b32 s43, vcc_lo
	s_xor_b32 s43, exec_lo, s43
	s_cbranch_execz .LBB4_6226
; %bb.6223:                             ;   in Loop: Header=BB4_5820 Depth=3
	v_bfe_u32 v5, v22, 18, 5
	s_mov_b32 s72, exec_lo
	s_delay_alu instid0(VALU_DEP_1)
	v_cmpx_eq_u32_e32 0, v5
; %bb.6224:                             ;   in Loop: Header=BB4_5820 Depth=3
	v_clz_i32_u32_e32 v5, v16
	s_delay_alu instid0(VALU_DEP_1) | instskip(NEXT) | instid1(VALU_DEP_1)
	v_min_u32_e32 v5, 32, v5
	v_subrev_nc_u32_e32 v16, 29, v5
	s_delay_alu instid0(VALU_DEP_1) | instskip(NEXT) | instid1(VALU_DEP_1)
	v_lshlrev_b64_e32 v[16:17], v16, v[2:3]
	v_dual_sub_nc_u32 v5, 30, v5 :: v_dual_bitop2_b32 v16, 3, v16 bitop3:0x40
; %bb.6225:                             ;   in Loop: Header=BB4_5820 Depth=3
	s_or_b32 exec_lo, exec_lo, s72
	v_lshlrev_b32_e32 v2, 24, v2
	s_delay_alu instid0(VALU_DEP_1) | instskip(NEXT) | instid1(VALU_DEP_1)
	v_and_b32_e32 v2, 0x80000000, v2
	v_lshl_add_u32 v2, v5, 23, v2
	s_delay_alu instid0(VALU_DEP_1) | instskip(NEXT) | instid1(VALU_DEP_1)
	v_lshl_or_b32 v2, v16, 21, v2
                                        ; implicit-def: $vgpr16
	v_add_nc_u32_e32 v5, 0x38000000, v2
                                        ; implicit-def: $vgpr2
.LBB4_6226:                             ;   in Loop: Header=BB4_5820 Depth=3
	s_and_not1_saveexec_b32 s43, s43
; %bb.6227:                             ;   in Loop: Header=BB4_5820 Depth=3
	v_bfe_i32 v2, v2, 0, 8
	s_delay_alu instid0(VALU_DEP_1) | instskip(SKIP_2) | instid1(VALU_DEP_2)
	v_cmp_lt_i16_e32 vcc_lo, -1, v2
	v_cndmask_b32_e32 v2, 0xff800000, v112, vcc_lo
	v_cmp_eq_u32_e32 vcc_lo, 0, v16
	v_cndmask_b32_e32 v5, 0x7f800001, v2, vcc_lo
; %bb.6228:                             ;   in Loop: Header=BB4_5820 Depth=3
	s_or_b32 exec_lo, exec_lo, s43
.LBB4_6229:                             ;   in Loop: Header=BB4_5820 Depth=3
	s_delay_alu instid0(SALU_CYCLE_1)
	s_or_b32 exec_lo, exec_lo, s42
.LBB4_6230:                             ;   in Loop: Header=BB4_5820 Depth=3
	s_delay_alu instid0(SALU_CYCLE_1) | instskip(SKIP_2) | instid1(VALU_DEP_1)
	s_or_b32 exec_lo, exec_lo, s13
	v_lshrrev_b32_e32 v2, 16, v18
	s_mov_b32 s13, exec_lo
	v_and_b32_e32 v16, 0xff, v2
	s_delay_alu instid0(VALU_DEP_1)
	v_cmpx_ne_u16_e32 0, v16
	s_cbranch_execz .LBB4_6240
; %bb.6231:                             ;   in Loop: Header=BB4_5820 Depth=3
	v_bfrev_b32_e32 v4, 1
	s_mov_b32 s42, exec_lo
	v_cmpx_ne_u16_e32 0x80, v16
	s_cbranch_execz .LBB4_6239
; %bb.6232:                             ;   in Loop: Header=BB4_5820 Depth=3
	v_and_b32_e32 v4, 0x7c0000, v18
	v_bfe_u32 v16, v18, 16, 2
	s_delay_alu instid0(VALU_DEP_2) | instskip(SKIP_1) | instid1(SALU_CYCLE_1)
	v_cmp_ne_u32_e32 vcc_lo, 0x7c0000, v4
                                        ; implicit-def: $vgpr4
	s_and_saveexec_b32 s43, vcc_lo
	s_xor_b32 s43, exec_lo, s43
	s_cbranch_execz .LBB4_6236
; %bb.6233:                             ;   in Loop: Header=BB4_5820 Depth=3
	v_bfe_u32 v4, v18, 18, 5
	s_mov_b32 s72, exec_lo
	s_delay_alu instid0(VALU_DEP_1)
	v_cmpx_eq_u32_e32 0, v4
; %bb.6234:                             ;   in Loop: Header=BB4_5820 Depth=3
	v_clz_i32_u32_e32 v4, v16
	s_delay_alu instid0(VALU_DEP_1) | instskip(NEXT) | instid1(VALU_DEP_1)
	v_min_u32_e32 v4, 32, v4
	v_subrev_nc_u32_e32 v16, 29, v4
	v_sub_nc_u32_e32 v4, 30, v4
	s_delay_alu instid0(VALU_DEP_2) | instskip(NEXT) | instid1(VALU_DEP_1)
	v_lshlrev_b64_e32 v[16:17], v16, v[2:3]
	v_and_b32_e32 v16, 3, v16
; %bb.6235:                             ;   in Loop: Header=BB4_5820 Depth=3
	s_or_b32 exec_lo, exec_lo, s72
	v_lshlrev_b32_e32 v2, 24, v2
	s_delay_alu instid0(VALU_DEP_1) | instskip(NEXT) | instid1(VALU_DEP_1)
	v_and_b32_e32 v2, 0x80000000, v2
	v_lshl_add_u32 v2, v4, 23, v2
	s_delay_alu instid0(VALU_DEP_1) | instskip(NEXT) | instid1(VALU_DEP_1)
	v_lshl_or_b32 v2, v16, 21, v2
                                        ; implicit-def: $vgpr16
	v_add_nc_u32_e32 v4, 0x38000000, v2
                                        ; implicit-def: $vgpr2
.LBB4_6236:                             ;   in Loop: Header=BB4_5820 Depth=3
	s_and_not1_saveexec_b32 s43, s43
; %bb.6237:                             ;   in Loop: Header=BB4_5820 Depth=3
	v_bfe_i32 v2, v2, 0, 8
	s_delay_alu instid0(VALU_DEP_1) | instskip(SKIP_2) | instid1(VALU_DEP_2)
	v_cmp_lt_i16_e32 vcc_lo, -1, v2
	v_cndmask_b32_e32 v2, 0xff800000, v112, vcc_lo
	v_cmp_eq_u32_e32 vcc_lo, 0, v16
	v_cndmask_b32_e32 v4, 0x7f800001, v2, vcc_lo
; %bb.6238:                             ;   in Loop: Header=BB4_5820 Depth=3
	s_or_b32 exec_lo, exec_lo, s43
.LBB4_6239:                             ;   in Loop: Header=BB4_5820 Depth=3
	s_delay_alu instid0(SALU_CYCLE_1)
	s_or_b32 exec_lo, exec_lo, s42
.LBB4_6240:                             ;   in Loop: Header=BB4_5820 Depth=3
	s_delay_alu instid0(SALU_CYCLE_1) | instskip(NEXT) | instid1(VALU_DEP_1)
	s_or_b32 exec_lo, exec_lo, s13
	v_dual_mul_f32 v4, v5, v4 :: v_dual_mov_b32 v17, v3
                                        ; implicit-def: $vgpr84
	s_mov_b32 s13, exec_lo
	s_delay_alu instid0(VALU_DEP_1) | instskip(SKIP_2) | instid1(VALU_DEP_3)
	v_and_b32_e32 v16, 0x7f800000, v4
	v_and_b32_e32 v2, 0x7fffff, v4
	v_lshrrev_b32_e32 v5, 24, v4
	v_cmpx_ne_u64_e32 0x7f800000, v[16:17]
	s_xor_b32 s42, exec_lo, s13
	s_cbranch_execz .LBB4_6254
; %bb.6241:                             ;   in Loop: Header=BB4_5820 Depth=3
	v_and_b32_e32 v16, 0x7fffffff, v4
	v_mov_b32_e32 v17, v3
	v_and_b32_e32 v85, 0x80, v5
                                        ; implicit-def: $vgpr84
	s_mov_b32 s13, exec_lo
	s_delay_alu instid0(VALU_DEP_2)
	v_cmpx_gt_u64_e32 0x47600001, v[16:17]
	s_xor_b32 s43, exec_lo, s13
	s_cbranch_execz .LBB4_6251
; %bb.6242:                             ;   in Loop: Header=BB4_5820 Depth=3
	v_mov_b32_e32 v84, 0
	s_mov_b32 s72, exec_lo
	v_cmpx_ne_u32_e32 0, v4
	s_cbranch_execz .LBB4_6250
; %bb.6243:                             ;   in Loop: Header=BB4_5820 Depth=3
	v_bfe_u32 v84, v4, 23, 8
	v_or_b32_e32 v16, 0x800000, v2
	s_mov_b32 s73, exec_lo
	s_delay_alu instid0(VALU_DEP_2) | instskip(SKIP_1) | instid1(VALU_DEP_2)
	v_dual_mov_b32 v17, v3 :: v_dual_sub_nc_u32 v4, 0x71, v84
	v_cmp_gt_u32_e32 vcc_lo, 0x72, v84
	v_cndmask_b32_e32 v4, 0, v4, vcc_lo
	v_cmp_eq_u32_e32 vcc_lo, 0, v84
	v_cndmask_b32_e32 v16, v16, v2, vcc_lo
	s_delay_alu instid0(VALU_DEP_3) | instskip(NEXT) | instid1(VALU_DEP_1)
	v_cndmask_b32_e64 v100, v4, 0x70, vcc_lo
	v_dual_add_nc_u32 v4, 21, v100 :: v_dual_add_nc_u32 v101, 20, v100
	s_delay_alu instid0(VALU_DEP_1) | instskip(NEXT) | instid1(VALU_DEP_2)
	v_lshlrev_b64_e64 v[4:5], v4, -1
	v_lshlrev_b64_e64 v[102:103], v101, 1
	s_delay_alu instid0(VALU_DEP_2) | instskip(NEXT) | instid1(VALU_DEP_3)
	v_bfi_b32 v117, v5, 0, 0
	v_bfi_b32 v116, v4, 0, v16
	v_lshrrev_b64 v[4:5], v100, v[16:17]
	s_delay_alu instid0(VALU_DEP_1) | instskip(NEXT) | instid1(VALU_DEP_3)
	v_mov_b64_e32 v[16:17], v[4:5]
	v_cmpx_eq_u64_e64 v[116:117], v[102:103]
; %bb.6244:                             ;   in Loop: Header=BB4_5820 Depth=3
	v_bfe_u32 v16, v4, 21, 1
	v_mov_b32_e32 v17, v3
	s_delay_alu instid0(VALU_DEP_1) | instskip(NEXT) | instid1(VALU_DEP_1)
	v_add_nc_u64_e32 v[16:17], v[4:5], v[16:17]
	v_add_nc_u64_e32 v[16:17], -1, v[16:17]
; %bb.6245:                             ;   in Loop: Header=BB4_5820 Depth=3
	s_or_b32 exec_lo, exec_lo, s73
	v_add_nc_u32_e32 v2, 0xffffff81, v84
	v_lshrrev_b32_e32 v5, 23, v4
	s_mov_b32 s13, exec_lo
	s_delay_alu instid0(VALU_DEP_2) | instskip(NEXT) | instid1(VALU_DEP_1)
	v_cndmask_b32_e64 v2, v2, 0xffffff82, vcc_lo
	v_add3_u32 v17, v100, v2, v5
	v_and_b32_e32 v2, 0x1fffff, v16
                                        ; implicit-def: $vgpr16
	s_delay_alu instid0(VALU_DEP_1) | instskip(NEXT) | instid1(VALU_DEP_1)
	v_dual_add_nc_u32 v84, 14, v17 :: v_dual_add_nc_u32 v2, v2, v4
                                        ; implicit-def: $vgpr4_vgpr5
	v_cmpx_ne_u32_e32 0, v84
	s_xor_b32 s13, exec_lo, s13
; %bb.6246:                             ;   in Loop: Header=BB4_5820 Depth=3
	s_delay_alu instid0(VALU_DEP_2) | instskip(SKIP_1) | instid1(VALU_DEP_1)
	v_cmp_lt_u64_e32 vcc_lo, 0xffffff, v[2:3]
	v_add_nc_u32_e32 v4, 15, v17
	v_cndmask_b32_e32 v16, v84, v4, vcc_lo
	v_cndmask_b32_e64 v4, 0, 1, vcc_lo
	s_delay_alu instid0(VALU_DEP_1)
	v_lshrrev_b64 v[4:5], v4, v[2:3]
; %bb.6247:                             ;   in Loop: Header=BB4_5820 Depth=3
	s_and_not1_saveexec_b32 s13, s13
; %bb.6248:                             ;   in Loop: Header=BB4_5820 Depth=3
	v_mov_b64_e32 v[4:5], v[2:3]
	v_bfe_u32 v16, v2, 23, 1
; %bb.6249:                             ;   in Loop: Header=BB4_5820 Depth=3
	s_or_b32 exec_lo, exec_lo, s13
	s_delay_alu instid0(VALU_DEP_2) | instskip(NEXT) | instid1(VALU_DEP_2)
	v_lshrrev_b64 v[4:5], 21, v[4:5]
	v_cmp_gt_i32_e32 vcc_lo, 32, v16
	v_min_i32_e32 v2, 31, v16
	v_cmp_eq_u32_e64 s13, 0, v16
	s_delay_alu instid0(VALU_DEP_2) | instskip(SKIP_1) | instid1(VALU_DEP_2)
	v_dual_cndmask_b32 v5, 0, v5 :: v_dual_lshlrev_b32 v2, 2, v2
	v_cndmask_b32_e32 v4, 3, v4, vcc_lo
	v_and_b32_e32 v2, 0xfc, v2
	s_delay_alu instid0(VALU_DEP_2) | instskip(NEXT) | instid1(VALU_DEP_2)
	v_cmp_eq_u64_e32 vcc_lo, 0, v[4:5]
	v_and_or_b32 v2, v4, 3, v2
	s_and_b32 s13, s13, vcc_lo
	s_delay_alu instid0(VALU_DEP_1) | instid1(SALU_CYCLE_1)
	v_cndmask_b32_e64 v2, v2, 0, s13
	s_delay_alu instid0(VALU_DEP_1)
	v_or_b32_e32 v84, v2, v85
.LBB4_6250:                             ;   in Loop: Header=BB4_5820 Depth=3
	s_or_b32 exec_lo, exec_lo, s72
                                        ; implicit-def: $vgpr85
.LBB4_6251:                             ;   in Loop: Header=BB4_5820 Depth=3
	s_and_not1_saveexec_b32 s13, s43
; %bb.6252:                             ;   in Loop: Header=BB4_5820 Depth=3
	v_or_b32_e32 v84, 0x7b, v85
; %bb.6253:                             ;   in Loop: Header=BB4_5820 Depth=3
	s_or_b32 exec_lo, exec_lo, s13
                                        ; implicit-def: $vgpr4
                                        ; implicit-def: $vgpr5
.LBB4_6254:                             ;   in Loop: Header=BB4_5820 Depth=3
	s_and_not1_saveexec_b32 s13, s42
	s_cbranch_execz .LBB4_6260
; %bb.6255:                             ;   in Loop: Header=BB4_5820 Depth=3
	s_mov_b32 s42, exec_lo
                                        ; implicit-def: $vgpr84
	v_cmpx_ne_u64_e32 0, v[2:3]
	s_xor_b32 s42, exec_lo, s42
; %bb.6256:                             ;   in Loop: Header=BB4_5820 Depth=3
	v_or_b32_e32 v84, 0x7f, v5
                                        ; implicit-def: $vgpr4
; %bb.6257:                             ;   in Loop: Header=BB4_5820 Depth=3
	s_and_not1_saveexec_b32 s42, s42
; %bb.6258:                             ;   in Loop: Header=BB4_5820 Depth=3
	v_cmp_lt_i32_e32 vcc_lo, -1, v4
	v_cndmask_b32_e32 v84, 0xfc, v113, vcc_lo
; %bb.6259:                             ;   in Loop: Header=BB4_5820 Depth=3
	s_or_b32 exec_lo, exec_lo, s42
.LBB4_6260:                             ;   in Loop: Header=BB4_5820 Depth=3
	s_delay_alu instid0(SALU_CYCLE_1)
	s_or_b32 exec_lo, exec_lo, s13
	v_dual_mov_b32 v4, 0 :: v_dual_mov_b32 v5, 0
	s_mov_b32 s13, exec_lo
	v_cmpx_lt_u32_e32 0xffffff, v22
	s_cbranch_execz .LBB4_6270
; %bb.6261:                             ;   in Loop: Header=BB4_5820 Depth=3
	v_lshrrev_b32_e32 v2, 24, v22
	v_bfrev_b32_e32 v5, 1
	s_mov_b32 s42, exec_lo
	s_delay_alu instid0(VALU_DEP_2)
	v_cmpx_ne_u32_e32 0x80, v2
	s_cbranch_execz .LBB4_6269
; %bb.6262:                             ;   in Loop: Header=BB4_5820 Depth=3
	v_and_b32_e32 v5, 0x7c000000, v22
	v_bfe_u32 v16, v22, 24, 2
	s_delay_alu instid0(VALU_DEP_2) | instskip(SKIP_1) | instid1(SALU_CYCLE_1)
	v_cmp_ne_u32_e32 vcc_lo, 0x7c000000, v5
                                        ; implicit-def: $vgpr5
	s_and_saveexec_b32 s43, vcc_lo
	s_xor_b32 s43, exec_lo, s43
	s_cbranch_execz .LBB4_6266
; %bb.6263:                             ;   in Loop: Header=BB4_5820 Depth=3
	v_bfe_u32 v5, v22, 26, 5
	s_mov_b32 s72, exec_lo
	s_delay_alu instid0(VALU_DEP_1)
	v_cmpx_eq_u32_e32 0, v5
; %bb.6264:                             ;   in Loop: Header=BB4_5820 Depth=3
	v_clz_i32_u32_e32 v5, v16
	s_delay_alu instid0(VALU_DEP_1) | instskip(NEXT) | instid1(VALU_DEP_1)
	v_min_u32_e32 v5, 32, v5
	v_subrev_nc_u32_e32 v16, 29, v5
	s_delay_alu instid0(VALU_DEP_1) | instskip(NEXT) | instid1(VALU_DEP_1)
	v_lshlrev_b64_e32 v[16:17], v16, v[2:3]
	v_dual_sub_nc_u32 v5, 30, v5 :: v_dual_bitop2_b32 v16, 3, v16 bitop3:0x40
; %bb.6265:                             ;   in Loop: Header=BB4_5820 Depth=3
	s_or_b32 exec_lo, exec_lo, s72
	v_and_b32_e32 v2, 0x80000000, v22
	s_delay_alu instid0(VALU_DEP_1) | instskip(NEXT) | instid1(VALU_DEP_1)
	v_lshl_add_u32 v2, v5, 23, v2
	v_lshl_or_b32 v2, v16, 21, v2
                                        ; implicit-def: $vgpr16
	s_delay_alu instid0(VALU_DEP_1)
	v_add_nc_u32_e32 v5, 0x38000000, v2
.LBB4_6266:                             ;   in Loop: Header=BB4_5820 Depth=3
	s_and_not1_saveexec_b32 s43, s43
; %bb.6267:                             ;   in Loop: Header=BB4_5820 Depth=3
	v_cmp_lt_i32_e32 vcc_lo, -1, v22
	v_cndmask_b32_e32 v2, 0xff800000, v112, vcc_lo
	v_cmp_eq_u32_e32 vcc_lo, 0, v16
	s_delay_alu instid0(VALU_DEP_2)
	v_cndmask_b32_e32 v5, 0x7f800001, v2, vcc_lo
; %bb.6268:                             ;   in Loop: Header=BB4_5820 Depth=3
	s_or_b32 exec_lo, exec_lo, s43
.LBB4_6269:                             ;   in Loop: Header=BB4_5820 Depth=3
	s_delay_alu instid0(SALU_CYCLE_1)
	s_or_b32 exec_lo, exec_lo, s42
.LBB4_6270:                             ;   in Loop: Header=BB4_5820 Depth=3
	s_delay_alu instid0(SALU_CYCLE_1) | instskip(NEXT) | instid1(SALU_CYCLE_1)
	s_or_b32 exec_lo, exec_lo, s13
	s_mov_b32 s13, exec_lo
	v_cmpx_lt_u32_e32 0xffffff, v18
	s_cbranch_execz .LBB4_6280
; %bb.6271:                             ;   in Loop: Header=BB4_5820 Depth=3
	v_lshrrev_b32_e32 v2, 24, v18
	v_bfrev_b32_e32 v4, 1
	s_mov_b32 s42, exec_lo
	s_delay_alu instid0(VALU_DEP_2)
	v_cmpx_ne_u32_e32 0x80, v2
	s_cbranch_execz .LBB4_6279
; %bb.6272:                             ;   in Loop: Header=BB4_5820 Depth=3
	v_and_b32_e32 v4, 0x7c000000, v18
	v_bfe_u32 v16, v18, 24, 2
	s_delay_alu instid0(VALU_DEP_2) | instskip(SKIP_1) | instid1(SALU_CYCLE_1)
	v_cmp_ne_u32_e32 vcc_lo, 0x7c000000, v4
                                        ; implicit-def: $vgpr4
	s_and_saveexec_b32 s43, vcc_lo
	s_xor_b32 s43, exec_lo, s43
	s_cbranch_execz .LBB4_6276
; %bb.6273:                             ;   in Loop: Header=BB4_5820 Depth=3
	v_bfe_u32 v4, v18, 26, 5
	s_mov_b32 s72, exec_lo
	s_delay_alu instid0(VALU_DEP_1)
	v_cmpx_eq_u32_e32 0, v4
; %bb.6274:                             ;   in Loop: Header=BB4_5820 Depth=3
	v_clz_i32_u32_e32 v4, v16
	s_delay_alu instid0(VALU_DEP_1) | instskip(NEXT) | instid1(VALU_DEP_1)
	v_min_u32_e32 v4, 32, v4
	v_subrev_nc_u32_e32 v16, 29, v4
	v_sub_nc_u32_e32 v4, 30, v4
	s_delay_alu instid0(VALU_DEP_2) | instskip(NEXT) | instid1(VALU_DEP_1)
	v_lshlrev_b64_e32 v[16:17], v16, v[2:3]
	v_and_b32_e32 v16, 3, v16
; %bb.6275:                             ;   in Loop: Header=BB4_5820 Depth=3
	s_or_b32 exec_lo, exec_lo, s72
	v_and_b32_e32 v2, 0x80000000, v18
	s_delay_alu instid0(VALU_DEP_1) | instskip(NEXT) | instid1(VALU_DEP_1)
	v_lshl_add_u32 v2, v4, 23, v2
	v_lshl_or_b32 v2, v16, 21, v2
                                        ; implicit-def: $vgpr16
	s_delay_alu instid0(VALU_DEP_1)
	v_add_nc_u32_e32 v4, 0x38000000, v2
.LBB4_6276:                             ;   in Loop: Header=BB4_5820 Depth=3
	s_and_not1_saveexec_b32 s43, s43
; %bb.6277:                             ;   in Loop: Header=BB4_5820 Depth=3
	v_cmp_lt_i32_e32 vcc_lo, -1, v18
	v_cndmask_b32_e32 v2, 0xff800000, v112, vcc_lo
	v_cmp_eq_u32_e32 vcc_lo, 0, v16
	s_delay_alu instid0(VALU_DEP_2)
	v_cndmask_b32_e32 v4, 0x7f800001, v2, vcc_lo
; %bb.6278:                             ;   in Loop: Header=BB4_5820 Depth=3
	s_or_b32 exec_lo, exec_lo, s43
.LBB4_6279:                             ;   in Loop: Header=BB4_5820 Depth=3
	s_delay_alu instid0(SALU_CYCLE_1)
	s_or_b32 exec_lo, exec_lo, s42
.LBB4_6280:                             ;   in Loop: Header=BB4_5820 Depth=3
	s_delay_alu instid0(SALU_CYCLE_1) | instskip(NEXT) | instid1(VALU_DEP_1)
	s_or_b32 exec_lo, exec_lo, s13
	v_dual_mul_f32 v4, v5, v4 :: v_dual_mov_b32 v17, v3
                                        ; implicit-def: $vgpr85
	s_mov_b32 s13, exec_lo
	s_delay_alu instid0(VALU_DEP_1) | instskip(SKIP_2) | instid1(VALU_DEP_3)
	v_and_b32_e32 v16, 0x7f800000, v4
	v_and_b32_e32 v2, 0x7fffff, v4
	v_lshrrev_b32_e32 v5, 24, v4
	v_cmpx_ne_u64_e32 0x7f800000, v[16:17]
	s_xor_b32 s42, exec_lo, s13
	s_cbranch_execz .LBB4_6294
; %bb.6281:                             ;   in Loop: Header=BB4_5820 Depth=3
	v_and_b32_e32 v16, 0x7fffffff, v4
	v_mov_b32_e32 v17, v3
	v_and_b32_e32 v100, 0x80, v5
                                        ; implicit-def: $vgpr85
	s_mov_b32 s13, exec_lo
	s_delay_alu instid0(VALU_DEP_2)
	v_cmpx_gt_u64_e32 0x47600001, v[16:17]
	s_xor_b32 s43, exec_lo, s13
	s_cbranch_execz .LBB4_6291
; %bb.6282:                             ;   in Loop: Header=BB4_5820 Depth=3
	v_mov_b32_e32 v85, 0
	s_mov_b32 s72, exec_lo
	v_cmpx_ne_u32_e32 0, v4
	s_cbranch_execz .LBB4_6290
; %bb.6283:                             ;   in Loop: Header=BB4_5820 Depth=3
	v_bfe_u32 v85, v4, 23, 8
	v_or_b32_e32 v16, 0x800000, v2
	s_mov_b32 s73, exec_lo
	s_delay_alu instid0(VALU_DEP_2) | instskip(SKIP_1) | instid1(VALU_DEP_2)
	v_dual_mov_b32 v17, v3 :: v_dual_sub_nc_u32 v4, 0x71, v85
	v_cmp_gt_u32_e32 vcc_lo, 0x72, v85
	v_cndmask_b32_e32 v4, 0, v4, vcc_lo
	v_cmp_eq_u32_e32 vcc_lo, 0, v85
	s_delay_alu instid0(VALU_DEP_2) | instskip(NEXT) | instid1(VALU_DEP_1)
	v_cndmask_b32_e64 v101, v4, 0x70, vcc_lo
	v_dual_cndmask_b32 v16, v16, v2, vcc_lo :: v_dual_add_nc_u32 v4, 21, v101
	v_add_nc_u32_e32 v102, 20, v101
	s_delay_alu instid0(VALU_DEP_2) | instskip(NEXT) | instid1(VALU_DEP_2)
	v_lshlrev_b64_e64 v[4:5], v4, -1
	v_lshlrev_b64_e64 v[102:103], v102, 1
	s_delay_alu instid0(VALU_DEP_2) | instskip(NEXT) | instid1(VALU_DEP_3)
	v_bfi_b32 v117, v5, 0, 0
	v_bfi_b32 v116, v4, 0, v16
	v_lshrrev_b64 v[4:5], v101, v[16:17]
	s_delay_alu instid0(VALU_DEP_1) | instskip(NEXT) | instid1(VALU_DEP_3)
	v_mov_b64_e32 v[16:17], v[4:5]
	v_cmpx_eq_u64_e64 v[116:117], v[102:103]
; %bb.6284:                             ;   in Loop: Header=BB4_5820 Depth=3
	v_bfe_u32 v16, v4, 21, 1
	v_mov_b32_e32 v17, v3
	s_delay_alu instid0(VALU_DEP_1) | instskip(NEXT) | instid1(VALU_DEP_1)
	v_add_nc_u64_e32 v[16:17], v[4:5], v[16:17]
	v_add_nc_u64_e32 v[16:17], -1, v[16:17]
; %bb.6285:                             ;   in Loop: Header=BB4_5820 Depth=3
	s_or_b32 exec_lo, exec_lo, s73
	v_add_nc_u32_e32 v2, 0xffffff81, v85
	v_lshrrev_b32_e32 v5, 23, v4
	s_mov_b32 s13, exec_lo
	s_delay_alu instid0(VALU_DEP_2) | instskip(NEXT) | instid1(VALU_DEP_1)
	v_cndmask_b32_e64 v2, v2, 0xffffff82, vcc_lo
	v_add3_u32 v17, v101, v2, v5
	v_and_b32_e32 v2, 0x1fffff, v16
                                        ; implicit-def: $vgpr16
	s_delay_alu instid0(VALU_DEP_1) | instskip(NEXT) | instid1(VALU_DEP_1)
	v_dual_add_nc_u32 v85, 14, v17 :: v_dual_add_nc_u32 v2, v2, v4
                                        ; implicit-def: $vgpr4_vgpr5
	v_cmpx_ne_u32_e32 0, v85
	s_xor_b32 s13, exec_lo, s13
; %bb.6286:                             ;   in Loop: Header=BB4_5820 Depth=3
	s_delay_alu instid0(VALU_DEP_2) | instskip(SKIP_1) | instid1(VALU_DEP_1)
	v_cmp_lt_u64_e32 vcc_lo, 0xffffff, v[2:3]
	v_add_nc_u32_e32 v4, 15, v17
	v_cndmask_b32_e32 v16, v85, v4, vcc_lo
	v_cndmask_b32_e64 v4, 0, 1, vcc_lo
	s_delay_alu instid0(VALU_DEP_1)
	v_lshrrev_b64 v[4:5], v4, v[2:3]
; %bb.6287:                             ;   in Loop: Header=BB4_5820 Depth=3
	s_and_not1_saveexec_b32 s13, s13
; %bb.6288:                             ;   in Loop: Header=BB4_5820 Depth=3
	v_mov_b64_e32 v[4:5], v[2:3]
	v_bfe_u32 v16, v2, 23, 1
; %bb.6289:                             ;   in Loop: Header=BB4_5820 Depth=3
	s_or_b32 exec_lo, exec_lo, s13
	s_delay_alu instid0(VALU_DEP_2) | instskip(NEXT) | instid1(VALU_DEP_2)
	v_lshrrev_b64 v[4:5], 21, v[4:5]
	v_cmp_gt_i32_e32 vcc_lo, 32, v16
	v_min_i32_e32 v2, 31, v16
	v_cmp_eq_u32_e64 s13, 0, v16
	s_delay_alu instid0(VALU_DEP_2) | instskip(SKIP_1) | instid1(VALU_DEP_2)
	v_dual_cndmask_b32 v5, 0, v5 :: v_dual_lshlrev_b32 v2, 2, v2
	v_cndmask_b32_e32 v4, 3, v4, vcc_lo
	v_and_b32_e32 v2, 0xfc, v2
	s_delay_alu instid0(VALU_DEP_2) | instskip(NEXT) | instid1(VALU_DEP_2)
	v_cmp_eq_u64_e32 vcc_lo, 0, v[4:5]
	v_and_or_b32 v2, v4, 3, v2
	s_and_b32 s13, s13, vcc_lo
	s_delay_alu instid0(VALU_DEP_1) | instid1(SALU_CYCLE_1)
	v_cndmask_b32_e64 v2, v2, 0, s13
	s_delay_alu instid0(VALU_DEP_1)
	v_or_b32_e32 v85, v2, v100
.LBB4_6290:                             ;   in Loop: Header=BB4_5820 Depth=3
	s_or_b32 exec_lo, exec_lo, s72
                                        ; implicit-def: $vgpr100
.LBB4_6291:                             ;   in Loop: Header=BB4_5820 Depth=3
	s_and_not1_saveexec_b32 s13, s43
; %bb.6292:                             ;   in Loop: Header=BB4_5820 Depth=3
	v_or_b32_e32 v85, 0x7b, v100
; %bb.6293:                             ;   in Loop: Header=BB4_5820 Depth=3
	s_or_b32 exec_lo, exec_lo, s13
                                        ; implicit-def: $vgpr4
                                        ; implicit-def: $vgpr5
.LBB4_6294:                             ;   in Loop: Header=BB4_5820 Depth=3
	s_and_not1_saveexec_b32 s13, s42
	s_cbranch_execz .LBB4_6300
; %bb.6295:                             ;   in Loop: Header=BB4_5820 Depth=3
	s_mov_b32 s42, exec_lo
                                        ; implicit-def: $vgpr85
	v_cmpx_ne_u64_e32 0, v[2:3]
	s_xor_b32 s42, exec_lo, s42
; %bb.6296:                             ;   in Loop: Header=BB4_5820 Depth=3
	v_or_b32_e32 v85, 0x7f, v5
                                        ; implicit-def: $vgpr4
; %bb.6297:                             ;   in Loop: Header=BB4_5820 Depth=3
	s_and_not1_saveexec_b32 s42, s42
; %bb.6298:                             ;   in Loop: Header=BB4_5820 Depth=3
	v_cmp_lt_i32_e32 vcc_lo, -1, v4
	v_cndmask_b32_e32 v85, 0xfc, v113, vcc_lo
; %bb.6299:                             ;   in Loop: Header=BB4_5820 Depth=3
	s_or_b32 exec_lo, exec_lo, s42
.LBB4_6300:                             ;   in Loop: Header=BB4_5820 Depth=3
	s_delay_alu instid0(SALU_CYCLE_1) | instskip(SKIP_4) | instid1(VALU_DEP_3)
	s_or_b32 exec_lo, exec_lo, s13
	v_and_b32_e32 v16, 0xff, v23
	v_dual_mov_b32 v2, v23 :: v_dual_mov_b32 v5, 0
	v_mov_b32_e32 v4, 0
	s_mov_b32 s13, exec_lo
	v_cmpx_ne_u16_e32 0, v16
	s_cbranch_execz .LBB4_6310
; %bb.6301:                             ;   in Loop: Header=BB4_5820 Depth=3
	v_bfrev_b32_e32 v4, 1
	s_mov_b32 s42, exec_lo
	v_cmpx_ne_u16_e32 0x80, v16
	s_cbranch_execz .LBB4_6309
; %bb.6302:                             ;   in Loop: Header=BB4_5820 Depth=3
	v_and_b32_e32 v4, 0x7c, v23
	v_and_b32_e32 v16, 3, v23
	s_delay_alu instid0(VALU_DEP_2) | instskip(SKIP_1) | instid1(SALU_CYCLE_1)
	v_cmp_ne_u32_e32 vcc_lo, 0x7c, v4
                                        ; implicit-def: $vgpr4
	s_and_saveexec_b32 s43, vcc_lo
	s_xor_b32 s43, exec_lo, s43
	s_cbranch_execz .LBB4_6306
; %bb.6303:                             ;   in Loop: Header=BB4_5820 Depth=3
	v_bfe_u32 v4, v23, 2, 5
	s_mov_b32 s72, exec_lo
	s_delay_alu instid0(VALU_DEP_1)
	v_cmpx_eq_u32_e32 0, v4
; %bb.6304:                             ;   in Loop: Header=BB4_5820 Depth=3
	v_clz_i32_u32_e32 v4, v16
	s_delay_alu instid0(VALU_DEP_1) | instskip(NEXT) | instid1(VALU_DEP_1)
	v_min_u32_e32 v4, 32, v4
	v_subrev_nc_u32_e32 v16, 29, v4
	v_sub_nc_u32_e32 v4, 30, v4
	s_delay_alu instid0(VALU_DEP_2) | instskip(NEXT) | instid1(VALU_DEP_1)
	v_lshlrev_b64_e32 v[16:17], v16, v[2:3]
	v_and_b32_e32 v16, 3, v16
; %bb.6305:                             ;   in Loop: Header=BB4_5820 Depth=3
	s_or_b32 exec_lo, exec_lo, s72
	v_lshlrev_b32_e32 v17, 24, v23
	s_delay_alu instid0(VALU_DEP_1) | instskip(NEXT) | instid1(VALU_DEP_1)
	v_and_b32_e32 v17, 0x80000000, v17
	v_lshl_add_u32 v4, v4, 23, v17
	s_delay_alu instid0(VALU_DEP_1) | instskip(NEXT) | instid1(VALU_DEP_1)
	v_lshl_or_b32 v4, v16, 21, v4
                                        ; implicit-def: $vgpr16
	v_add_nc_u32_e32 v4, 0x38000000, v4
.LBB4_6306:                             ;   in Loop: Header=BB4_5820 Depth=3
	s_and_not1_saveexec_b32 s43, s43
; %bb.6307:                             ;   in Loop: Header=BB4_5820 Depth=3
	v_bfe_i32 v4, v23, 0, 8
	s_delay_alu instid0(VALU_DEP_1) | instskip(SKIP_2) | instid1(VALU_DEP_2)
	v_cmp_lt_i16_e32 vcc_lo, -1, v4
	v_cndmask_b32_e32 v4, 0xff800000, v112, vcc_lo
	v_cmp_eq_u32_e32 vcc_lo, 0, v16
	v_cndmask_b32_e32 v4, 0x7f800001, v4, vcc_lo
; %bb.6308:                             ;   in Loop: Header=BB4_5820 Depth=3
	s_or_b32 exec_lo, exec_lo, s43
.LBB4_6309:                             ;   in Loop: Header=BB4_5820 Depth=3
	s_delay_alu instid0(SALU_CYCLE_1)
	s_or_b32 exec_lo, exec_lo, s42
.LBB4_6310:                             ;   in Loop: Header=BB4_5820 Depth=3
	s_delay_alu instid0(SALU_CYCLE_1) | instskip(SKIP_2) | instid1(VALU_DEP_1)
	s_or_b32 exec_lo, exec_lo, s13
	v_and_b32_e32 v16, 0xff, v19
	s_mov_b32 s13, exec_lo
	v_cmpx_ne_u16_e32 0, v16
	s_cbranch_execz .LBB4_6320
; %bb.6311:                             ;   in Loop: Header=BB4_5820 Depth=3
	v_bfrev_b32_e32 v5, 1
	s_mov_b32 s42, exec_lo
	v_cmpx_ne_u16_e32 0x80, v16
	s_cbranch_execz .LBB4_6319
; %bb.6312:                             ;   in Loop: Header=BB4_5820 Depth=3
	v_and_b32_e32 v5, 0x7c, v19
	v_and_b32_e32 v16, 3, v19
	s_delay_alu instid0(VALU_DEP_2) | instskip(SKIP_1) | instid1(SALU_CYCLE_1)
	v_cmp_ne_u32_e32 vcc_lo, 0x7c, v5
                                        ; implicit-def: $vgpr5
	s_and_saveexec_b32 s43, vcc_lo
	s_xor_b32 s43, exec_lo, s43
	s_cbranch_execz .LBB4_6316
; %bb.6313:                             ;   in Loop: Header=BB4_5820 Depth=3
	v_bfe_u32 v5, v19, 2, 5
	s_mov_b32 s72, exec_lo
	s_delay_alu instid0(VALU_DEP_1)
	v_cmpx_eq_u32_e32 0, v5
; %bb.6314:                             ;   in Loop: Header=BB4_5820 Depth=3
	v_clz_i32_u32_e32 v5, v16
	v_dual_mov_b32 v16, v19 :: v_dual_mov_b32 v17, v3
	s_delay_alu instid0(VALU_DEP_2) | instskip(NEXT) | instid1(VALU_DEP_1)
	v_min_u32_e32 v5, 32, v5
	v_subrev_nc_u32_e32 v100, 29, v5
	s_delay_alu instid0(VALU_DEP_1) | instskip(NEXT) | instid1(VALU_DEP_1)
	v_lshlrev_b64_e32 v[16:17], v100, v[16:17]
	v_dual_sub_nc_u32 v5, 30, v5 :: v_dual_bitop2_b32 v16, 3, v16 bitop3:0x40
; %bb.6315:                             ;   in Loop: Header=BB4_5820 Depth=3
	s_or_b32 exec_lo, exec_lo, s72
	v_lshlrev_b32_e32 v17, 24, v19
	s_delay_alu instid0(VALU_DEP_1) | instskip(NEXT) | instid1(VALU_DEP_1)
	v_and_b32_e32 v17, 0x80000000, v17
	v_lshl_add_u32 v5, v5, 23, v17
	s_delay_alu instid0(VALU_DEP_1) | instskip(NEXT) | instid1(VALU_DEP_1)
	v_lshl_or_b32 v5, v16, 21, v5
                                        ; implicit-def: $vgpr16
	v_add_nc_u32_e32 v5, 0x38000000, v5
.LBB4_6316:                             ;   in Loop: Header=BB4_5820 Depth=3
	s_and_not1_saveexec_b32 s43, s43
; %bb.6317:                             ;   in Loop: Header=BB4_5820 Depth=3
	v_bfe_i32 v5, v19, 0, 8
	s_delay_alu instid0(VALU_DEP_1) | instskip(SKIP_2) | instid1(VALU_DEP_2)
	v_cmp_lt_i16_e32 vcc_lo, -1, v5
	v_cndmask_b32_e32 v5, 0xff800000, v112, vcc_lo
	v_cmp_eq_u32_e32 vcc_lo, 0, v16
	v_cndmask_b32_e32 v5, 0x7f800001, v5, vcc_lo
; %bb.6318:                             ;   in Loop: Header=BB4_5820 Depth=3
	s_or_b32 exec_lo, exec_lo, s43
.LBB4_6319:                             ;   in Loop: Header=BB4_5820 Depth=3
	s_delay_alu instid0(SALU_CYCLE_1)
	s_or_b32 exec_lo, exec_lo, s42
.LBB4_6320:                             ;   in Loop: Header=BB4_5820 Depth=3
	s_delay_alu instid0(SALU_CYCLE_1) | instskip(NEXT) | instid1(VALU_DEP_1)
	s_or_b32 exec_lo, exec_lo, s13
	v_dual_mul_f32 v16, v4, v5 :: v_dual_mov_b32 v101, v3
	v_mov_b32_e32 v5, v3
                                        ; implicit-def: $vgpr116
	s_mov_b32 s13, exec_lo
	s_delay_alu instid0(VALU_DEP_2) | instskip(SKIP_2) | instid1(VALU_DEP_3)
	v_and_b32_e32 v100, 0x7f800000, v16
	v_and_b32_e32 v4, 0x7fffff, v16
	v_lshrrev_b32_e32 v17, 24, v16
	v_cmpx_ne_u64_e32 0x7f800000, v[100:101]
	s_xor_b32 s42, exec_lo, s13
	s_cbranch_execz .LBB4_6334
; %bb.6321:                             ;   in Loop: Header=BB4_5820 Depth=3
	v_and_b32_e32 v100, 0x7fffffff, v16
	v_mov_b32_e32 v101, v3
                                        ; implicit-def: $vgpr116
	s_delay_alu instid0(VALU_DEP_1) | instskip(SKIP_2) | instid1(SALU_CYCLE_1)
	v_cmp_gt_u64_e32 vcc_lo, 0x47600001, v[100:101]
	v_and_b32_e32 v100, 0x80, v17
	s_and_saveexec_b32 s13, vcc_lo
	s_xor_b32 s43, exec_lo, s13
	s_cbranch_execz .LBB4_6331
; %bb.6322:                             ;   in Loop: Header=BB4_5820 Depth=3
	v_mov_b32_e32 v116, 0
	s_mov_b32 s72, exec_lo
	v_cmpx_ne_u32_e32 0, v16
	s_cbranch_execz .LBB4_6330
; %bb.6323:                             ;   in Loop: Header=BB4_5820 Depth=3
	v_bfe_u32 v101, v16, 23, 8
	v_or_b32_e32 v103, 0x800000, v4
	s_delay_alu instid0(VALU_DEP_2) | instskip(SKIP_1) | instid1(VALU_DEP_2)
	v_sub_nc_u32_e32 v16, 0x71, v101
	v_cmp_gt_u32_e32 vcc_lo, 0x72, v101
	v_cndmask_b32_e32 v16, 0, v16, vcc_lo
	v_cmp_eq_u32_e32 vcc_lo, 0, v101
	s_delay_alu instid0(VALU_DEP_2) | instskip(NEXT) | instid1(VALU_DEP_1)
	v_cndmask_b32_e64 v102, v16, 0x70, vcc_lo
	v_dual_cndmask_b32 v4, v103, v4, vcc_lo :: v_dual_add_nc_u32 v16, 21, v102
	v_add_nc_u32_e32 v116, 20, v102
	s_delay_alu instid0(VALU_DEP_2) | instskip(NEXT) | instid1(VALU_DEP_2)
	v_lshlrev_b64_e64 v[16:17], v16, -1
	v_lshlrev_b64_e64 v[116:117], v116, 1
	s_delay_alu instid0(VALU_DEP_2) | instskip(SKIP_1) | instid1(VALU_DEP_4)
	v_bfi_b32 v16, v16, 0, v4
	v_lshrrev_b64 v[4:5], v102, v[4:5]
	v_bfi_b32 v17, v17, 0, 0
	s_delay_alu instid0(VALU_DEP_1) | instskip(NEXT) | instid1(VALU_DEP_3)
	v_cmp_eq_u64_e64 s13, v[16:17], v[116:117]
	v_mov_b64_e32 v[16:17], v[4:5]
	s_and_saveexec_b32 s73, s13
; %bb.6324:                             ;   in Loop: Header=BB4_5820 Depth=3
	v_bfe_u32 v16, v4, 21, 1
	v_mov_b32_e32 v17, v3
	s_delay_alu instid0(VALU_DEP_1) | instskip(NEXT) | instid1(VALU_DEP_1)
	v_add_nc_u64_e32 v[16:17], v[4:5], v[16:17]
	v_add_nc_u64_e32 v[16:17], -1, v[16:17]
; %bb.6325:                             ;   in Loop: Header=BB4_5820 Depth=3
	s_or_b32 exec_lo, exec_lo, s73
	v_add_nc_u32_e32 v5, 0xffffff81, v101
	v_lshrrev_b32_e32 v17, 23, v4
	s_mov_b32 s13, exec_lo
	s_delay_alu instid0(VALU_DEP_2) | instskip(NEXT) | instid1(VALU_DEP_1)
	v_cndmask_b32_e64 v5, v5, 0xffffff82, vcc_lo
	v_add3_u32 v17, v102, v5, v17
	v_and_b32_e32 v5, 0x1fffff, v16
                                        ; implicit-def: $vgpr16
	s_delay_alu instid0(VALU_DEP_1) | instskip(SKIP_1) | instid1(VALU_DEP_2)
	v_dual_add_nc_u32 v101, 14, v17 :: v_dual_add_nc_u32 v4, v5, v4
	v_mov_b32_e32 v5, v3
	v_cmpx_ne_u32_e32 0, v101
	s_xor_b32 s13, exec_lo, s13
; %bb.6326:                             ;   in Loop: Header=BB4_5820 Depth=3
	s_delay_alu instid0(VALU_DEP_2) | instskip(SKIP_2) | instid1(VALU_DEP_2)
	v_cmp_lt_u64_e32 vcc_lo, 0xffffff, v[4:5]
	v_add_nc_u32_e32 v16, 15, v17
	v_cndmask_b32_e64 v17, 0, 1, vcc_lo
	v_cndmask_b32_e32 v16, v101, v16, vcc_lo
	s_delay_alu instid0(VALU_DEP_2)
	v_lshrrev_b64 v[4:5], v17, v[4:5]
; %bb.6327:                             ;   in Loop: Header=BB4_5820 Depth=3
	s_and_not1_saveexec_b32 s13, s13
; %bb.6328:                             ;   in Loop: Header=BB4_5820 Depth=3
	s_delay_alu instid0(VALU_DEP_1)
	v_bfe_u32 v16, v4, 23, 1
; %bb.6329:                             ;   in Loop: Header=BB4_5820 Depth=3
	s_or_b32 exec_lo, exec_lo, s13
	s_delay_alu instid0(VALU_DEP_2) | instskip(NEXT) | instid1(VALU_DEP_2)
	v_lshrrev_b64 v[4:5], 21, v[4:5]
	v_cmp_gt_i32_e32 vcc_lo, 32, v16
	v_min_i32_e32 v17, 31, v16
	v_cmp_eq_u32_e64 s13, 0, v16
	s_delay_alu instid0(VALU_DEP_4) | instskip(NEXT) | instid1(VALU_DEP_3)
	v_cndmask_b32_e32 v5, 0, v5, vcc_lo
	v_dual_cndmask_b32 v4, 3, v4 :: v_dual_lshlrev_b32 v17, 2, v17
	s_delay_alu instid0(VALU_DEP_1) | instskip(NEXT) | instid1(VALU_DEP_2)
	v_and_b32_e32 v17, 0xfc, v17
	v_cmp_eq_u64_e32 vcc_lo, 0, v[4:5]
	s_delay_alu instid0(VALU_DEP_2)
	v_and_or_b32 v4, v4, 3, v17
	s_and_b32 s13, s13, vcc_lo
	s_delay_alu instid0(VALU_DEP_1) | instid1(SALU_CYCLE_1)
	v_cndmask_b32_e64 v4, v4, 0, s13
	s_delay_alu instid0(VALU_DEP_1)
	v_or_b32_e32 v116, v4, v100
.LBB4_6330:                             ;   in Loop: Header=BB4_5820 Depth=3
	s_or_b32 exec_lo, exec_lo, s72
                                        ; implicit-def: $vgpr100
.LBB4_6331:                             ;   in Loop: Header=BB4_5820 Depth=3
	s_and_not1_saveexec_b32 s13, s43
; %bb.6332:                             ;   in Loop: Header=BB4_5820 Depth=3
	v_or_b32_e32 v116, 0x7b, v100
; %bb.6333:                             ;   in Loop: Header=BB4_5820 Depth=3
	s_or_b32 exec_lo, exec_lo, s13
                                        ; implicit-def: $vgpr16
                                        ; implicit-def: $vgpr4_vgpr5
                                        ; implicit-def: $vgpr17
.LBB4_6334:                             ;   in Loop: Header=BB4_5820 Depth=3
	s_and_not1_saveexec_b32 s13, s42
	s_cbranch_execz .LBB4_6340
; %bb.6335:                             ;   in Loop: Header=BB4_5820 Depth=3
	s_mov_b32 s42, exec_lo
                                        ; implicit-def: $vgpr116
	v_cmpx_ne_u64_e32 0, v[4:5]
	s_xor_b32 s42, exec_lo, s42
; %bb.6336:                             ;   in Loop: Header=BB4_5820 Depth=3
	v_or_b32_e32 v116, 0x7f, v17
                                        ; implicit-def: $vgpr16
; %bb.6337:                             ;   in Loop: Header=BB4_5820 Depth=3
	s_and_not1_saveexec_b32 s42, s42
; %bb.6338:                             ;   in Loop: Header=BB4_5820 Depth=3
	v_cmp_lt_i32_e32 vcc_lo, -1, v16
	v_cndmask_b32_e32 v116, 0xfc, v113, vcc_lo
; %bb.6339:                             ;   in Loop: Header=BB4_5820 Depth=3
	s_or_b32 exec_lo, exec_lo, s42
.LBB4_6340:                             ;   in Loop: Header=BB4_5820 Depth=3
	s_delay_alu instid0(SALU_CYCLE_1) | instskip(SKIP_3) | instid1(VALU_DEP_2)
	s_or_b32 exec_lo, exec_lo, s13
	v_lshrrev_b16 v4, 8, v2
	v_dual_mov_b32 v16, 0 :: v_dual_mov_b32 v17, 0
	s_mov_b32 s13, exec_lo
	v_cmpx_ne_u16_e32 0, v4
	s_cbranch_execz .LBB4_6350
; %bb.6341:                             ;   in Loop: Header=BB4_5820 Depth=3
	v_bfrev_b32_e32 v17, 1
	s_mov_b32 s42, exec_lo
	v_cmpx_ne_u16_e32 0x80, v4
	s_cbranch_execz .LBB4_6349
; %bb.6342:                             ;   in Loop: Header=BB4_5820 Depth=3
	v_and_b32_e32 v100, 0xffff, v4
	s_delay_alu instid0(VALU_DEP_1) | instskip(SKIP_1) | instid1(VALU_DEP_2)
	v_and_b32_e32 v17, 0x7c, v100
	v_and_b32_e32 v5, 3, v100
	v_cmp_ne_u32_e32 vcc_lo, 0x7c, v17
                                        ; implicit-def: $vgpr17
	s_and_saveexec_b32 s43, vcc_lo
	s_delay_alu instid0(SALU_CYCLE_1)
	s_xor_b32 s43, exec_lo, s43
	s_cbranch_execz .LBB4_6346
; %bb.6343:                             ;   in Loop: Header=BB4_5820 Depth=3
	v_bfe_u32 v17, v100, 2, 5
	s_mov_b32 s72, exec_lo
	s_delay_alu instid0(VALU_DEP_1)
	v_cmpx_eq_u32_e32 0, v17
	s_cbranch_execz .LBB4_6345
; %bb.6344:                             ;   in Loop: Header=BB4_5820 Depth=3
	v_clz_i32_u32_e32 v5, v5
	s_delay_alu instid0(VALU_DEP_1) | instskip(SKIP_1) | instid1(VALU_DEP_2)
	v_min_u32_e32 v17, 32, v5
	v_mov_b32_e32 v5, v3
	v_subrev_nc_u32_e32 v100, 29, v17
	v_sub_nc_u32_e32 v17, 30, v17
	s_delay_alu instid0(VALU_DEP_2) | instskip(NEXT) | instid1(VALU_DEP_1)
	v_lshlrev_b64_e32 v[4:5], v100, v[4:5]
	v_and_b32_e32 v5, 3, v4
.LBB4_6345:                             ;   in Loop: Header=BB4_5820 Depth=3
	s_or_b32 exec_lo, exec_lo, s72
	v_lshlrev_b32_e32 v2, 16, v2
	s_delay_alu instid0(VALU_DEP_1) | instskip(NEXT) | instid1(VALU_DEP_1)
	v_and_b32_e32 v2, 0x80000000, v2
	v_lshl_add_u32 v2, v17, 23, v2
	s_delay_alu instid0(VALU_DEP_1) | instskip(NEXT) | instid1(VALU_DEP_1)
	v_lshl_or_b32 v2, v5, 21, v2
                                        ; implicit-def: $vgpr5
	v_add_nc_u32_e32 v17, 0x38000000, v2
.LBB4_6346:                             ;   in Loop: Header=BB4_5820 Depth=3
	s_and_not1_saveexec_b32 s43, s43
; %bb.6347:                             ;   in Loop: Header=BB4_5820 Depth=3
	v_cmp_lt_i16_e32 vcc_lo, -1, v2
	v_cndmask_b32_e32 v2, 0xff800000, v112, vcc_lo
	v_cmp_eq_u32_e32 vcc_lo, 0, v5
	s_delay_alu instid0(VALU_DEP_2)
	v_cndmask_b32_e32 v17, 0x7f800001, v2, vcc_lo
; %bb.6348:                             ;   in Loop: Header=BB4_5820 Depth=3
	s_or_b32 exec_lo, exec_lo, s43
.LBB4_6349:                             ;   in Loop: Header=BB4_5820 Depth=3
	s_delay_alu instid0(SALU_CYCLE_1)
	s_or_b32 exec_lo, exec_lo, s42
.LBB4_6350:                             ;   in Loop: Header=BB4_5820 Depth=3
	s_delay_alu instid0(SALU_CYCLE_1) | instskip(SKIP_2) | instid1(VALU_DEP_1)
	s_or_b32 exec_lo, exec_lo, s13
	v_lshrrev_b16 v4, 8, v19
	s_mov_b32 s13, exec_lo
	v_cmpx_ne_u16_e32 0, v4
	s_cbranch_execz .LBB4_6360
; %bb.6351:                             ;   in Loop: Header=BB4_5820 Depth=3
	v_bfrev_b32_e32 v16, 1
	s_mov_b32 s42, exec_lo
	v_cmpx_ne_u16_e32 0x80, v4
	s_cbranch_execz .LBB4_6359
; %bb.6352:                             ;   in Loop: Header=BB4_5820 Depth=3
	v_and_b32_e32 v5, 0xffff, v4
	s_delay_alu instid0(VALU_DEP_1) | instskip(SKIP_1) | instid1(VALU_DEP_2)
	v_and_b32_e32 v16, 0x7c, v5
	v_and_b32_e32 v2, 3, v5
	v_cmp_ne_u32_e32 vcc_lo, 0x7c, v16
                                        ; implicit-def: $vgpr16
	s_and_saveexec_b32 s43, vcc_lo
	s_delay_alu instid0(SALU_CYCLE_1)
	s_xor_b32 s43, exec_lo, s43
	s_cbranch_execz .LBB4_6356
; %bb.6353:                             ;   in Loop: Header=BB4_5820 Depth=3
	v_bfe_u32 v5, v5, 2, 5
	s_mov_b32 s72, exec_lo
	s_delay_alu instid0(VALU_DEP_1)
	v_cmpx_eq_u32_e32 0, v5
; %bb.6354:                             ;   in Loop: Header=BB4_5820 Depth=3
	v_clz_i32_u32_e32 v2, v2
	v_mov_b32_e32 v5, v3
	s_delay_alu instid0(VALU_DEP_2) | instskip(NEXT) | instid1(VALU_DEP_1)
	v_min_u32_e32 v2, 32, v2
	v_subrev_nc_u32_e32 v16, 29, v2
	s_delay_alu instid0(VALU_DEP_1) | instskip(NEXT) | instid1(VALU_DEP_1)
	v_lshlrev_b64_e32 v[4:5], v16, v[4:5]
	v_dual_sub_nc_u32 v5, 30, v2 :: v_dual_bitop2_b32 v2, 3, v4 bitop3:0x40
; %bb.6355:                             ;   in Loop: Header=BB4_5820 Depth=3
	s_or_b32 exec_lo, exec_lo, s72
	v_lshlrev_b32_e32 v4, 16, v19
	s_delay_alu instid0(VALU_DEP_1) | instskip(NEXT) | instid1(VALU_DEP_1)
	v_and_b32_e32 v4, 0x80000000, v4
	v_lshl_add_u32 v4, v5, 23, v4
	s_delay_alu instid0(VALU_DEP_1) | instskip(NEXT) | instid1(VALU_DEP_1)
	v_lshl_or_b32 v2, v2, 21, v4
	v_add_nc_u32_e32 v16, 0x38000000, v2
                                        ; implicit-def: $vgpr2
.LBB4_6356:                             ;   in Loop: Header=BB4_5820 Depth=3
	s_and_not1_saveexec_b32 s43, s43
; %bb.6357:                             ;   in Loop: Header=BB4_5820 Depth=3
	v_cmp_lt_i16_e32 vcc_lo, -1, v19
	v_cndmask_b32_e32 v4, 0xff800000, v112, vcc_lo
	v_cmp_eq_u32_e32 vcc_lo, 0, v2
	s_delay_alu instid0(VALU_DEP_2)
	v_cndmask_b32_e32 v16, 0x7f800001, v4, vcc_lo
; %bb.6358:                             ;   in Loop: Header=BB4_5820 Depth=3
	s_or_b32 exec_lo, exec_lo, s43
.LBB4_6359:                             ;   in Loop: Header=BB4_5820 Depth=3
	s_delay_alu instid0(SALU_CYCLE_1)
	s_or_b32 exec_lo, exec_lo, s42
.LBB4_6360:                             ;   in Loop: Header=BB4_5820 Depth=3
	s_delay_alu instid0(SALU_CYCLE_1) | instskip(NEXT) | instid1(VALU_DEP_1)
	s_or_b32 exec_lo, exec_lo, s13
	v_dual_mul_f32 v4, v17, v16 :: v_dual_mov_b32 v17, v3
                                        ; implicit-def: $vgpr117
	s_mov_b32 s13, exec_lo
	s_delay_alu instid0(VALU_DEP_1) | instskip(SKIP_2) | instid1(VALU_DEP_3)
	v_and_b32_e32 v16, 0x7f800000, v4
	v_and_b32_e32 v2, 0x7fffff, v4
	v_lshrrev_b32_e32 v5, 24, v4
	v_cmpx_ne_u64_e32 0x7f800000, v[16:17]
	s_xor_b32 s42, exec_lo, s13
	s_cbranch_execz .LBB4_6374
; %bb.6361:                             ;   in Loop: Header=BB4_5820 Depth=3
	v_and_b32_e32 v16, 0x7fffffff, v4
	v_mov_b32_e32 v17, v3
	v_and_b32_e32 v100, 0x80, v5
                                        ; implicit-def: $vgpr117
	s_mov_b32 s13, exec_lo
	s_delay_alu instid0(VALU_DEP_2)
	v_cmpx_gt_u64_e32 0x47600001, v[16:17]
	s_xor_b32 s43, exec_lo, s13
	s_cbranch_execz .LBB4_6371
; %bb.6362:                             ;   in Loop: Header=BB4_5820 Depth=3
	v_mov_b32_e32 v117, 0
	s_mov_b32 s72, exec_lo
	v_cmpx_ne_u32_e32 0, v4
	s_cbranch_execz .LBB4_6370
; %bb.6363:                             ;   in Loop: Header=BB4_5820 Depth=3
	v_bfe_u32 v101, v4, 23, 8
	v_or_b32_e32 v16, 0x800000, v2
	s_mov_b32 s73, exec_lo
	s_delay_alu instid0(VALU_DEP_2) | instskip(SKIP_1) | instid1(VALU_DEP_2)
	v_dual_mov_b32 v17, v3 :: v_dual_sub_nc_u32 v4, 0x71, v101
	v_cmp_gt_u32_e32 vcc_lo, 0x72, v101
	v_cndmask_b32_e32 v4, 0, v4, vcc_lo
	v_cmp_eq_u32_e32 vcc_lo, 0, v101
	s_delay_alu instid0(VALU_DEP_2) | instskip(SKIP_1) | instid1(VALU_DEP_2)
	v_cndmask_b32_e64 v102, v4, 0x70, vcc_lo
	v_cndmask_b32_e32 v16, v16, v2, vcc_lo
	v_dual_add_nc_u32 v4, 21, v102 :: v_dual_add_nc_u32 v103, 20, v102
	s_delay_alu instid0(VALU_DEP_1) | instskip(NEXT) | instid1(VALU_DEP_2)
	v_lshlrev_b64_e64 v[4:5], v4, -1
	v_lshlrev_b64_e64 v[44:45], v103, 1
	s_delay_alu instid0(VALU_DEP_2) | instskip(NEXT) | instid1(VALU_DEP_3)
	v_bfi_b32 v47, v5, 0, 0
	v_bfi_b32 v46, v4, 0, v16
	v_lshrrev_b64 v[4:5], v102, v[16:17]
	s_delay_alu instid0(VALU_DEP_1) | instskip(NEXT) | instid1(VALU_DEP_3)
	v_mov_b64_e32 v[16:17], v[4:5]
	v_cmpx_eq_u64_e64 v[46:47], v[44:45]
; %bb.6364:                             ;   in Loop: Header=BB4_5820 Depth=3
	v_bfe_u32 v16, v4, 21, 1
	v_mov_b32_e32 v17, v3
	s_delay_alu instid0(VALU_DEP_1) | instskip(NEXT) | instid1(VALU_DEP_1)
	v_add_nc_u64_e32 v[16:17], v[4:5], v[16:17]
	v_add_nc_u64_e32 v[16:17], -1, v[16:17]
; %bb.6365:                             ;   in Loop: Header=BB4_5820 Depth=3
	s_or_b32 exec_lo, exec_lo, s73
	v_add_nc_u32_e32 v2, 0xffffff81, v101
	v_lshrrev_b32_e32 v5, 23, v4
	s_mov_b32 s13, exec_lo
	s_delay_alu instid0(VALU_DEP_2) | instskip(NEXT) | instid1(VALU_DEP_1)
	v_cndmask_b32_e64 v2, v2, 0xffffff82, vcc_lo
	v_add3_u32 v17, v102, v2, v5
	v_and_b32_e32 v2, 0x1fffff, v16
                                        ; implicit-def: $vgpr16
	s_delay_alu instid0(VALU_DEP_1) | instskip(NEXT) | instid1(VALU_DEP_1)
	v_dual_add_nc_u32 v101, 14, v17 :: v_dual_add_nc_u32 v2, v2, v4
                                        ; implicit-def: $vgpr4_vgpr5
	v_cmpx_ne_u32_e32 0, v101
	s_xor_b32 s13, exec_lo, s13
; %bb.6366:                             ;   in Loop: Header=BB4_5820 Depth=3
	s_delay_alu instid0(VALU_DEP_2) | instskip(SKIP_1) | instid1(VALU_DEP_1)
	v_cmp_lt_u64_e32 vcc_lo, 0xffffff, v[2:3]
	v_add_nc_u32_e32 v4, 15, v17
	v_cndmask_b32_e32 v16, v101, v4, vcc_lo
	v_cndmask_b32_e64 v4, 0, 1, vcc_lo
	s_delay_alu instid0(VALU_DEP_1)
	v_lshrrev_b64 v[4:5], v4, v[2:3]
; %bb.6367:                             ;   in Loop: Header=BB4_5820 Depth=3
	s_and_not1_saveexec_b32 s13, s13
; %bb.6368:                             ;   in Loop: Header=BB4_5820 Depth=3
	v_mov_b64_e32 v[4:5], v[2:3]
	v_bfe_u32 v16, v2, 23, 1
; %bb.6369:                             ;   in Loop: Header=BB4_5820 Depth=3
	s_or_b32 exec_lo, exec_lo, s13
	s_delay_alu instid0(VALU_DEP_2) | instskip(NEXT) | instid1(VALU_DEP_2)
	v_lshrrev_b64 v[4:5], 21, v[4:5]
	v_cmp_gt_i32_e32 vcc_lo, 32, v16
	v_min_i32_e32 v2, 31, v16
	v_cmp_eq_u32_e64 s13, 0, v16
	s_delay_alu instid0(VALU_DEP_2) | instskip(SKIP_1) | instid1(VALU_DEP_2)
	v_dual_cndmask_b32 v5, 0, v5 :: v_dual_lshlrev_b32 v2, 2, v2
	v_cndmask_b32_e32 v4, 3, v4, vcc_lo
	v_and_b32_e32 v2, 0xfc, v2
	s_delay_alu instid0(VALU_DEP_2) | instskip(NEXT) | instid1(VALU_DEP_2)
	v_cmp_eq_u64_e32 vcc_lo, 0, v[4:5]
	v_and_or_b32 v2, v4, 3, v2
	s_and_b32 s13, s13, vcc_lo
	s_delay_alu instid0(VALU_DEP_1) | instid1(SALU_CYCLE_1)
	v_cndmask_b32_e64 v2, v2, 0, s13
	s_delay_alu instid0(VALU_DEP_1)
	v_or_b32_e32 v117, v2, v100
.LBB4_6370:                             ;   in Loop: Header=BB4_5820 Depth=3
	s_or_b32 exec_lo, exec_lo, s72
                                        ; implicit-def: $vgpr100
.LBB4_6371:                             ;   in Loop: Header=BB4_5820 Depth=3
	s_and_not1_saveexec_b32 s13, s43
; %bb.6372:                             ;   in Loop: Header=BB4_5820 Depth=3
	v_or_b32_e32 v117, 0x7b, v100
; %bb.6373:                             ;   in Loop: Header=BB4_5820 Depth=3
	s_or_b32 exec_lo, exec_lo, s13
                                        ; implicit-def: $vgpr4
                                        ; implicit-def: $vgpr5
.LBB4_6374:                             ;   in Loop: Header=BB4_5820 Depth=3
	s_and_not1_saveexec_b32 s13, s42
	s_cbranch_execz .LBB4_6380
; %bb.6375:                             ;   in Loop: Header=BB4_5820 Depth=3
	s_mov_b32 s42, exec_lo
                                        ; implicit-def: $vgpr117
	v_cmpx_ne_u64_e32 0, v[2:3]
	s_xor_b32 s42, exec_lo, s42
; %bb.6376:                             ;   in Loop: Header=BB4_5820 Depth=3
	v_or_b32_e32 v117, 0x7f, v5
                                        ; implicit-def: $vgpr4
; %bb.6377:                             ;   in Loop: Header=BB4_5820 Depth=3
	s_and_not1_saveexec_b32 s42, s42
; %bb.6378:                             ;   in Loop: Header=BB4_5820 Depth=3
	v_cmp_lt_i32_e32 vcc_lo, -1, v4
	v_cndmask_b32_e32 v117, 0xfc, v113, vcc_lo
; %bb.6379:                             ;   in Loop: Header=BB4_5820 Depth=3
	s_or_b32 exec_lo, exec_lo, s42
.LBB4_6380:                             ;   in Loop: Header=BB4_5820 Depth=3
	s_delay_alu instid0(SALU_CYCLE_1) | instskip(SKIP_3) | instid1(VALU_DEP_2)
	s_or_b32 exec_lo, exec_lo, s13
	v_dual_lshrrev_b32 v2, 16, v23 :: v_dual_mov_b32 v4, 0
	v_mov_b32_e32 v5, 0
	s_mov_b32 s13, exec_lo
	v_and_b32_e32 v16, 0xff, v2
	s_delay_alu instid0(VALU_DEP_1)
	v_cmpx_ne_u16_e32 0, v16
	s_cbranch_execz .LBB4_6390
; %bb.6381:                             ;   in Loop: Header=BB4_5820 Depth=3
	v_bfrev_b32_e32 v5, 1
	s_mov_b32 s42, exec_lo
	v_cmpx_ne_u16_e32 0x80, v16
	s_cbranch_execz .LBB4_6389
; %bb.6382:                             ;   in Loop: Header=BB4_5820 Depth=3
	v_and_b32_e32 v5, 0x7c0000, v23
	v_bfe_u32 v16, v23, 16, 2
	s_delay_alu instid0(VALU_DEP_2) | instskip(SKIP_1) | instid1(SALU_CYCLE_1)
	v_cmp_ne_u32_e32 vcc_lo, 0x7c0000, v5
                                        ; implicit-def: $vgpr5
	s_and_saveexec_b32 s43, vcc_lo
	s_xor_b32 s43, exec_lo, s43
	s_cbranch_execz .LBB4_6386
; %bb.6383:                             ;   in Loop: Header=BB4_5820 Depth=3
	v_bfe_u32 v5, v23, 18, 5
	s_mov_b32 s72, exec_lo
	s_delay_alu instid0(VALU_DEP_1)
	v_cmpx_eq_u32_e32 0, v5
; %bb.6384:                             ;   in Loop: Header=BB4_5820 Depth=3
	v_clz_i32_u32_e32 v5, v16
	s_delay_alu instid0(VALU_DEP_1) | instskip(NEXT) | instid1(VALU_DEP_1)
	v_min_u32_e32 v5, 32, v5
	v_subrev_nc_u32_e32 v16, 29, v5
	s_delay_alu instid0(VALU_DEP_1) | instskip(NEXT) | instid1(VALU_DEP_1)
	v_lshlrev_b64_e32 v[16:17], v16, v[2:3]
	v_dual_sub_nc_u32 v5, 30, v5 :: v_dual_bitop2_b32 v16, 3, v16 bitop3:0x40
; %bb.6385:                             ;   in Loop: Header=BB4_5820 Depth=3
	s_or_b32 exec_lo, exec_lo, s72
	v_lshlrev_b32_e32 v2, 24, v2
	s_delay_alu instid0(VALU_DEP_1) | instskip(NEXT) | instid1(VALU_DEP_1)
	v_and_b32_e32 v2, 0x80000000, v2
	v_lshl_add_u32 v2, v5, 23, v2
	s_delay_alu instid0(VALU_DEP_1) | instskip(NEXT) | instid1(VALU_DEP_1)
	v_lshl_or_b32 v2, v16, 21, v2
                                        ; implicit-def: $vgpr16
	v_add_nc_u32_e32 v5, 0x38000000, v2
                                        ; implicit-def: $vgpr2
.LBB4_6386:                             ;   in Loop: Header=BB4_5820 Depth=3
	s_and_not1_saveexec_b32 s43, s43
; %bb.6387:                             ;   in Loop: Header=BB4_5820 Depth=3
	v_bfe_i32 v2, v2, 0, 8
	s_delay_alu instid0(VALU_DEP_1) | instskip(SKIP_2) | instid1(VALU_DEP_2)
	v_cmp_lt_i16_e32 vcc_lo, -1, v2
	v_cndmask_b32_e32 v2, 0xff800000, v112, vcc_lo
	v_cmp_eq_u32_e32 vcc_lo, 0, v16
	v_cndmask_b32_e32 v5, 0x7f800001, v2, vcc_lo
; %bb.6388:                             ;   in Loop: Header=BB4_5820 Depth=3
	s_or_b32 exec_lo, exec_lo, s43
.LBB4_6389:                             ;   in Loop: Header=BB4_5820 Depth=3
	s_delay_alu instid0(SALU_CYCLE_1)
	s_or_b32 exec_lo, exec_lo, s42
.LBB4_6390:                             ;   in Loop: Header=BB4_5820 Depth=3
	s_delay_alu instid0(SALU_CYCLE_1) | instskip(SKIP_2) | instid1(VALU_DEP_1)
	s_or_b32 exec_lo, exec_lo, s13
	v_lshrrev_b32_e32 v2, 16, v19
	s_mov_b32 s13, exec_lo
	v_and_b32_e32 v16, 0xff, v2
	s_delay_alu instid0(VALU_DEP_1)
	v_cmpx_ne_u16_e32 0, v16
	s_cbranch_execz .LBB4_6400
; %bb.6391:                             ;   in Loop: Header=BB4_5820 Depth=3
	v_bfrev_b32_e32 v4, 1
	s_mov_b32 s42, exec_lo
	v_cmpx_ne_u16_e32 0x80, v16
	s_cbranch_execz .LBB4_6399
; %bb.6392:                             ;   in Loop: Header=BB4_5820 Depth=3
	v_and_b32_e32 v4, 0x7c0000, v19
	v_bfe_u32 v16, v19, 16, 2
	s_delay_alu instid0(VALU_DEP_2) | instskip(SKIP_1) | instid1(SALU_CYCLE_1)
	v_cmp_ne_u32_e32 vcc_lo, 0x7c0000, v4
                                        ; implicit-def: $vgpr4
	s_and_saveexec_b32 s43, vcc_lo
	s_xor_b32 s43, exec_lo, s43
	s_cbranch_execz .LBB4_6396
; %bb.6393:                             ;   in Loop: Header=BB4_5820 Depth=3
	v_bfe_u32 v4, v19, 18, 5
	s_mov_b32 s72, exec_lo
	s_delay_alu instid0(VALU_DEP_1)
	v_cmpx_eq_u32_e32 0, v4
; %bb.6394:                             ;   in Loop: Header=BB4_5820 Depth=3
	v_clz_i32_u32_e32 v4, v16
	s_delay_alu instid0(VALU_DEP_1) | instskip(NEXT) | instid1(VALU_DEP_1)
	v_min_u32_e32 v4, 32, v4
	v_subrev_nc_u32_e32 v16, 29, v4
	v_sub_nc_u32_e32 v4, 30, v4
	s_delay_alu instid0(VALU_DEP_2) | instskip(NEXT) | instid1(VALU_DEP_1)
	v_lshlrev_b64_e32 v[16:17], v16, v[2:3]
	v_and_b32_e32 v16, 3, v16
; %bb.6395:                             ;   in Loop: Header=BB4_5820 Depth=3
	s_or_b32 exec_lo, exec_lo, s72
	v_lshlrev_b32_e32 v2, 24, v2
	s_delay_alu instid0(VALU_DEP_1) | instskip(NEXT) | instid1(VALU_DEP_1)
	v_and_b32_e32 v2, 0x80000000, v2
	v_lshl_add_u32 v2, v4, 23, v2
	s_delay_alu instid0(VALU_DEP_1) | instskip(NEXT) | instid1(VALU_DEP_1)
	v_lshl_or_b32 v2, v16, 21, v2
                                        ; implicit-def: $vgpr16
	v_add_nc_u32_e32 v4, 0x38000000, v2
                                        ; implicit-def: $vgpr2
.LBB4_6396:                             ;   in Loop: Header=BB4_5820 Depth=3
	s_and_not1_saveexec_b32 s43, s43
; %bb.6397:                             ;   in Loop: Header=BB4_5820 Depth=3
	v_bfe_i32 v2, v2, 0, 8
	s_delay_alu instid0(VALU_DEP_1) | instskip(SKIP_2) | instid1(VALU_DEP_2)
	v_cmp_lt_i16_e32 vcc_lo, -1, v2
	v_cndmask_b32_e32 v2, 0xff800000, v112, vcc_lo
	v_cmp_eq_u32_e32 vcc_lo, 0, v16
	v_cndmask_b32_e32 v4, 0x7f800001, v2, vcc_lo
; %bb.6398:                             ;   in Loop: Header=BB4_5820 Depth=3
	s_or_b32 exec_lo, exec_lo, s43
.LBB4_6399:                             ;   in Loop: Header=BB4_5820 Depth=3
	s_delay_alu instid0(SALU_CYCLE_1)
	s_or_b32 exec_lo, exec_lo, s42
.LBB4_6400:                             ;   in Loop: Header=BB4_5820 Depth=3
	s_delay_alu instid0(SALU_CYCLE_1) | instskip(NEXT) | instid1(VALU_DEP_1)
	s_or_b32 exec_lo, exec_lo, s13
	v_dual_mul_f32 v4, v5, v4 :: v_dual_mov_b32 v17, v3
                                        ; implicit-def: $vgpr41
	s_mov_b32 s13, exec_lo
	s_delay_alu instid0(VALU_DEP_1) | instskip(SKIP_2) | instid1(VALU_DEP_3)
	v_and_b32_e32 v16, 0x7f800000, v4
	v_and_b32_e32 v2, 0x7fffff, v4
	v_lshrrev_b32_e32 v5, 24, v4
	v_cmpx_ne_u64_e32 0x7f800000, v[16:17]
	s_xor_b32 s42, exec_lo, s13
	s_cbranch_execz .LBB4_6414
; %bb.6401:                             ;   in Loop: Header=BB4_5820 Depth=3
	v_and_b32_e32 v16, 0x7fffffff, v4
	v_mov_b32_e32 v17, v3
	v_and_b32_e32 v100, 0x80, v5
                                        ; implicit-def: $vgpr41
	s_mov_b32 s13, exec_lo
	s_delay_alu instid0(VALU_DEP_2)
	v_cmpx_gt_u64_e32 0x47600001, v[16:17]
	s_xor_b32 s43, exec_lo, s13
	s_cbranch_execz .LBB4_6411
; %bb.6402:                             ;   in Loop: Header=BB4_5820 Depth=3
	v_mov_b32_e32 v41, 0
	s_mov_b32 s72, exec_lo
	v_cmpx_ne_u32_e32 0, v4
	s_cbranch_execz .LBB4_6410
; %bb.6403:                             ;   in Loop: Header=BB4_5820 Depth=3
	v_bfe_u32 v101, v4, 23, 8
	v_or_b32_e32 v16, 0x800000, v2
	s_mov_b32 s73, exec_lo
	s_delay_alu instid0(VALU_DEP_2) | instskip(SKIP_1) | instid1(VALU_DEP_2)
	v_dual_mov_b32 v17, v3 :: v_dual_sub_nc_u32 v4, 0x71, v101
	v_cmp_gt_u32_e32 vcc_lo, 0x72, v101
	v_cndmask_b32_e32 v4, 0, v4, vcc_lo
	v_cmp_eq_u32_e32 vcc_lo, 0, v101
	s_delay_alu instid0(VALU_DEP_2) | instskip(SKIP_1) | instid1(VALU_DEP_2)
	v_cndmask_b32_e64 v102, v4, 0x70, vcc_lo
	v_cndmask_b32_e32 v16, v16, v2, vcc_lo
	v_dual_add_nc_u32 v4, 21, v102 :: v_dual_add_nc_u32 v103, 20, v102
	s_delay_alu instid0(VALU_DEP_1) | instskip(NEXT) | instid1(VALU_DEP_2)
	v_lshlrev_b64_e64 v[4:5], v4, -1
	v_lshlrev_b64_e64 v[44:45], v103, 1
	s_delay_alu instid0(VALU_DEP_2) | instskip(NEXT) | instid1(VALU_DEP_3)
	v_bfi_b32 v47, v5, 0, 0
	v_bfi_b32 v46, v4, 0, v16
	v_lshrrev_b64 v[4:5], v102, v[16:17]
	s_delay_alu instid0(VALU_DEP_1) | instskip(NEXT) | instid1(VALU_DEP_3)
	v_mov_b64_e32 v[16:17], v[4:5]
	v_cmpx_eq_u64_e64 v[46:47], v[44:45]
; %bb.6404:                             ;   in Loop: Header=BB4_5820 Depth=3
	v_bfe_u32 v16, v4, 21, 1
	v_mov_b32_e32 v17, v3
	s_delay_alu instid0(VALU_DEP_1) | instskip(NEXT) | instid1(VALU_DEP_1)
	v_add_nc_u64_e32 v[16:17], v[4:5], v[16:17]
	v_add_nc_u64_e32 v[16:17], -1, v[16:17]
; %bb.6405:                             ;   in Loop: Header=BB4_5820 Depth=3
	s_or_b32 exec_lo, exec_lo, s73
	v_add_nc_u32_e32 v2, 0xffffff81, v101
	v_lshrrev_b32_e32 v5, 23, v4
	s_mov_b32 s13, exec_lo
	s_delay_alu instid0(VALU_DEP_2) | instskip(NEXT) | instid1(VALU_DEP_1)
	v_cndmask_b32_e64 v2, v2, 0xffffff82, vcc_lo
	v_add3_u32 v17, v102, v2, v5
	v_and_b32_e32 v2, 0x1fffff, v16
                                        ; implicit-def: $vgpr16
	s_delay_alu instid0(VALU_DEP_1) | instskip(NEXT) | instid1(VALU_DEP_1)
	v_dual_add_nc_u32 v101, 14, v17 :: v_dual_add_nc_u32 v2, v2, v4
                                        ; implicit-def: $vgpr4_vgpr5
	v_cmpx_ne_u32_e32 0, v101
	s_xor_b32 s13, exec_lo, s13
; %bb.6406:                             ;   in Loop: Header=BB4_5820 Depth=3
	s_delay_alu instid0(VALU_DEP_2) | instskip(SKIP_1) | instid1(VALU_DEP_1)
	v_cmp_lt_u64_e32 vcc_lo, 0xffffff, v[2:3]
	v_add_nc_u32_e32 v4, 15, v17
	v_cndmask_b32_e32 v16, v101, v4, vcc_lo
	v_cndmask_b32_e64 v4, 0, 1, vcc_lo
	s_delay_alu instid0(VALU_DEP_1)
	v_lshrrev_b64 v[4:5], v4, v[2:3]
; %bb.6407:                             ;   in Loop: Header=BB4_5820 Depth=3
	s_and_not1_saveexec_b32 s13, s13
; %bb.6408:                             ;   in Loop: Header=BB4_5820 Depth=3
	v_mov_b64_e32 v[4:5], v[2:3]
	v_bfe_u32 v16, v2, 23, 1
; %bb.6409:                             ;   in Loop: Header=BB4_5820 Depth=3
	s_or_b32 exec_lo, exec_lo, s13
	s_delay_alu instid0(VALU_DEP_2) | instskip(NEXT) | instid1(VALU_DEP_2)
	v_lshrrev_b64 v[4:5], 21, v[4:5]
	v_cmp_gt_i32_e32 vcc_lo, 32, v16
	v_min_i32_e32 v2, 31, v16
	v_cmp_eq_u32_e64 s13, 0, v16
	s_delay_alu instid0(VALU_DEP_2) | instskip(SKIP_1) | instid1(VALU_DEP_2)
	v_dual_cndmask_b32 v5, 0, v5 :: v_dual_lshlrev_b32 v2, 2, v2
	v_cndmask_b32_e32 v4, 3, v4, vcc_lo
	v_and_b32_e32 v2, 0xfc, v2
	s_delay_alu instid0(VALU_DEP_2) | instskip(NEXT) | instid1(VALU_DEP_2)
	v_cmp_eq_u64_e32 vcc_lo, 0, v[4:5]
	v_and_or_b32 v2, v4, 3, v2
	s_and_b32 s13, s13, vcc_lo
	s_delay_alu instid0(VALU_DEP_1) | instid1(SALU_CYCLE_1)
	v_cndmask_b32_e64 v2, v2, 0, s13
	s_delay_alu instid0(VALU_DEP_1)
	v_or_b32_e32 v41, v2, v100
.LBB4_6410:                             ;   in Loop: Header=BB4_5820 Depth=3
	s_or_b32 exec_lo, exec_lo, s72
                                        ; implicit-def: $vgpr100
.LBB4_6411:                             ;   in Loop: Header=BB4_5820 Depth=3
	s_and_not1_saveexec_b32 s13, s43
; %bb.6412:                             ;   in Loop: Header=BB4_5820 Depth=3
	v_or_b32_e32 v41, 0x7b, v100
; %bb.6413:                             ;   in Loop: Header=BB4_5820 Depth=3
	s_or_b32 exec_lo, exec_lo, s13
                                        ; implicit-def: $vgpr4
                                        ; implicit-def: $vgpr5
.LBB4_6414:                             ;   in Loop: Header=BB4_5820 Depth=3
	s_and_not1_saveexec_b32 s13, s42
	s_cbranch_execz .LBB4_6420
; %bb.6415:                             ;   in Loop: Header=BB4_5820 Depth=3
	s_mov_b32 s42, exec_lo
                                        ; implicit-def: $vgpr41
	v_cmpx_ne_u64_e32 0, v[2:3]
	s_xor_b32 s42, exec_lo, s42
; %bb.6416:                             ;   in Loop: Header=BB4_5820 Depth=3
	v_or_b32_e32 v41, 0x7f, v5
                                        ; implicit-def: $vgpr4
; %bb.6417:                             ;   in Loop: Header=BB4_5820 Depth=3
	s_and_not1_saveexec_b32 s42, s42
; %bb.6418:                             ;   in Loop: Header=BB4_5820 Depth=3
	v_cmp_lt_i32_e32 vcc_lo, -1, v4
	v_cndmask_b32_e32 v41, 0xfc, v113, vcc_lo
; %bb.6419:                             ;   in Loop: Header=BB4_5820 Depth=3
	s_or_b32 exec_lo, exec_lo, s42
.LBB4_6420:                             ;   in Loop: Header=BB4_5820 Depth=3
	s_delay_alu instid0(SALU_CYCLE_1)
	s_or_b32 exec_lo, exec_lo, s13
	v_dual_mov_b32 v4, 0 :: v_dual_mov_b32 v5, 0
	s_mov_b32 s13, exec_lo
	v_cmpx_lt_u64_e64 s[22:23], v[22:23]
	s_cbranch_execz .LBB4_6430
; %bb.6421:                             ;   in Loop: Header=BB4_5820 Depth=3
	v_lshrrev_b32_e32 v2, 24, v23
	v_bfrev_b32_e32 v5, 1
	s_mov_b32 s42, exec_lo
	s_delay_alu instid0(VALU_DEP_2)
	v_cmpx_ne_u32_e32 0x80, v2
	s_cbranch_execz .LBB4_6429
; %bb.6422:                             ;   in Loop: Header=BB4_5820 Depth=3
	v_and_b32_e32 v5, 0x7c000000, v23
	v_bfe_u32 v16, v23, 24, 2
	s_delay_alu instid0(VALU_DEP_2) | instskip(SKIP_1) | instid1(SALU_CYCLE_1)
	v_cmp_ne_u32_e32 vcc_lo, 0x7c000000, v5
                                        ; implicit-def: $vgpr5
	s_and_saveexec_b32 s43, vcc_lo
	s_xor_b32 s43, exec_lo, s43
	s_cbranch_execz .LBB4_6426
; %bb.6423:                             ;   in Loop: Header=BB4_5820 Depth=3
	v_bfe_u32 v5, v23, 26, 5
	s_mov_b32 s72, exec_lo
	s_delay_alu instid0(VALU_DEP_1)
	v_cmpx_eq_u32_e32 0, v5
; %bb.6424:                             ;   in Loop: Header=BB4_5820 Depth=3
	v_clz_i32_u32_e32 v5, v16
	s_delay_alu instid0(VALU_DEP_1) | instskip(NEXT) | instid1(VALU_DEP_1)
	v_min_u32_e32 v5, 32, v5
	v_subrev_nc_u32_e32 v16, 29, v5
	s_delay_alu instid0(VALU_DEP_1) | instskip(NEXT) | instid1(VALU_DEP_1)
	v_lshlrev_b64_e32 v[16:17], v16, v[2:3]
	v_dual_sub_nc_u32 v5, 30, v5 :: v_dual_bitop2_b32 v16, 3, v16 bitop3:0x40
; %bb.6425:                             ;   in Loop: Header=BB4_5820 Depth=3
	s_or_b32 exec_lo, exec_lo, s72
	v_and_b32_e32 v2, 0x80000000, v23
                                        ; implicit-def: $vgpr22_vgpr23
	s_delay_alu instid0(VALU_DEP_1) | instskip(NEXT) | instid1(VALU_DEP_1)
	v_lshl_add_u32 v2, v5, 23, v2
	v_lshl_or_b32 v2, v16, 21, v2
                                        ; implicit-def: $vgpr16
	s_delay_alu instid0(VALU_DEP_1)
	v_add_nc_u32_e32 v5, 0x38000000, v2
.LBB4_6426:                             ;   in Loop: Header=BB4_5820 Depth=3
	s_and_not1_saveexec_b32 s43, s43
; %bb.6427:                             ;   in Loop: Header=BB4_5820 Depth=3
	v_cmp_lt_i64_e32 vcc_lo, -1, v[22:23]
	v_cndmask_b32_e32 v2, 0xff800000, v112, vcc_lo
	v_cmp_eq_u32_e32 vcc_lo, 0, v16
	s_delay_alu instid0(VALU_DEP_2)
	v_cndmask_b32_e32 v5, 0x7f800001, v2, vcc_lo
; %bb.6428:                             ;   in Loop: Header=BB4_5820 Depth=3
	s_or_b32 exec_lo, exec_lo, s43
.LBB4_6429:                             ;   in Loop: Header=BB4_5820 Depth=3
	s_delay_alu instid0(SALU_CYCLE_1)
	s_or_b32 exec_lo, exec_lo, s42
.LBB4_6430:                             ;   in Loop: Header=BB4_5820 Depth=3
	s_delay_alu instid0(SALU_CYCLE_1) | instskip(NEXT) | instid1(SALU_CYCLE_1)
	s_or_b32 exec_lo, exec_lo, s13
	s_mov_b32 s13, exec_lo
	v_cmpx_lt_u64_e64 s[22:23], v[18:19]
	s_cbranch_execz .LBB4_6440
; %bb.6431:                             ;   in Loop: Header=BB4_5820 Depth=3
	v_lshrrev_b32_e32 v2, 24, v19
	v_bfrev_b32_e32 v4, 1
	s_mov_b32 s42, exec_lo
	s_delay_alu instid0(VALU_DEP_2)
	v_cmpx_ne_u32_e32 0x80, v2
	s_cbranch_execz .LBB4_6439
; %bb.6432:                             ;   in Loop: Header=BB4_5820 Depth=3
	v_and_b32_e32 v4, 0x7c000000, v19
	v_bfe_u32 v16, v19, 24, 2
	s_delay_alu instid0(VALU_DEP_2) | instskip(SKIP_1) | instid1(SALU_CYCLE_1)
	v_cmp_ne_u32_e32 vcc_lo, 0x7c000000, v4
                                        ; implicit-def: $vgpr4
	s_and_saveexec_b32 s43, vcc_lo
	s_xor_b32 s43, exec_lo, s43
	s_cbranch_execz .LBB4_6436
; %bb.6433:                             ;   in Loop: Header=BB4_5820 Depth=3
	v_bfe_u32 v4, v19, 26, 5
	s_mov_b32 s72, exec_lo
	s_delay_alu instid0(VALU_DEP_1)
	v_cmpx_eq_u32_e32 0, v4
; %bb.6434:                             ;   in Loop: Header=BB4_5820 Depth=3
	v_clz_i32_u32_e32 v4, v16
	s_delay_alu instid0(VALU_DEP_1) | instskip(NEXT) | instid1(VALU_DEP_1)
	v_min_u32_e32 v4, 32, v4
	v_subrev_nc_u32_e32 v16, 29, v4
	v_sub_nc_u32_e32 v4, 30, v4
	s_delay_alu instid0(VALU_DEP_2) | instskip(NEXT) | instid1(VALU_DEP_1)
	v_lshlrev_b64_e32 v[16:17], v16, v[2:3]
	v_and_b32_e32 v16, 3, v16
; %bb.6435:                             ;   in Loop: Header=BB4_5820 Depth=3
	s_or_b32 exec_lo, exec_lo, s72
	v_and_b32_e32 v2, 0x80000000, v19
                                        ; implicit-def: $vgpr18_vgpr19
	s_delay_alu instid0(VALU_DEP_1) | instskip(NEXT) | instid1(VALU_DEP_1)
	v_lshl_add_u32 v2, v4, 23, v2
	v_lshl_or_b32 v2, v16, 21, v2
                                        ; implicit-def: $vgpr16
	s_delay_alu instid0(VALU_DEP_1)
	v_add_nc_u32_e32 v4, 0x38000000, v2
.LBB4_6436:                             ;   in Loop: Header=BB4_5820 Depth=3
	s_and_not1_saveexec_b32 s43, s43
; %bb.6437:                             ;   in Loop: Header=BB4_5820 Depth=3
	v_cmp_lt_i64_e32 vcc_lo, -1, v[18:19]
	v_cndmask_b32_e32 v2, 0xff800000, v112, vcc_lo
	v_cmp_eq_u32_e32 vcc_lo, 0, v16
	s_delay_alu instid0(VALU_DEP_2)
	v_cndmask_b32_e32 v4, 0x7f800001, v2, vcc_lo
; %bb.6438:                             ;   in Loop: Header=BB4_5820 Depth=3
	s_or_b32 exec_lo, exec_lo, s43
.LBB4_6439:                             ;   in Loop: Header=BB4_5820 Depth=3
	s_delay_alu instid0(SALU_CYCLE_1)
	s_or_b32 exec_lo, exec_lo, s42
.LBB4_6440:                             ;   in Loop: Header=BB4_5820 Depth=3
	s_delay_alu instid0(SALU_CYCLE_1) | instskip(NEXT) | instid1(VALU_DEP_1)
	s_or_b32 exec_lo, exec_lo, s13
	v_dual_mul_f32 v4, v5, v4 :: v_dual_mov_b32 v17, v3
                                        ; implicit-def: $vgpr18
	s_mov_b32 s13, exec_lo
	s_delay_alu instid0(VALU_DEP_1) | instskip(SKIP_2) | instid1(VALU_DEP_3)
	v_and_b32_e32 v16, 0x7f800000, v4
	v_and_b32_e32 v2, 0x7fffff, v4
	v_lshrrev_b32_e32 v5, 24, v4
	v_cmpx_ne_u64_e32 0x7f800000, v[16:17]
	s_xor_b32 s42, exec_lo, s13
	s_cbranch_execz .LBB4_6454
; %bb.6441:                             ;   in Loop: Header=BB4_5820 Depth=3
	v_and_b32_e32 v16, 0x7fffffff, v4
	v_mov_b32_e32 v17, v3
	v_and_b32_e32 v19, 0x80, v5
                                        ; implicit-def: $vgpr18
	s_mov_b32 s13, exec_lo
	s_delay_alu instid0(VALU_DEP_2)
	v_cmpx_gt_u64_e32 0x47600001, v[16:17]
	s_xor_b32 s43, exec_lo, s13
	s_cbranch_execz .LBB4_6451
; %bb.6442:                             ;   in Loop: Header=BB4_5820 Depth=3
	v_mov_b32_e32 v18, 0
	s_mov_b32 s72, exec_lo
	v_cmpx_ne_u32_e32 0, v4
	s_cbranch_execz .LBB4_6450
; %bb.6443:                             ;   in Loop: Header=BB4_5820 Depth=3
	v_bfe_u32 v18, v4, 23, 8
	v_or_b32_e32 v16, 0x800000, v2
	s_mov_b32 s73, exec_lo
	s_delay_alu instid0(VALU_DEP_2) | instskip(SKIP_1) | instid1(VALU_DEP_2)
	v_dual_mov_b32 v17, v3 :: v_dual_sub_nc_u32 v4, 0x71, v18
	v_cmp_gt_u32_e32 vcc_lo, 0x72, v18
	v_cndmask_b32_e32 v4, 0, v4, vcc_lo
	v_cmp_eq_u32_e32 vcc_lo, 0, v18
	s_delay_alu instid0(VALU_DEP_2) | instskip(SKIP_1) | instid1(VALU_DEP_2)
	v_cndmask_b32_e64 v22, v4, 0x70, vcc_lo
	v_cndmask_b32_e32 v16, v16, v2, vcc_lo
	v_dual_add_nc_u32 v4, 21, v22 :: v_dual_add_nc_u32 v23, 20, v22
	s_delay_alu instid0(VALU_DEP_1) | instskip(NEXT) | instid1(VALU_DEP_2)
	v_lshlrev_b64_e64 v[4:5], v4, -1
	v_lshlrev_b64_e64 v[100:101], v23, 1
	s_delay_alu instid0(VALU_DEP_2) | instskip(NEXT) | instid1(VALU_DEP_3)
	v_bfi_b32 v103, v5, 0, 0
	v_bfi_b32 v102, v4, 0, v16
	v_lshrrev_b64 v[4:5], v22, v[16:17]
	s_delay_alu instid0(VALU_DEP_1) | instskip(NEXT) | instid1(VALU_DEP_3)
	v_mov_b64_e32 v[16:17], v[4:5]
	v_cmpx_eq_u64_e64 v[102:103], v[100:101]
; %bb.6444:                             ;   in Loop: Header=BB4_5820 Depth=3
	v_bfe_u32 v16, v4, 21, 1
	v_mov_b32_e32 v17, v3
	s_delay_alu instid0(VALU_DEP_1) | instskip(NEXT) | instid1(VALU_DEP_1)
	v_add_nc_u64_e32 v[16:17], v[4:5], v[16:17]
	v_add_nc_u64_e32 v[16:17], -1, v[16:17]
; %bb.6445:                             ;   in Loop: Header=BB4_5820 Depth=3
	s_or_b32 exec_lo, exec_lo, s73
	v_add_nc_u32_e32 v2, 0xffffff81, v18
	v_lshrrev_b32_e32 v5, 23, v4
	s_mov_b32 s13, exec_lo
	s_delay_alu instid0(VALU_DEP_2) | instskip(NEXT) | instid1(VALU_DEP_1)
	v_cndmask_b32_e64 v2, v2, 0xffffff82, vcc_lo
	v_add3_u32 v17, v22, v2, v5
	v_and_b32_e32 v2, 0x1fffff, v16
                                        ; implicit-def: $vgpr16
	s_delay_alu instid0(VALU_DEP_1) | instskip(NEXT) | instid1(VALU_DEP_1)
	v_dual_add_nc_u32 v18, 14, v17 :: v_dual_add_nc_u32 v2, v2, v4
                                        ; implicit-def: $vgpr4_vgpr5
	v_cmpx_ne_u32_e32 0, v18
	s_xor_b32 s13, exec_lo, s13
; %bb.6446:                             ;   in Loop: Header=BB4_5820 Depth=3
	s_delay_alu instid0(VALU_DEP_2) | instskip(SKIP_1) | instid1(VALU_DEP_1)
	v_cmp_lt_u64_e32 vcc_lo, 0xffffff, v[2:3]
	v_add_nc_u32_e32 v4, 15, v17
	v_cndmask_b32_e32 v16, v18, v4, vcc_lo
	v_cndmask_b32_e64 v4, 0, 1, vcc_lo
	s_delay_alu instid0(VALU_DEP_1)
	v_lshrrev_b64 v[4:5], v4, v[2:3]
; %bb.6447:                             ;   in Loop: Header=BB4_5820 Depth=3
	s_and_not1_saveexec_b32 s13, s13
; %bb.6448:                             ;   in Loop: Header=BB4_5820 Depth=3
	v_mov_b64_e32 v[4:5], v[2:3]
	v_bfe_u32 v16, v2, 23, 1
; %bb.6449:                             ;   in Loop: Header=BB4_5820 Depth=3
	s_or_b32 exec_lo, exec_lo, s13
	s_delay_alu instid0(VALU_DEP_2) | instskip(NEXT) | instid1(VALU_DEP_2)
	v_lshrrev_b64 v[4:5], 21, v[4:5]
	v_cmp_gt_i32_e32 vcc_lo, 32, v16
	v_min_i32_e32 v2, 31, v16
	v_cmp_eq_u32_e64 s13, 0, v16
	s_delay_alu instid0(VALU_DEP_2) | instskip(SKIP_1) | instid1(VALU_DEP_2)
	v_dual_cndmask_b32 v5, 0, v5 :: v_dual_lshlrev_b32 v2, 2, v2
	v_cndmask_b32_e32 v4, 3, v4, vcc_lo
	v_and_b32_e32 v2, 0xfc, v2
	s_delay_alu instid0(VALU_DEP_2) | instskip(NEXT) | instid1(VALU_DEP_2)
	v_cmp_eq_u64_e32 vcc_lo, 0, v[4:5]
	v_and_or_b32 v2, v4, 3, v2
	s_and_b32 s13, s13, vcc_lo
	s_delay_alu instid0(VALU_DEP_1) | instid1(SALU_CYCLE_1)
	v_cndmask_b32_e64 v2, v2, 0, s13
	s_delay_alu instid0(VALU_DEP_1)
	v_or_b32_e32 v18, v2, v19
.LBB4_6450:                             ;   in Loop: Header=BB4_5820 Depth=3
	s_or_b32 exec_lo, exec_lo, s72
                                        ; implicit-def: $vgpr19
.LBB4_6451:                             ;   in Loop: Header=BB4_5820 Depth=3
	s_and_not1_saveexec_b32 s13, s43
; %bb.6452:                             ;   in Loop: Header=BB4_5820 Depth=3
	v_or_b32_e32 v18, 0x7b, v19
; %bb.6453:                             ;   in Loop: Header=BB4_5820 Depth=3
	s_or_b32 exec_lo, exec_lo, s13
                                        ; implicit-def: $vgpr4
                                        ; implicit-def: $vgpr5
.LBB4_6454:                             ;   in Loop: Header=BB4_5820 Depth=3
	s_and_not1_saveexec_b32 s13, s42
	s_cbranch_execz .LBB4_6460
; %bb.6455:                             ;   in Loop: Header=BB4_5820 Depth=3
	s_mov_b32 s42, exec_lo
                                        ; implicit-def: $vgpr18
	v_cmpx_ne_u64_e32 0, v[2:3]
	s_xor_b32 s42, exec_lo, s42
; %bb.6456:                             ;   in Loop: Header=BB4_5820 Depth=3
	v_or_b32_e32 v18, 0x7f, v5
                                        ; implicit-def: $vgpr4
; %bb.6457:                             ;   in Loop: Header=BB4_5820 Depth=3
	s_and_not1_saveexec_b32 s42, s42
; %bb.6458:                             ;   in Loop: Header=BB4_5820 Depth=3
	v_cmp_lt_i32_e32 vcc_lo, -1, v4
	v_cndmask_b32_e32 v18, 0xfc, v113, vcc_lo
; %bb.6459:                             ;   in Loop: Header=BB4_5820 Depth=3
	s_or_b32 exec_lo, exec_lo, s42
.LBB4_6460:                             ;   in Loop: Header=BB4_5820 Depth=3
	s_delay_alu instid0(SALU_CYCLE_1) | instskip(SKIP_2) | instid1(VALU_DEP_2)
	s_or_b32 exec_lo, exec_lo, s13
	v_and_b32_e32 v4, 0xff, v12
	v_mov_b32_e32 v2, 0
	v_cmp_ne_u16_e32 vcc_lo, 0, v4
	v_mov_b32_e32 v4, 0
	s_and_saveexec_b32 s13, vcc_lo
	s_cbranch_execz .LBB4_6470
; %bb.6461:                             ;   in Loop: Header=BB4_5820 Depth=3
	v_bfe_i32 v16, v12, 0, 8
	v_bfrev_b32_e32 v4, 1
	s_mov_b32 s42, exec_lo
	s_delay_alu instid0(VALU_DEP_2)
	v_cmpx_ne_u16_e32 0xff80, v16
	s_cbranch_execz .LBB4_6469
; %bb.6462:                             ;   in Loop: Header=BB4_5820 Depth=3
	v_and_b32_e32 v4, 0x7c, v12
	v_and_b32_e32 v5, 3, v12
	s_delay_alu instid0(VALU_DEP_2) | instskip(SKIP_1) | instid1(SALU_CYCLE_1)
	v_cmp_ne_u32_e32 vcc_lo, 0x7c, v4
                                        ; implicit-def: $vgpr4
	s_and_saveexec_b32 s43, vcc_lo
	s_xor_b32 s43, exec_lo, s43
	s_cbranch_execz .LBB4_6466
; %bb.6463:                             ;   in Loop: Header=BB4_5820 Depth=3
	v_bfe_u32 v4, v12, 2, 5
	s_mov_b32 s72, exec_lo
	s_delay_alu instid0(VALU_DEP_1)
	v_cmpx_eq_u32_e32 0, v4
; %bb.6464:                             ;   in Loop: Header=BB4_5820 Depth=3
	v_clz_i32_u32_e32 v4, v5
	s_delay_alu instid0(VALU_DEP_1) | instskip(NEXT) | instid1(VALU_DEP_1)
	v_min_u32_e32 v4, 32, v4
	v_subrev_nc_u32_e32 v5, 29, v4
	v_sub_nc_u32_e32 v4, 30, v4
	s_delay_alu instid0(VALU_DEP_2) | instskip(NEXT) | instid1(VALU_DEP_1)
	v_lshlrev_b64_e32 v[16:17], v5, v[12:13]
	v_and_b32_e32 v5, 3, v16
; %bb.6465:                             ;   in Loop: Header=BB4_5820 Depth=3
	s_or_b32 exec_lo, exec_lo, s72
	v_lshlrev_b32_e32 v16, 24, v12
	s_delay_alu instid0(VALU_DEP_1) | instskip(NEXT) | instid1(VALU_DEP_1)
	v_and_b32_e32 v16, 0x80000000, v16
	v_lshl_add_u32 v4, v4, 23, v16
                                        ; implicit-def: $vgpr16
	s_delay_alu instid0(VALU_DEP_1) | instskip(NEXT) | instid1(VALU_DEP_1)
	v_lshl_or_b32 v4, v5, 21, v4
                                        ; implicit-def: $vgpr5
	v_add_nc_u32_e32 v4, 0x38000000, v4
.LBB4_6466:                             ;   in Loop: Header=BB4_5820 Depth=3
	s_and_not1_saveexec_b32 s43, s43
; %bb.6467:                             ;   in Loop: Header=BB4_5820 Depth=3
	v_cmp_lt_i16_e32 vcc_lo, -1, v16
	v_cndmask_b32_e32 v4, 0xff800000, v112, vcc_lo
	v_cmp_eq_u32_e32 vcc_lo, 0, v5
	s_delay_alu instid0(VALU_DEP_2)
	v_cndmask_b32_e32 v4, 0x7f800001, v4, vcc_lo
; %bb.6468:                             ;   in Loop: Header=BB4_5820 Depth=3
	s_or_b32 exec_lo, exec_lo, s43
.LBB4_6469:                             ;   in Loop: Header=BB4_5820 Depth=3
	s_delay_alu instid0(SALU_CYCLE_1)
	s_or_b32 exec_lo, exec_lo, s42
.LBB4_6470:                             ;   in Loop: Header=BB4_5820 Depth=3
	s_delay_alu instid0(SALU_CYCLE_1) | instskip(SKIP_3) | instid1(VALU_DEP_1)
	s_or_b32 exec_lo, exec_lo, s13
	s_wait_loadcnt 0x0
	v_and_b32_e32 v5, 0xff, v8
	s_mov_b32 s13, exec_lo
	v_cmpx_ne_u16_e32 0, v5
	s_cbranch_execz .LBB4_6480
; %bb.6471:                             ;   in Loop: Header=BB4_5820 Depth=3
	v_bfe_i32 v16, v8, 0, 8
	v_bfrev_b32_e32 v2, 1
	s_mov_b32 s42, exec_lo
	s_delay_alu instid0(VALU_DEP_2)
	v_cmpx_ne_u16_e32 0xff80, v16
	s_cbranch_execz .LBB4_6479
; %bb.6472:                             ;   in Loop: Header=BB4_5820 Depth=3
	v_and_b32_e32 v2, 0x7c, v8
	v_and_b32_e32 v5, 3, v8
	s_delay_alu instid0(VALU_DEP_2) | instskip(SKIP_1) | instid1(SALU_CYCLE_1)
	v_cmp_ne_u32_e32 vcc_lo, 0x7c, v2
                                        ; implicit-def: $vgpr2
	s_and_saveexec_b32 s43, vcc_lo
	s_xor_b32 s43, exec_lo, s43
	s_cbranch_execz .LBB4_6476
; %bb.6473:                             ;   in Loop: Header=BB4_5820 Depth=3
	v_bfe_u32 v2, v8, 2, 5
	s_mov_b32 s72, exec_lo
	s_delay_alu instid0(VALU_DEP_1)
	v_cmpx_eq_u32_e32 0, v2
; %bb.6474:                             ;   in Loop: Header=BB4_5820 Depth=3
	v_clz_i32_u32_e32 v2, v5
	s_delay_alu instid0(VALU_DEP_1) | instskip(NEXT) | instid1(VALU_DEP_1)
	v_min_u32_e32 v2, 32, v2
	v_subrev_nc_u32_e32 v5, 29, v2
	s_delay_alu instid0(VALU_DEP_1) | instskip(NEXT) | instid1(VALU_DEP_1)
	v_lshlrev_b64_e32 v[16:17], v5, v[8:9]
	v_dual_sub_nc_u32 v2, 30, v2 :: v_dual_bitop2_b32 v5, 3, v16 bitop3:0x40
; %bb.6475:                             ;   in Loop: Header=BB4_5820 Depth=3
	s_or_b32 exec_lo, exec_lo, s72
	v_lshlrev_b32_e32 v16, 24, v8
	s_delay_alu instid0(VALU_DEP_1) | instskip(NEXT) | instid1(VALU_DEP_1)
	v_and_b32_e32 v16, 0x80000000, v16
	v_lshl_add_u32 v2, v2, 23, v16
                                        ; implicit-def: $vgpr16
	s_delay_alu instid0(VALU_DEP_1) | instskip(NEXT) | instid1(VALU_DEP_1)
	v_lshl_or_b32 v2, v5, 21, v2
                                        ; implicit-def: $vgpr5
	v_add_nc_u32_e32 v2, 0x38000000, v2
.LBB4_6476:                             ;   in Loop: Header=BB4_5820 Depth=3
	s_and_not1_saveexec_b32 s43, s43
; %bb.6477:                             ;   in Loop: Header=BB4_5820 Depth=3
	v_cmp_lt_i16_e32 vcc_lo, -1, v16
	v_cndmask_b32_e32 v2, 0xff800000, v112, vcc_lo
	v_cmp_eq_u32_e32 vcc_lo, 0, v5
	s_delay_alu instid0(VALU_DEP_2)
	v_cndmask_b32_e32 v2, 0x7f800001, v2, vcc_lo
; %bb.6478:                             ;   in Loop: Header=BB4_5820 Depth=3
	s_or_b32 exec_lo, exec_lo, s43
.LBB4_6479:                             ;   in Loop: Header=BB4_5820 Depth=3
	s_delay_alu instid0(SALU_CYCLE_1)
	s_or_b32 exec_lo, exec_lo, s42
.LBB4_6480:                             ;   in Loop: Header=BB4_5820 Depth=3
	s_delay_alu instid0(SALU_CYCLE_1) | instskip(NEXT) | instid1(VALU_DEP_1)
	s_or_b32 exec_lo, exec_lo, s13
	v_dual_mul_f32 v4, v4, v2 :: v_dual_mov_b32 v17, v3
                                        ; implicit-def: $vgpr19
	s_mov_b32 s13, exec_lo
	s_delay_alu instid0(VALU_DEP_1) | instskip(SKIP_2) | instid1(VALU_DEP_3)
	v_and_b32_e32 v16, 0x7f800000, v4
	v_and_b32_e32 v2, 0x7fffff, v4
	v_lshrrev_b32_e32 v5, 24, v4
	v_cmpx_ne_u64_e32 0x7f800000, v[16:17]
	s_xor_b32 s42, exec_lo, s13
	s_cbranch_execz .LBB4_6494
; %bb.6481:                             ;   in Loop: Header=BB4_5820 Depth=3
	v_and_b32_e32 v16, 0x7fffffff, v4
	v_mov_b32_e32 v17, v3
	v_and_b32_e32 v22, 0x80, v5
                                        ; implicit-def: $vgpr19
	s_mov_b32 s13, exec_lo
	s_delay_alu instid0(VALU_DEP_2)
	v_cmpx_gt_u64_e32 0x47600001, v[16:17]
	s_xor_b32 s43, exec_lo, s13
	s_cbranch_execz .LBB4_6491
; %bb.6482:                             ;   in Loop: Header=BB4_5820 Depth=3
	v_mov_b32_e32 v19, 0
	s_mov_b32 s72, exec_lo
	v_cmpx_ne_u32_e32 0, v4
	s_cbranch_execz .LBB4_6490
; %bb.6483:                             ;   in Loop: Header=BB4_5820 Depth=3
	v_bfe_u32 v19, v4, 23, 8
	v_or_b32_e32 v16, 0x800000, v2
	s_mov_b32 s73, exec_lo
	s_delay_alu instid0(VALU_DEP_2) | instskip(SKIP_1) | instid1(VALU_DEP_2)
	v_dual_mov_b32 v17, v3 :: v_dual_sub_nc_u32 v4, 0x71, v19
	v_cmp_gt_u32_e32 vcc_lo, 0x72, v19
	v_cndmask_b32_e32 v4, 0, v4, vcc_lo
	v_cmp_eq_u32_e32 vcc_lo, 0, v19
	s_delay_alu instid0(VALU_DEP_2) | instskip(NEXT) | instid1(VALU_DEP_1)
	v_cndmask_b32_e64 v23, v4, 0x70, vcc_lo
	v_dual_cndmask_b32 v16, v16, v2, vcc_lo :: v_dual_add_nc_u32 v4, 21, v23
	v_add_nc_u32_e32 v100, 20, v23
	s_delay_alu instid0(VALU_DEP_2) | instskip(NEXT) | instid1(VALU_DEP_2)
	v_lshlrev_b64_e64 v[4:5], v4, -1
	v_lshlrev_b64_e64 v[100:101], v100, 1
	s_delay_alu instid0(VALU_DEP_2) | instskip(NEXT) | instid1(VALU_DEP_3)
	v_bfi_b32 v103, v5, 0, 0
	v_bfi_b32 v102, v4, 0, v16
	v_lshrrev_b64 v[4:5], v23, v[16:17]
	s_delay_alu instid0(VALU_DEP_1) | instskip(NEXT) | instid1(VALU_DEP_3)
	v_mov_b64_e32 v[16:17], v[4:5]
	v_cmpx_eq_u64_e64 v[102:103], v[100:101]
; %bb.6484:                             ;   in Loop: Header=BB4_5820 Depth=3
	v_bfe_u32 v16, v4, 21, 1
	v_mov_b32_e32 v17, v3
	s_delay_alu instid0(VALU_DEP_1) | instskip(NEXT) | instid1(VALU_DEP_1)
	v_add_nc_u64_e32 v[16:17], v[4:5], v[16:17]
	v_add_nc_u64_e32 v[16:17], -1, v[16:17]
; %bb.6485:                             ;   in Loop: Header=BB4_5820 Depth=3
	s_or_b32 exec_lo, exec_lo, s73
	v_add_nc_u32_e32 v2, 0xffffff81, v19
	v_lshrrev_b32_e32 v5, 23, v4
	s_mov_b32 s13, exec_lo
	s_delay_alu instid0(VALU_DEP_2) | instskip(NEXT) | instid1(VALU_DEP_1)
	v_cndmask_b32_e64 v2, v2, 0xffffff82, vcc_lo
	v_add3_u32 v17, v23, v2, v5
	v_and_b32_e32 v2, 0x1fffff, v16
                                        ; implicit-def: $vgpr16
	s_delay_alu instid0(VALU_DEP_1) | instskip(NEXT) | instid1(VALU_DEP_1)
	v_dual_add_nc_u32 v19, 14, v17 :: v_dual_add_nc_u32 v2, v2, v4
                                        ; implicit-def: $vgpr4_vgpr5
	v_cmpx_ne_u32_e32 0, v19
	s_xor_b32 s13, exec_lo, s13
; %bb.6486:                             ;   in Loop: Header=BB4_5820 Depth=3
	s_delay_alu instid0(VALU_DEP_2) | instskip(SKIP_1) | instid1(VALU_DEP_1)
	v_cmp_lt_u64_e32 vcc_lo, 0xffffff, v[2:3]
	v_add_nc_u32_e32 v4, 15, v17
	v_cndmask_b32_e32 v16, v19, v4, vcc_lo
	v_cndmask_b32_e64 v4, 0, 1, vcc_lo
	s_delay_alu instid0(VALU_DEP_1)
	v_lshrrev_b64 v[4:5], v4, v[2:3]
; %bb.6487:                             ;   in Loop: Header=BB4_5820 Depth=3
	s_and_not1_saveexec_b32 s13, s13
; %bb.6488:                             ;   in Loop: Header=BB4_5820 Depth=3
	v_mov_b64_e32 v[4:5], v[2:3]
	v_bfe_u32 v16, v2, 23, 1
; %bb.6489:                             ;   in Loop: Header=BB4_5820 Depth=3
	s_or_b32 exec_lo, exec_lo, s13
	s_delay_alu instid0(VALU_DEP_2) | instskip(NEXT) | instid1(VALU_DEP_2)
	v_lshrrev_b64 v[4:5], 21, v[4:5]
	v_cmp_gt_i32_e32 vcc_lo, 32, v16
	v_min_i32_e32 v2, 31, v16
	v_cmp_eq_u32_e64 s13, 0, v16
	s_delay_alu instid0(VALU_DEP_2) | instskip(SKIP_1) | instid1(VALU_DEP_2)
	v_dual_cndmask_b32 v5, 0, v5 :: v_dual_lshlrev_b32 v2, 2, v2
	v_cndmask_b32_e32 v4, 3, v4, vcc_lo
	v_and_b32_e32 v2, 0xfc, v2
	s_delay_alu instid0(VALU_DEP_2) | instskip(NEXT) | instid1(VALU_DEP_2)
	v_cmp_eq_u64_e32 vcc_lo, 0, v[4:5]
	v_and_or_b32 v2, v4, 3, v2
	s_and_b32 s13, s13, vcc_lo
	s_delay_alu instid0(VALU_DEP_1) | instid1(SALU_CYCLE_1)
	v_cndmask_b32_e64 v2, v2, 0, s13
	s_delay_alu instid0(VALU_DEP_1)
	v_or_b32_e32 v19, v2, v22
.LBB4_6490:                             ;   in Loop: Header=BB4_5820 Depth=3
	s_or_b32 exec_lo, exec_lo, s72
                                        ; implicit-def: $vgpr22
.LBB4_6491:                             ;   in Loop: Header=BB4_5820 Depth=3
	s_and_not1_saveexec_b32 s13, s43
; %bb.6492:                             ;   in Loop: Header=BB4_5820 Depth=3
	v_or_b32_e32 v19, 0x7b, v22
; %bb.6493:                             ;   in Loop: Header=BB4_5820 Depth=3
	s_or_b32 exec_lo, exec_lo, s13
                                        ; implicit-def: $vgpr4
                                        ; implicit-def: $vgpr5
.LBB4_6494:                             ;   in Loop: Header=BB4_5820 Depth=3
	s_and_not1_saveexec_b32 s13, s42
	s_cbranch_execz .LBB4_6500
; %bb.6495:                             ;   in Loop: Header=BB4_5820 Depth=3
	s_mov_b32 s42, exec_lo
                                        ; implicit-def: $vgpr19
	v_cmpx_ne_u64_e32 0, v[2:3]
	s_xor_b32 s42, exec_lo, s42
; %bb.6496:                             ;   in Loop: Header=BB4_5820 Depth=3
	v_or_b32_e32 v19, 0x7f, v5
                                        ; implicit-def: $vgpr4
; %bb.6497:                             ;   in Loop: Header=BB4_5820 Depth=3
	s_and_not1_saveexec_b32 s42, s42
; %bb.6498:                             ;   in Loop: Header=BB4_5820 Depth=3
	v_cmp_lt_i32_e32 vcc_lo, -1, v4
	v_cndmask_b32_e32 v19, 0xfc, v113, vcc_lo
; %bb.6499:                             ;   in Loop: Header=BB4_5820 Depth=3
	s_or_b32 exec_lo, exec_lo, s42
.LBB4_6500:                             ;   in Loop: Header=BB4_5820 Depth=3
	s_delay_alu instid0(SALU_CYCLE_1) | instskip(SKIP_3) | instid1(VALU_DEP_2)
	s_or_b32 exec_lo, exec_lo, s13
	v_lshrrev_b16 v4, 8, v12
	v_dual_mov_b32 v2, 0 :: v_dual_mov_b32 v16, 0
	s_mov_b32 s13, exec_lo
	v_cmpx_ne_u16_e32 0, v4
	s_cbranch_execz .LBB4_6510
; %bb.6501:                             ;   in Loop: Header=BB4_5820 Depth=3
	v_bfrev_b32_e32 v16, 1
	s_mov_b32 s42, exec_lo
	v_cmpx_ne_u16_e32 0x80, v4
	s_cbranch_execz .LBB4_6509
; %bb.6502:                             ;   in Loop: Header=BB4_5820 Depth=3
	v_and_b32_e32 v17, 0xffff, v4
	s_delay_alu instid0(VALU_DEP_1) | instskip(SKIP_1) | instid1(VALU_DEP_2)
	v_and_b32_e32 v16, 0x7c, v17
	v_and_b32_e32 v5, 3, v17
	v_cmp_ne_u32_e32 vcc_lo, 0x7c, v16
                                        ; implicit-def: $vgpr16
	s_and_saveexec_b32 s43, vcc_lo
	s_delay_alu instid0(SALU_CYCLE_1)
	s_xor_b32 s43, exec_lo, s43
	s_cbranch_execz .LBB4_6506
; %bb.6503:                             ;   in Loop: Header=BB4_5820 Depth=3
	v_bfe_u32 v16, v17, 2, 5
	s_mov_b32 s72, exec_lo
	s_delay_alu instid0(VALU_DEP_1)
	v_cmpx_eq_u32_e32 0, v16
	s_cbranch_execz .LBB4_6505
; %bb.6504:                             ;   in Loop: Header=BB4_5820 Depth=3
	v_clz_i32_u32_e32 v5, v5
	s_delay_alu instid0(VALU_DEP_1) | instskip(SKIP_1) | instid1(VALU_DEP_2)
	v_min_u32_e32 v16, 32, v5
	v_mov_b32_e32 v5, v3
	v_subrev_nc_u32_e32 v17, 29, v16
	v_sub_nc_u32_e32 v16, 30, v16
	s_delay_alu instid0(VALU_DEP_2) | instskip(NEXT) | instid1(VALU_DEP_1)
	v_lshlrev_b64_e32 v[4:5], v17, v[4:5]
	v_and_b32_e32 v5, 3, v4
.LBB4_6505:                             ;   in Loop: Header=BB4_5820 Depth=3
	s_or_b32 exec_lo, exec_lo, s72
	v_lshlrev_b32_e32 v4, 16, v12
	s_delay_alu instid0(VALU_DEP_1) | instskip(NEXT) | instid1(VALU_DEP_1)
	v_and_b32_e32 v4, 0x80000000, v4
	v_lshl_add_u32 v4, v16, 23, v4
	s_delay_alu instid0(VALU_DEP_1) | instskip(NEXT) | instid1(VALU_DEP_1)
	v_lshl_or_b32 v4, v5, 21, v4
                                        ; implicit-def: $vgpr5
	v_add_nc_u32_e32 v16, 0x38000000, v4
.LBB4_6506:                             ;   in Loop: Header=BB4_5820 Depth=3
	s_and_not1_saveexec_b32 s43, s43
; %bb.6507:                             ;   in Loop: Header=BB4_5820 Depth=3
	v_cmp_lt_i16_e32 vcc_lo, -1, v12
	v_cndmask_b32_e32 v4, 0xff800000, v112, vcc_lo
	v_cmp_eq_u32_e32 vcc_lo, 0, v5
	s_delay_alu instid0(VALU_DEP_2)
	v_cndmask_b32_e32 v16, 0x7f800001, v4, vcc_lo
; %bb.6508:                             ;   in Loop: Header=BB4_5820 Depth=3
	s_or_b32 exec_lo, exec_lo, s43
.LBB4_6509:                             ;   in Loop: Header=BB4_5820 Depth=3
	s_delay_alu instid0(SALU_CYCLE_1)
	s_or_b32 exec_lo, exec_lo, s42
.LBB4_6510:                             ;   in Loop: Header=BB4_5820 Depth=3
	s_delay_alu instid0(SALU_CYCLE_1) | instskip(SKIP_2) | instid1(VALU_DEP_1)
	s_or_b32 exec_lo, exec_lo, s13
	v_lshrrev_b16 v4, 8, v8
	s_mov_b32 s13, exec_lo
	v_cmpx_ne_u16_e32 0, v4
	s_cbranch_execz .LBB4_6520
; %bb.6511:                             ;   in Loop: Header=BB4_5820 Depth=3
	v_bfrev_b32_e32 v2, 1
	s_mov_b32 s42, exec_lo
	v_cmpx_ne_u16_e32 0x80, v4
	s_cbranch_execz .LBB4_6519
; %bb.6512:                             ;   in Loop: Header=BB4_5820 Depth=3
	v_and_b32_e32 v17, 0xffff, v4
	s_delay_alu instid0(VALU_DEP_1) | instskip(SKIP_1) | instid1(VALU_DEP_2)
	v_and_b32_e32 v2, 0x7c, v17
	v_and_b32_e32 v5, 3, v17
	v_cmp_ne_u32_e32 vcc_lo, 0x7c, v2
                                        ; implicit-def: $vgpr2
	s_and_saveexec_b32 s43, vcc_lo
	s_delay_alu instid0(SALU_CYCLE_1)
	s_xor_b32 s43, exec_lo, s43
	s_cbranch_execz .LBB4_6516
; %bb.6513:                             ;   in Loop: Header=BB4_5820 Depth=3
	v_bfe_u32 v2, v17, 2, 5
	s_mov_b32 s72, exec_lo
	s_delay_alu instid0(VALU_DEP_1)
	v_cmpx_eq_u32_e32 0, v2
	s_cbranch_execz .LBB4_6515
; %bb.6514:                             ;   in Loop: Header=BB4_5820 Depth=3
	v_clz_i32_u32_e32 v2, v5
	s_delay_alu instid0(VALU_DEP_1) | instskip(SKIP_1) | instid1(VALU_DEP_2)
	v_min_u32_e32 v2, 32, v2
	v_mov_b32_e32 v5, v3
	v_subrev_nc_u32_e32 v17, 29, v2
	v_sub_nc_u32_e32 v2, 30, v2
	s_delay_alu instid0(VALU_DEP_2) | instskip(NEXT) | instid1(VALU_DEP_1)
	v_lshlrev_b64_e32 v[4:5], v17, v[4:5]
	v_and_b32_e32 v5, 3, v4
.LBB4_6515:                             ;   in Loop: Header=BB4_5820 Depth=3
	s_or_b32 exec_lo, exec_lo, s72
	v_lshlrev_b32_e32 v4, 16, v8
	s_delay_alu instid0(VALU_DEP_1) | instskip(NEXT) | instid1(VALU_DEP_1)
	v_and_b32_e32 v4, 0x80000000, v4
	v_lshl_add_u32 v2, v2, 23, v4
	s_delay_alu instid0(VALU_DEP_1) | instskip(NEXT) | instid1(VALU_DEP_1)
	v_lshl_or_b32 v2, v5, 21, v2
                                        ; implicit-def: $vgpr5
	v_add_nc_u32_e32 v2, 0x38000000, v2
.LBB4_6516:                             ;   in Loop: Header=BB4_5820 Depth=3
	s_and_not1_saveexec_b32 s43, s43
; %bb.6517:                             ;   in Loop: Header=BB4_5820 Depth=3
	v_cmp_lt_i16_e32 vcc_lo, -1, v8
	v_cndmask_b32_e32 v2, 0xff800000, v112, vcc_lo
	v_cmp_eq_u32_e32 vcc_lo, 0, v5
	s_delay_alu instid0(VALU_DEP_2)
	v_cndmask_b32_e32 v2, 0x7f800001, v2, vcc_lo
; %bb.6518:                             ;   in Loop: Header=BB4_5820 Depth=3
	s_or_b32 exec_lo, exec_lo, s43
.LBB4_6519:                             ;   in Loop: Header=BB4_5820 Depth=3
	s_delay_alu instid0(SALU_CYCLE_1)
	s_or_b32 exec_lo, exec_lo, s42
.LBB4_6520:                             ;   in Loop: Header=BB4_5820 Depth=3
	s_delay_alu instid0(SALU_CYCLE_1) | instskip(NEXT) | instid1(VALU_DEP_1)
	s_or_b32 exec_lo, exec_lo, s13
	v_dual_mul_f32 v4, v16, v2 :: v_dual_mov_b32 v17, v3
                                        ; implicit-def: $vgpr22
	s_mov_b32 s13, exec_lo
	s_delay_alu instid0(VALU_DEP_1) | instskip(SKIP_2) | instid1(VALU_DEP_3)
	v_and_b32_e32 v16, 0x7f800000, v4
	v_and_b32_e32 v2, 0x7fffff, v4
	v_lshrrev_b32_e32 v5, 24, v4
	v_cmpx_ne_u64_e32 0x7f800000, v[16:17]
	s_xor_b32 s42, exec_lo, s13
	s_cbranch_execz .LBB4_6534
; %bb.6521:                             ;   in Loop: Header=BB4_5820 Depth=3
	v_and_b32_e32 v16, 0x7fffffff, v4
	v_mov_b32_e32 v17, v3
	v_and_b32_e32 v23, 0x80, v5
                                        ; implicit-def: $vgpr22
	s_mov_b32 s13, exec_lo
	s_delay_alu instid0(VALU_DEP_2)
	v_cmpx_gt_u64_e32 0x47600001, v[16:17]
	s_xor_b32 s43, exec_lo, s13
	s_cbranch_execz .LBB4_6531
; %bb.6522:                             ;   in Loop: Header=BB4_5820 Depth=3
	v_mov_b32_e32 v22, 0
	s_mov_b32 s72, exec_lo
	v_cmpx_ne_u32_e32 0, v4
	s_cbranch_execz .LBB4_6530
; %bb.6523:                             ;   in Loop: Header=BB4_5820 Depth=3
	v_bfe_u32 v22, v4, 23, 8
	v_or_b32_e32 v16, 0x800000, v2
	s_mov_b32 s73, exec_lo
	s_delay_alu instid0(VALU_DEP_2) | instskip(SKIP_1) | instid1(VALU_DEP_2)
	v_dual_mov_b32 v17, v3 :: v_dual_sub_nc_u32 v4, 0x71, v22
	v_cmp_gt_u32_e32 vcc_lo, 0x72, v22
	v_cndmask_b32_e32 v4, 0, v4, vcc_lo
	v_cmp_eq_u32_e32 vcc_lo, 0, v22
	v_cndmask_b32_e32 v16, v16, v2, vcc_lo
	s_delay_alu instid0(VALU_DEP_3) | instskip(NEXT) | instid1(VALU_DEP_1)
	v_cndmask_b32_e64 v100, v4, 0x70, vcc_lo
	v_dual_add_nc_u32 v4, 21, v100 :: v_dual_add_nc_u32 v101, 20, v100
	s_delay_alu instid0(VALU_DEP_1) | instskip(NEXT) | instid1(VALU_DEP_2)
	v_lshlrev_b64_e64 v[4:5], v4, -1
	v_lshlrev_b64_e64 v[102:103], v101, 1
	s_delay_alu instid0(VALU_DEP_2) | instskip(NEXT) | instid1(VALU_DEP_3)
	v_bfi_b32 v45, v5, 0, 0
	v_bfi_b32 v44, v4, 0, v16
	v_lshrrev_b64 v[4:5], v100, v[16:17]
	s_delay_alu instid0(VALU_DEP_1) | instskip(NEXT) | instid1(VALU_DEP_3)
	v_mov_b64_e32 v[16:17], v[4:5]
	v_cmpx_eq_u64_e64 v[44:45], v[102:103]
; %bb.6524:                             ;   in Loop: Header=BB4_5820 Depth=3
	v_bfe_u32 v16, v4, 21, 1
	v_mov_b32_e32 v17, v3
	s_delay_alu instid0(VALU_DEP_1) | instskip(NEXT) | instid1(VALU_DEP_1)
	v_add_nc_u64_e32 v[16:17], v[4:5], v[16:17]
	v_add_nc_u64_e32 v[16:17], -1, v[16:17]
; %bb.6525:                             ;   in Loop: Header=BB4_5820 Depth=3
	s_or_b32 exec_lo, exec_lo, s73
	v_add_nc_u32_e32 v2, 0xffffff81, v22
	v_lshrrev_b32_e32 v5, 23, v4
	s_mov_b32 s13, exec_lo
	s_delay_alu instid0(VALU_DEP_2) | instskip(NEXT) | instid1(VALU_DEP_1)
	v_cndmask_b32_e64 v2, v2, 0xffffff82, vcc_lo
	v_add3_u32 v17, v100, v2, v5
	v_and_b32_e32 v2, 0x1fffff, v16
                                        ; implicit-def: $vgpr16
	s_delay_alu instid0(VALU_DEP_1) | instskip(NEXT) | instid1(VALU_DEP_1)
	v_dual_add_nc_u32 v22, 14, v17 :: v_dual_add_nc_u32 v2, v2, v4
                                        ; implicit-def: $vgpr4_vgpr5
	v_cmpx_ne_u32_e32 0, v22
	s_xor_b32 s13, exec_lo, s13
; %bb.6526:                             ;   in Loop: Header=BB4_5820 Depth=3
	s_delay_alu instid0(VALU_DEP_2) | instskip(SKIP_1) | instid1(VALU_DEP_1)
	v_cmp_lt_u64_e32 vcc_lo, 0xffffff, v[2:3]
	v_add_nc_u32_e32 v4, 15, v17
	v_cndmask_b32_e32 v16, v22, v4, vcc_lo
	v_cndmask_b32_e64 v4, 0, 1, vcc_lo
	s_delay_alu instid0(VALU_DEP_1)
	v_lshrrev_b64 v[4:5], v4, v[2:3]
; %bb.6527:                             ;   in Loop: Header=BB4_5820 Depth=3
	s_and_not1_saveexec_b32 s13, s13
; %bb.6528:                             ;   in Loop: Header=BB4_5820 Depth=3
	v_mov_b64_e32 v[4:5], v[2:3]
	v_bfe_u32 v16, v2, 23, 1
; %bb.6529:                             ;   in Loop: Header=BB4_5820 Depth=3
	s_or_b32 exec_lo, exec_lo, s13
	s_delay_alu instid0(VALU_DEP_2) | instskip(NEXT) | instid1(VALU_DEP_2)
	v_lshrrev_b64 v[4:5], 21, v[4:5]
	v_cmp_gt_i32_e32 vcc_lo, 32, v16
	v_min_i32_e32 v2, 31, v16
	v_cmp_eq_u32_e64 s13, 0, v16
	s_delay_alu instid0(VALU_DEP_2) | instskip(SKIP_1) | instid1(VALU_DEP_2)
	v_dual_cndmask_b32 v5, 0, v5 :: v_dual_lshlrev_b32 v2, 2, v2
	v_cndmask_b32_e32 v4, 3, v4, vcc_lo
	v_and_b32_e32 v2, 0xfc, v2
	s_delay_alu instid0(VALU_DEP_2) | instskip(NEXT) | instid1(VALU_DEP_2)
	v_cmp_eq_u64_e32 vcc_lo, 0, v[4:5]
	v_and_or_b32 v2, v4, 3, v2
	s_and_b32 s13, s13, vcc_lo
	s_delay_alu instid0(VALU_DEP_1) | instid1(SALU_CYCLE_1)
	v_cndmask_b32_e64 v2, v2, 0, s13
	s_delay_alu instid0(VALU_DEP_1)
	v_or_b32_e32 v22, v2, v23
.LBB4_6530:                             ;   in Loop: Header=BB4_5820 Depth=3
	s_or_b32 exec_lo, exec_lo, s72
                                        ; implicit-def: $vgpr23
.LBB4_6531:                             ;   in Loop: Header=BB4_5820 Depth=3
	s_and_not1_saveexec_b32 s13, s43
; %bb.6532:                             ;   in Loop: Header=BB4_5820 Depth=3
	v_or_b32_e32 v22, 0x7b, v23
; %bb.6533:                             ;   in Loop: Header=BB4_5820 Depth=3
	s_or_b32 exec_lo, exec_lo, s13
                                        ; implicit-def: $vgpr4
                                        ; implicit-def: $vgpr5
.LBB4_6534:                             ;   in Loop: Header=BB4_5820 Depth=3
	s_and_not1_saveexec_b32 s13, s42
	s_cbranch_execz .LBB4_6540
; %bb.6535:                             ;   in Loop: Header=BB4_5820 Depth=3
	s_mov_b32 s42, exec_lo
                                        ; implicit-def: $vgpr22
	v_cmpx_ne_u64_e32 0, v[2:3]
	s_xor_b32 s42, exec_lo, s42
; %bb.6536:                             ;   in Loop: Header=BB4_5820 Depth=3
	v_or_b32_e32 v22, 0x7f, v5
                                        ; implicit-def: $vgpr4
; %bb.6537:                             ;   in Loop: Header=BB4_5820 Depth=3
	s_and_not1_saveexec_b32 s42, s42
; %bb.6538:                             ;   in Loop: Header=BB4_5820 Depth=3
	v_cmp_lt_i32_e32 vcc_lo, -1, v4
	v_cndmask_b32_e32 v22, 0xfc, v113, vcc_lo
; %bb.6539:                             ;   in Loop: Header=BB4_5820 Depth=3
	s_or_b32 exec_lo, exec_lo, s42
.LBB4_6540:                             ;   in Loop: Header=BB4_5820 Depth=3
	s_delay_alu instid0(SALU_CYCLE_1) | instskip(SKIP_3) | instid1(VALU_DEP_2)
	s_or_b32 exec_lo, exec_lo, s13
	v_dual_lshrrev_b32 v2, 16, v12 :: v_dual_mov_b32 v4, 0
	v_mov_b32_e32 v5, 0
	s_mov_b32 s13, exec_lo
	v_and_b32_e32 v16, 0xff, v2
	s_delay_alu instid0(VALU_DEP_1)
	v_cmpx_ne_u16_e32 0, v16
	s_cbranch_execz .LBB4_6550
; %bb.6541:                             ;   in Loop: Header=BB4_5820 Depth=3
	v_bfrev_b32_e32 v5, 1
	s_mov_b32 s42, exec_lo
	v_cmpx_ne_u16_e32 0x80, v16
	s_cbranch_execz .LBB4_6549
; %bb.6542:                             ;   in Loop: Header=BB4_5820 Depth=3
	v_and_b32_e32 v5, 0x7c0000, v12
	v_bfe_u32 v16, v12, 16, 2
	s_delay_alu instid0(VALU_DEP_2) | instskip(SKIP_1) | instid1(SALU_CYCLE_1)
	v_cmp_ne_u32_e32 vcc_lo, 0x7c0000, v5
                                        ; implicit-def: $vgpr5
	s_and_saveexec_b32 s43, vcc_lo
	s_xor_b32 s43, exec_lo, s43
	s_cbranch_execz .LBB4_6546
; %bb.6543:                             ;   in Loop: Header=BB4_5820 Depth=3
	v_bfe_u32 v5, v12, 18, 5
	s_mov_b32 s72, exec_lo
	s_delay_alu instid0(VALU_DEP_1)
	v_cmpx_eq_u32_e32 0, v5
; %bb.6544:                             ;   in Loop: Header=BB4_5820 Depth=3
	v_clz_i32_u32_e32 v5, v16
	s_delay_alu instid0(VALU_DEP_1) | instskip(NEXT) | instid1(VALU_DEP_1)
	v_min_u32_e32 v5, 32, v5
	v_subrev_nc_u32_e32 v16, 29, v5
	s_delay_alu instid0(VALU_DEP_1) | instskip(NEXT) | instid1(VALU_DEP_1)
	v_lshlrev_b64_e32 v[16:17], v16, v[2:3]
	v_dual_sub_nc_u32 v5, 30, v5 :: v_dual_bitop2_b32 v16, 3, v16 bitop3:0x40
; %bb.6545:                             ;   in Loop: Header=BB4_5820 Depth=3
	s_or_b32 exec_lo, exec_lo, s72
	v_lshlrev_b32_e32 v2, 24, v2
	s_delay_alu instid0(VALU_DEP_1) | instskip(NEXT) | instid1(VALU_DEP_1)
	v_and_b32_e32 v2, 0x80000000, v2
	v_lshl_add_u32 v2, v5, 23, v2
	s_delay_alu instid0(VALU_DEP_1) | instskip(NEXT) | instid1(VALU_DEP_1)
	v_lshl_or_b32 v2, v16, 21, v2
                                        ; implicit-def: $vgpr16
	v_add_nc_u32_e32 v5, 0x38000000, v2
                                        ; implicit-def: $vgpr2
.LBB4_6546:                             ;   in Loop: Header=BB4_5820 Depth=3
	s_and_not1_saveexec_b32 s43, s43
; %bb.6547:                             ;   in Loop: Header=BB4_5820 Depth=3
	v_bfe_i32 v2, v2, 0, 8
	s_delay_alu instid0(VALU_DEP_1) | instskip(SKIP_2) | instid1(VALU_DEP_2)
	v_cmp_lt_i16_e32 vcc_lo, -1, v2
	v_cndmask_b32_e32 v2, 0xff800000, v112, vcc_lo
	v_cmp_eq_u32_e32 vcc_lo, 0, v16
	v_cndmask_b32_e32 v5, 0x7f800001, v2, vcc_lo
; %bb.6548:                             ;   in Loop: Header=BB4_5820 Depth=3
	s_or_b32 exec_lo, exec_lo, s43
.LBB4_6549:                             ;   in Loop: Header=BB4_5820 Depth=3
	s_delay_alu instid0(SALU_CYCLE_1)
	s_or_b32 exec_lo, exec_lo, s42
.LBB4_6550:                             ;   in Loop: Header=BB4_5820 Depth=3
	s_delay_alu instid0(SALU_CYCLE_1) | instskip(SKIP_2) | instid1(VALU_DEP_1)
	s_or_b32 exec_lo, exec_lo, s13
	v_lshrrev_b32_e32 v2, 16, v8
	s_mov_b32 s13, exec_lo
	v_and_b32_e32 v16, 0xff, v2
	s_delay_alu instid0(VALU_DEP_1)
	v_cmpx_ne_u16_e32 0, v16
	s_cbranch_execz .LBB4_6560
; %bb.6551:                             ;   in Loop: Header=BB4_5820 Depth=3
	v_bfrev_b32_e32 v4, 1
	s_mov_b32 s42, exec_lo
	v_cmpx_ne_u16_e32 0x80, v16
	s_cbranch_execz .LBB4_6559
; %bb.6552:                             ;   in Loop: Header=BB4_5820 Depth=3
	v_and_b32_e32 v4, 0x7c0000, v8
	v_bfe_u32 v16, v8, 16, 2
	s_delay_alu instid0(VALU_DEP_2) | instskip(SKIP_1) | instid1(SALU_CYCLE_1)
	v_cmp_ne_u32_e32 vcc_lo, 0x7c0000, v4
                                        ; implicit-def: $vgpr4
	s_and_saveexec_b32 s43, vcc_lo
	s_xor_b32 s43, exec_lo, s43
	s_cbranch_execz .LBB4_6556
; %bb.6553:                             ;   in Loop: Header=BB4_5820 Depth=3
	v_bfe_u32 v4, v8, 18, 5
	s_mov_b32 s72, exec_lo
	s_delay_alu instid0(VALU_DEP_1)
	v_cmpx_eq_u32_e32 0, v4
; %bb.6554:                             ;   in Loop: Header=BB4_5820 Depth=3
	v_clz_i32_u32_e32 v4, v16
	s_delay_alu instid0(VALU_DEP_1) | instskip(NEXT) | instid1(VALU_DEP_1)
	v_min_u32_e32 v4, 32, v4
	v_subrev_nc_u32_e32 v16, 29, v4
	v_sub_nc_u32_e32 v4, 30, v4
	s_delay_alu instid0(VALU_DEP_2) | instskip(NEXT) | instid1(VALU_DEP_1)
	v_lshlrev_b64_e32 v[16:17], v16, v[2:3]
	v_and_b32_e32 v16, 3, v16
; %bb.6555:                             ;   in Loop: Header=BB4_5820 Depth=3
	s_or_b32 exec_lo, exec_lo, s72
	v_lshlrev_b32_e32 v2, 24, v2
	s_delay_alu instid0(VALU_DEP_1) | instskip(NEXT) | instid1(VALU_DEP_1)
	v_and_b32_e32 v2, 0x80000000, v2
	v_lshl_add_u32 v2, v4, 23, v2
	s_delay_alu instid0(VALU_DEP_1) | instskip(NEXT) | instid1(VALU_DEP_1)
	v_lshl_or_b32 v2, v16, 21, v2
                                        ; implicit-def: $vgpr16
	v_add_nc_u32_e32 v4, 0x38000000, v2
                                        ; implicit-def: $vgpr2
.LBB4_6556:                             ;   in Loop: Header=BB4_5820 Depth=3
	s_and_not1_saveexec_b32 s43, s43
; %bb.6557:                             ;   in Loop: Header=BB4_5820 Depth=3
	v_bfe_i32 v2, v2, 0, 8
	s_delay_alu instid0(VALU_DEP_1) | instskip(SKIP_2) | instid1(VALU_DEP_2)
	v_cmp_lt_i16_e32 vcc_lo, -1, v2
	v_cndmask_b32_e32 v2, 0xff800000, v112, vcc_lo
	v_cmp_eq_u32_e32 vcc_lo, 0, v16
	v_cndmask_b32_e32 v4, 0x7f800001, v2, vcc_lo
; %bb.6558:                             ;   in Loop: Header=BB4_5820 Depth=3
	s_or_b32 exec_lo, exec_lo, s43
.LBB4_6559:                             ;   in Loop: Header=BB4_5820 Depth=3
	s_delay_alu instid0(SALU_CYCLE_1)
	s_or_b32 exec_lo, exec_lo, s42
.LBB4_6560:                             ;   in Loop: Header=BB4_5820 Depth=3
	s_delay_alu instid0(SALU_CYCLE_1) | instskip(NEXT) | instid1(VALU_DEP_1)
	s_or_b32 exec_lo, exec_lo, s13
	v_dual_mul_f32 v4, v5, v4 :: v_dual_mov_b32 v17, v3
                                        ; implicit-def: $vgpr23
	s_mov_b32 s13, exec_lo
	s_delay_alu instid0(VALU_DEP_1) | instskip(SKIP_2) | instid1(VALU_DEP_3)
	v_and_b32_e32 v16, 0x7f800000, v4
	v_and_b32_e32 v2, 0x7fffff, v4
	v_lshrrev_b32_e32 v5, 24, v4
	v_cmpx_ne_u64_e32 0x7f800000, v[16:17]
	s_xor_b32 s42, exec_lo, s13
	s_cbranch_execz .LBB4_6574
; %bb.6561:                             ;   in Loop: Header=BB4_5820 Depth=3
	v_and_b32_e32 v16, 0x7fffffff, v4
	v_mov_b32_e32 v17, v3
	v_and_b32_e32 v100, 0x80, v5
                                        ; implicit-def: $vgpr23
	s_mov_b32 s13, exec_lo
	s_delay_alu instid0(VALU_DEP_2)
	v_cmpx_gt_u64_e32 0x47600001, v[16:17]
	s_xor_b32 s43, exec_lo, s13
	s_cbranch_execz .LBB4_6571
; %bb.6562:                             ;   in Loop: Header=BB4_5820 Depth=3
	v_mov_b32_e32 v23, 0
	s_mov_b32 s72, exec_lo
	v_cmpx_ne_u32_e32 0, v4
	s_cbranch_execz .LBB4_6570
; %bb.6563:                             ;   in Loop: Header=BB4_5820 Depth=3
	v_bfe_u32 v23, v4, 23, 8
	v_or_b32_e32 v16, 0x800000, v2
	s_mov_b32 s73, exec_lo
	s_delay_alu instid0(VALU_DEP_2) | instskip(SKIP_1) | instid1(VALU_DEP_2)
	v_dual_mov_b32 v17, v3 :: v_dual_sub_nc_u32 v4, 0x71, v23
	v_cmp_gt_u32_e32 vcc_lo, 0x72, v23
	v_cndmask_b32_e32 v4, 0, v4, vcc_lo
	v_cmp_eq_u32_e32 vcc_lo, 0, v23
	s_delay_alu instid0(VALU_DEP_2) | instskip(NEXT) | instid1(VALU_DEP_1)
	v_cndmask_b32_e64 v101, v4, 0x70, vcc_lo
	v_dual_cndmask_b32 v16, v16, v2, vcc_lo :: v_dual_add_nc_u32 v4, 21, v101
	v_add_nc_u32_e32 v102, 20, v101
	s_delay_alu instid0(VALU_DEP_2) | instskip(NEXT) | instid1(VALU_DEP_2)
	v_lshlrev_b64_e64 v[4:5], v4, -1
	v_lshlrev_b64_e64 v[102:103], v102, 1
	s_delay_alu instid0(VALU_DEP_2) | instskip(NEXT) | instid1(VALU_DEP_3)
	v_bfi_b32 v45, v5, 0, 0
	v_bfi_b32 v44, v4, 0, v16
	v_lshrrev_b64 v[4:5], v101, v[16:17]
	s_delay_alu instid0(VALU_DEP_1) | instskip(NEXT) | instid1(VALU_DEP_3)
	v_mov_b64_e32 v[16:17], v[4:5]
	v_cmpx_eq_u64_e64 v[44:45], v[102:103]
; %bb.6564:                             ;   in Loop: Header=BB4_5820 Depth=3
	v_bfe_u32 v16, v4, 21, 1
	v_mov_b32_e32 v17, v3
	s_delay_alu instid0(VALU_DEP_1) | instskip(NEXT) | instid1(VALU_DEP_1)
	v_add_nc_u64_e32 v[16:17], v[4:5], v[16:17]
	v_add_nc_u64_e32 v[16:17], -1, v[16:17]
; %bb.6565:                             ;   in Loop: Header=BB4_5820 Depth=3
	s_or_b32 exec_lo, exec_lo, s73
	v_add_nc_u32_e32 v2, 0xffffff81, v23
	v_lshrrev_b32_e32 v5, 23, v4
	s_mov_b32 s13, exec_lo
	s_delay_alu instid0(VALU_DEP_2) | instskip(NEXT) | instid1(VALU_DEP_1)
	v_cndmask_b32_e64 v2, v2, 0xffffff82, vcc_lo
	v_add3_u32 v17, v101, v2, v5
	v_and_b32_e32 v2, 0x1fffff, v16
                                        ; implicit-def: $vgpr16
	s_delay_alu instid0(VALU_DEP_1) | instskip(NEXT) | instid1(VALU_DEP_1)
	v_dual_add_nc_u32 v23, 14, v17 :: v_dual_add_nc_u32 v2, v2, v4
                                        ; implicit-def: $vgpr4_vgpr5
	v_cmpx_ne_u32_e32 0, v23
	s_xor_b32 s13, exec_lo, s13
; %bb.6566:                             ;   in Loop: Header=BB4_5820 Depth=3
	s_delay_alu instid0(VALU_DEP_2) | instskip(SKIP_1) | instid1(VALU_DEP_1)
	v_cmp_lt_u64_e32 vcc_lo, 0xffffff, v[2:3]
	v_add_nc_u32_e32 v4, 15, v17
	v_cndmask_b32_e32 v16, v23, v4, vcc_lo
	v_cndmask_b32_e64 v4, 0, 1, vcc_lo
	s_delay_alu instid0(VALU_DEP_1)
	v_lshrrev_b64 v[4:5], v4, v[2:3]
; %bb.6567:                             ;   in Loop: Header=BB4_5820 Depth=3
	s_and_not1_saveexec_b32 s13, s13
; %bb.6568:                             ;   in Loop: Header=BB4_5820 Depth=3
	v_mov_b64_e32 v[4:5], v[2:3]
	v_bfe_u32 v16, v2, 23, 1
; %bb.6569:                             ;   in Loop: Header=BB4_5820 Depth=3
	s_or_b32 exec_lo, exec_lo, s13
	s_delay_alu instid0(VALU_DEP_2) | instskip(NEXT) | instid1(VALU_DEP_2)
	v_lshrrev_b64 v[4:5], 21, v[4:5]
	v_cmp_gt_i32_e32 vcc_lo, 32, v16
	v_min_i32_e32 v2, 31, v16
	v_cmp_eq_u32_e64 s13, 0, v16
	s_delay_alu instid0(VALU_DEP_2) | instskip(SKIP_1) | instid1(VALU_DEP_2)
	v_dual_cndmask_b32 v5, 0, v5 :: v_dual_lshlrev_b32 v2, 2, v2
	v_cndmask_b32_e32 v4, 3, v4, vcc_lo
	v_and_b32_e32 v2, 0xfc, v2
	s_delay_alu instid0(VALU_DEP_2) | instskip(NEXT) | instid1(VALU_DEP_2)
	v_cmp_eq_u64_e32 vcc_lo, 0, v[4:5]
	v_and_or_b32 v2, v4, 3, v2
	s_and_b32 s13, s13, vcc_lo
	s_delay_alu instid0(VALU_DEP_1) | instid1(SALU_CYCLE_1)
	v_cndmask_b32_e64 v2, v2, 0, s13
	s_delay_alu instid0(VALU_DEP_1)
	v_or_b32_e32 v23, v2, v100
.LBB4_6570:                             ;   in Loop: Header=BB4_5820 Depth=3
	s_or_b32 exec_lo, exec_lo, s72
                                        ; implicit-def: $vgpr100
.LBB4_6571:                             ;   in Loop: Header=BB4_5820 Depth=3
	s_and_not1_saveexec_b32 s13, s43
; %bb.6572:                             ;   in Loop: Header=BB4_5820 Depth=3
	v_or_b32_e32 v23, 0x7b, v100
; %bb.6573:                             ;   in Loop: Header=BB4_5820 Depth=3
	s_or_b32 exec_lo, exec_lo, s13
                                        ; implicit-def: $vgpr4
                                        ; implicit-def: $vgpr5
.LBB4_6574:                             ;   in Loop: Header=BB4_5820 Depth=3
	s_and_not1_saveexec_b32 s13, s42
	s_cbranch_execz .LBB4_6580
; %bb.6575:                             ;   in Loop: Header=BB4_5820 Depth=3
	s_mov_b32 s42, exec_lo
                                        ; implicit-def: $vgpr23
	v_cmpx_ne_u64_e32 0, v[2:3]
	s_xor_b32 s42, exec_lo, s42
; %bb.6576:                             ;   in Loop: Header=BB4_5820 Depth=3
	v_or_b32_e32 v23, 0x7f, v5
                                        ; implicit-def: $vgpr4
; %bb.6577:                             ;   in Loop: Header=BB4_5820 Depth=3
	s_and_not1_saveexec_b32 s42, s42
; %bb.6578:                             ;   in Loop: Header=BB4_5820 Depth=3
	v_cmp_lt_i32_e32 vcc_lo, -1, v4
	v_cndmask_b32_e32 v23, 0xfc, v113, vcc_lo
; %bb.6579:                             ;   in Loop: Header=BB4_5820 Depth=3
	s_or_b32 exec_lo, exec_lo, s42
.LBB4_6580:                             ;   in Loop: Header=BB4_5820 Depth=3
	s_delay_alu instid0(SALU_CYCLE_1)
	s_or_b32 exec_lo, exec_lo, s13
	v_dual_mov_b32 v4, 0 :: v_dual_mov_b32 v5, 0
	s_mov_b32 s13, exec_lo
	v_cmpx_lt_u32_e32 0xffffff, v12
	s_cbranch_execz .LBB4_6590
; %bb.6581:                             ;   in Loop: Header=BB4_5820 Depth=3
	v_lshrrev_b32_e32 v2, 24, v12
	v_bfrev_b32_e32 v5, 1
	s_mov_b32 s42, exec_lo
	s_delay_alu instid0(VALU_DEP_2)
	v_cmpx_ne_u32_e32 0x80, v2
	s_cbranch_execz .LBB4_6589
; %bb.6582:                             ;   in Loop: Header=BB4_5820 Depth=3
	v_and_b32_e32 v5, 0x7c000000, v12
	v_bfe_u32 v16, v12, 24, 2
	s_delay_alu instid0(VALU_DEP_2) | instskip(SKIP_1) | instid1(SALU_CYCLE_1)
	v_cmp_ne_u32_e32 vcc_lo, 0x7c000000, v5
                                        ; implicit-def: $vgpr5
	s_and_saveexec_b32 s43, vcc_lo
	s_xor_b32 s43, exec_lo, s43
	s_cbranch_execz .LBB4_6586
; %bb.6583:                             ;   in Loop: Header=BB4_5820 Depth=3
	v_bfe_u32 v5, v12, 26, 5
	s_mov_b32 s72, exec_lo
	s_delay_alu instid0(VALU_DEP_1)
	v_cmpx_eq_u32_e32 0, v5
; %bb.6584:                             ;   in Loop: Header=BB4_5820 Depth=3
	v_clz_i32_u32_e32 v5, v16
	s_delay_alu instid0(VALU_DEP_1) | instskip(NEXT) | instid1(VALU_DEP_1)
	v_min_u32_e32 v5, 32, v5
	v_subrev_nc_u32_e32 v16, 29, v5
	s_delay_alu instid0(VALU_DEP_1) | instskip(NEXT) | instid1(VALU_DEP_1)
	v_lshlrev_b64_e32 v[16:17], v16, v[2:3]
	v_dual_sub_nc_u32 v5, 30, v5 :: v_dual_bitop2_b32 v16, 3, v16 bitop3:0x40
; %bb.6585:                             ;   in Loop: Header=BB4_5820 Depth=3
	s_or_b32 exec_lo, exec_lo, s72
	v_and_b32_e32 v2, 0x80000000, v12
	s_delay_alu instid0(VALU_DEP_1) | instskip(NEXT) | instid1(VALU_DEP_1)
	v_lshl_add_u32 v2, v5, 23, v2
	v_lshl_or_b32 v2, v16, 21, v2
                                        ; implicit-def: $vgpr16
	s_delay_alu instid0(VALU_DEP_1)
	v_add_nc_u32_e32 v5, 0x38000000, v2
.LBB4_6586:                             ;   in Loop: Header=BB4_5820 Depth=3
	s_and_not1_saveexec_b32 s43, s43
; %bb.6587:                             ;   in Loop: Header=BB4_5820 Depth=3
	v_cmp_lt_i32_e32 vcc_lo, -1, v12
	v_cndmask_b32_e32 v2, 0xff800000, v112, vcc_lo
	v_cmp_eq_u32_e32 vcc_lo, 0, v16
	s_delay_alu instid0(VALU_DEP_2)
	v_cndmask_b32_e32 v5, 0x7f800001, v2, vcc_lo
; %bb.6588:                             ;   in Loop: Header=BB4_5820 Depth=3
	s_or_b32 exec_lo, exec_lo, s43
.LBB4_6589:                             ;   in Loop: Header=BB4_5820 Depth=3
	s_delay_alu instid0(SALU_CYCLE_1)
	s_or_b32 exec_lo, exec_lo, s42
.LBB4_6590:                             ;   in Loop: Header=BB4_5820 Depth=3
	s_delay_alu instid0(SALU_CYCLE_1) | instskip(NEXT) | instid1(SALU_CYCLE_1)
	s_or_b32 exec_lo, exec_lo, s13
	s_mov_b32 s13, exec_lo
	v_cmpx_lt_u32_e32 0xffffff, v8
	s_cbranch_execz .LBB4_6600
; %bb.6591:                             ;   in Loop: Header=BB4_5820 Depth=3
	v_lshrrev_b32_e32 v2, 24, v8
	v_bfrev_b32_e32 v4, 1
	s_mov_b32 s42, exec_lo
	s_delay_alu instid0(VALU_DEP_2)
	v_cmpx_ne_u32_e32 0x80, v2
	s_cbranch_execz .LBB4_6599
; %bb.6592:                             ;   in Loop: Header=BB4_5820 Depth=3
	v_and_b32_e32 v4, 0x7c000000, v8
	v_bfe_u32 v16, v8, 24, 2
	s_delay_alu instid0(VALU_DEP_2) | instskip(SKIP_1) | instid1(SALU_CYCLE_1)
	v_cmp_ne_u32_e32 vcc_lo, 0x7c000000, v4
                                        ; implicit-def: $vgpr4
	s_and_saveexec_b32 s43, vcc_lo
	s_xor_b32 s43, exec_lo, s43
	s_cbranch_execz .LBB4_6596
; %bb.6593:                             ;   in Loop: Header=BB4_5820 Depth=3
	v_bfe_u32 v4, v8, 26, 5
	s_mov_b32 s72, exec_lo
	s_delay_alu instid0(VALU_DEP_1)
	v_cmpx_eq_u32_e32 0, v4
; %bb.6594:                             ;   in Loop: Header=BB4_5820 Depth=3
	v_clz_i32_u32_e32 v4, v16
	s_delay_alu instid0(VALU_DEP_1) | instskip(NEXT) | instid1(VALU_DEP_1)
	v_min_u32_e32 v4, 32, v4
	v_subrev_nc_u32_e32 v16, 29, v4
	v_sub_nc_u32_e32 v4, 30, v4
	s_delay_alu instid0(VALU_DEP_2) | instskip(NEXT) | instid1(VALU_DEP_1)
	v_lshlrev_b64_e32 v[16:17], v16, v[2:3]
	v_and_b32_e32 v16, 3, v16
; %bb.6595:                             ;   in Loop: Header=BB4_5820 Depth=3
	s_or_b32 exec_lo, exec_lo, s72
	v_and_b32_e32 v2, 0x80000000, v8
	s_delay_alu instid0(VALU_DEP_1) | instskip(NEXT) | instid1(VALU_DEP_1)
	v_lshl_add_u32 v2, v4, 23, v2
	v_lshl_or_b32 v2, v16, 21, v2
                                        ; implicit-def: $vgpr16
	s_delay_alu instid0(VALU_DEP_1)
	v_add_nc_u32_e32 v4, 0x38000000, v2
.LBB4_6596:                             ;   in Loop: Header=BB4_5820 Depth=3
	s_and_not1_saveexec_b32 s43, s43
; %bb.6597:                             ;   in Loop: Header=BB4_5820 Depth=3
	v_cmp_lt_i32_e32 vcc_lo, -1, v8
	v_cndmask_b32_e32 v2, 0xff800000, v112, vcc_lo
	v_cmp_eq_u32_e32 vcc_lo, 0, v16
	s_delay_alu instid0(VALU_DEP_2)
	v_cndmask_b32_e32 v4, 0x7f800001, v2, vcc_lo
; %bb.6598:                             ;   in Loop: Header=BB4_5820 Depth=3
	s_or_b32 exec_lo, exec_lo, s43
.LBB4_6599:                             ;   in Loop: Header=BB4_5820 Depth=3
	s_delay_alu instid0(SALU_CYCLE_1)
	s_or_b32 exec_lo, exec_lo, s42
.LBB4_6600:                             ;   in Loop: Header=BB4_5820 Depth=3
	s_delay_alu instid0(SALU_CYCLE_1) | instskip(NEXT) | instid1(VALU_DEP_1)
	s_or_b32 exec_lo, exec_lo, s13
	v_dual_mul_f32 v4, v5, v4 :: v_dual_mov_b32 v17, v3
                                        ; implicit-def: $vgpr100
	s_mov_b32 s13, exec_lo
	s_delay_alu instid0(VALU_DEP_1) | instskip(SKIP_2) | instid1(VALU_DEP_3)
	v_and_b32_e32 v16, 0x7f800000, v4
	v_and_b32_e32 v2, 0x7fffff, v4
	v_lshrrev_b32_e32 v5, 24, v4
	v_cmpx_ne_u64_e32 0x7f800000, v[16:17]
	s_xor_b32 s42, exec_lo, s13
	s_cbranch_execz .LBB4_6614
; %bb.6601:                             ;   in Loop: Header=BB4_5820 Depth=3
	v_and_b32_e32 v16, 0x7fffffff, v4
	v_mov_b32_e32 v17, v3
	v_and_b32_e32 v101, 0x80, v5
                                        ; implicit-def: $vgpr100
	s_mov_b32 s13, exec_lo
	s_delay_alu instid0(VALU_DEP_2)
	v_cmpx_gt_u64_e32 0x47600001, v[16:17]
	s_xor_b32 s43, exec_lo, s13
	s_cbranch_execz .LBB4_6611
; %bb.6602:                             ;   in Loop: Header=BB4_5820 Depth=3
	v_mov_b32_e32 v100, 0
	s_mov_b32 s72, exec_lo
	v_cmpx_ne_u32_e32 0, v4
	s_cbranch_execz .LBB4_6610
; %bb.6603:                             ;   in Loop: Header=BB4_5820 Depth=3
	v_bfe_u32 v100, v4, 23, 8
	v_or_b32_e32 v16, 0x800000, v2
	s_mov_b32 s73, exec_lo
	s_delay_alu instid0(VALU_DEP_2) | instskip(SKIP_1) | instid1(VALU_DEP_2)
	v_dual_mov_b32 v17, v3 :: v_dual_sub_nc_u32 v4, 0x71, v100
	v_cmp_gt_u32_e32 vcc_lo, 0x72, v100
	v_cndmask_b32_e32 v4, 0, v4, vcc_lo
	v_cmp_eq_u32_e32 vcc_lo, 0, v100
	s_delay_alu instid0(VALU_DEP_2) | instskip(SKIP_1) | instid1(VALU_DEP_2)
	v_cndmask_b32_e64 v102, v4, 0x70, vcc_lo
	v_cndmask_b32_e32 v16, v16, v2, vcc_lo
	v_dual_add_nc_u32 v4, 21, v102 :: v_dual_add_nc_u32 v103, 20, v102
	s_delay_alu instid0(VALU_DEP_1) | instskip(NEXT) | instid1(VALU_DEP_2)
	v_lshlrev_b64_e64 v[4:5], v4, -1
	v_lshlrev_b64_e64 v[44:45], v103, 1
	s_delay_alu instid0(VALU_DEP_2) | instskip(NEXT) | instid1(VALU_DEP_3)
	v_bfi_b32 v47, v5, 0, 0
	v_bfi_b32 v46, v4, 0, v16
	v_lshrrev_b64 v[4:5], v102, v[16:17]
	s_delay_alu instid0(VALU_DEP_1) | instskip(NEXT) | instid1(VALU_DEP_3)
	v_mov_b64_e32 v[16:17], v[4:5]
	v_cmpx_eq_u64_e64 v[46:47], v[44:45]
; %bb.6604:                             ;   in Loop: Header=BB4_5820 Depth=3
	v_bfe_u32 v16, v4, 21, 1
	v_mov_b32_e32 v17, v3
	s_delay_alu instid0(VALU_DEP_1) | instskip(NEXT) | instid1(VALU_DEP_1)
	v_add_nc_u64_e32 v[16:17], v[4:5], v[16:17]
	v_add_nc_u64_e32 v[16:17], -1, v[16:17]
; %bb.6605:                             ;   in Loop: Header=BB4_5820 Depth=3
	s_or_b32 exec_lo, exec_lo, s73
	v_add_nc_u32_e32 v2, 0xffffff81, v100
	v_lshrrev_b32_e32 v5, 23, v4
	s_mov_b32 s13, exec_lo
	s_delay_alu instid0(VALU_DEP_2) | instskip(NEXT) | instid1(VALU_DEP_1)
	v_cndmask_b32_e64 v2, v2, 0xffffff82, vcc_lo
	v_add3_u32 v17, v102, v2, v5
	v_and_b32_e32 v2, 0x1fffff, v16
                                        ; implicit-def: $vgpr16
	s_delay_alu instid0(VALU_DEP_1) | instskip(NEXT) | instid1(VALU_DEP_1)
	v_dual_add_nc_u32 v100, 14, v17 :: v_dual_add_nc_u32 v2, v2, v4
                                        ; implicit-def: $vgpr4_vgpr5
	v_cmpx_ne_u32_e32 0, v100
	s_xor_b32 s13, exec_lo, s13
; %bb.6606:                             ;   in Loop: Header=BB4_5820 Depth=3
	s_delay_alu instid0(VALU_DEP_2) | instskip(SKIP_1) | instid1(VALU_DEP_1)
	v_cmp_lt_u64_e32 vcc_lo, 0xffffff, v[2:3]
	v_add_nc_u32_e32 v4, 15, v17
	v_cndmask_b32_e32 v16, v100, v4, vcc_lo
	v_cndmask_b32_e64 v4, 0, 1, vcc_lo
	s_delay_alu instid0(VALU_DEP_1)
	v_lshrrev_b64 v[4:5], v4, v[2:3]
; %bb.6607:                             ;   in Loop: Header=BB4_5820 Depth=3
	s_and_not1_saveexec_b32 s13, s13
; %bb.6608:                             ;   in Loop: Header=BB4_5820 Depth=3
	v_mov_b64_e32 v[4:5], v[2:3]
	v_bfe_u32 v16, v2, 23, 1
; %bb.6609:                             ;   in Loop: Header=BB4_5820 Depth=3
	s_or_b32 exec_lo, exec_lo, s13
	s_delay_alu instid0(VALU_DEP_2) | instskip(NEXT) | instid1(VALU_DEP_2)
	v_lshrrev_b64 v[4:5], 21, v[4:5]
	v_cmp_gt_i32_e32 vcc_lo, 32, v16
	v_min_i32_e32 v2, 31, v16
	v_cmp_eq_u32_e64 s13, 0, v16
	s_delay_alu instid0(VALU_DEP_2) | instskip(SKIP_1) | instid1(VALU_DEP_2)
	v_dual_cndmask_b32 v5, 0, v5 :: v_dual_lshlrev_b32 v2, 2, v2
	v_cndmask_b32_e32 v4, 3, v4, vcc_lo
	v_and_b32_e32 v2, 0xfc, v2
	s_delay_alu instid0(VALU_DEP_2) | instskip(NEXT) | instid1(VALU_DEP_2)
	v_cmp_eq_u64_e32 vcc_lo, 0, v[4:5]
	v_and_or_b32 v2, v4, 3, v2
	s_and_b32 s13, s13, vcc_lo
	s_delay_alu instid0(VALU_DEP_1) | instid1(SALU_CYCLE_1)
	v_cndmask_b32_e64 v2, v2, 0, s13
	s_delay_alu instid0(VALU_DEP_1)
	v_or_b32_e32 v100, v2, v101
.LBB4_6610:                             ;   in Loop: Header=BB4_5820 Depth=3
	s_or_b32 exec_lo, exec_lo, s72
                                        ; implicit-def: $vgpr101
.LBB4_6611:                             ;   in Loop: Header=BB4_5820 Depth=3
	s_and_not1_saveexec_b32 s13, s43
; %bb.6612:                             ;   in Loop: Header=BB4_5820 Depth=3
	v_or_b32_e32 v100, 0x7b, v101
; %bb.6613:                             ;   in Loop: Header=BB4_5820 Depth=3
	s_or_b32 exec_lo, exec_lo, s13
                                        ; implicit-def: $vgpr4
                                        ; implicit-def: $vgpr5
.LBB4_6614:                             ;   in Loop: Header=BB4_5820 Depth=3
	s_and_not1_saveexec_b32 s13, s42
	s_cbranch_execz .LBB4_6620
; %bb.6615:                             ;   in Loop: Header=BB4_5820 Depth=3
	s_mov_b32 s42, exec_lo
                                        ; implicit-def: $vgpr100
	v_cmpx_ne_u64_e32 0, v[2:3]
	s_xor_b32 s42, exec_lo, s42
; %bb.6616:                             ;   in Loop: Header=BB4_5820 Depth=3
	v_or_b32_e32 v100, 0x7f, v5
                                        ; implicit-def: $vgpr4
; %bb.6617:                             ;   in Loop: Header=BB4_5820 Depth=3
	s_and_not1_saveexec_b32 s42, s42
; %bb.6618:                             ;   in Loop: Header=BB4_5820 Depth=3
	v_cmp_lt_i32_e32 vcc_lo, -1, v4
	v_cndmask_b32_e32 v100, 0xfc, v113, vcc_lo
; %bb.6619:                             ;   in Loop: Header=BB4_5820 Depth=3
	s_or_b32 exec_lo, exec_lo, s42
.LBB4_6620:                             ;   in Loop: Header=BB4_5820 Depth=3
	s_delay_alu instid0(SALU_CYCLE_1) | instskip(SKIP_4) | instid1(VALU_DEP_3)
	s_or_b32 exec_lo, exec_lo, s13
	v_and_b32_e32 v16, 0xff, v13
	v_dual_mov_b32 v2, v13 :: v_dual_mov_b32 v5, 0
	v_mov_b32_e32 v4, 0
	s_mov_b32 s13, exec_lo
	v_cmpx_ne_u16_e32 0, v16
	s_cbranch_execz .LBB4_6630
; %bb.6621:                             ;   in Loop: Header=BB4_5820 Depth=3
	v_bfrev_b32_e32 v4, 1
	s_mov_b32 s42, exec_lo
	v_cmpx_ne_u16_e32 0x80, v16
	s_cbranch_execz .LBB4_6629
; %bb.6622:                             ;   in Loop: Header=BB4_5820 Depth=3
	v_and_b32_e32 v4, 0x7c, v13
	v_and_b32_e32 v16, 3, v13
	s_delay_alu instid0(VALU_DEP_2) | instskip(SKIP_1) | instid1(SALU_CYCLE_1)
	v_cmp_ne_u32_e32 vcc_lo, 0x7c, v4
                                        ; implicit-def: $vgpr4
	s_and_saveexec_b32 s43, vcc_lo
	s_xor_b32 s43, exec_lo, s43
	s_cbranch_execz .LBB4_6626
; %bb.6623:                             ;   in Loop: Header=BB4_5820 Depth=3
	v_bfe_u32 v4, v13, 2, 5
	s_mov_b32 s72, exec_lo
	s_delay_alu instid0(VALU_DEP_1)
	v_cmpx_eq_u32_e32 0, v4
; %bb.6624:                             ;   in Loop: Header=BB4_5820 Depth=3
	v_clz_i32_u32_e32 v4, v16
	s_delay_alu instid0(VALU_DEP_1) | instskip(NEXT) | instid1(VALU_DEP_1)
	v_min_u32_e32 v4, 32, v4
	v_subrev_nc_u32_e32 v16, 29, v4
	v_sub_nc_u32_e32 v4, 30, v4
	s_delay_alu instid0(VALU_DEP_2) | instskip(NEXT) | instid1(VALU_DEP_1)
	v_lshlrev_b64_e32 v[16:17], v16, v[2:3]
	v_and_b32_e32 v16, 3, v16
; %bb.6625:                             ;   in Loop: Header=BB4_5820 Depth=3
	s_or_b32 exec_lo, exec_lo, s72
	v_lshlrev_b32_e32 v17, 24, v13
	s_delay_alu instid0(VALU_DEP_1) | instskip(NEXT) | instid1(VALU_DEP_1)
	v_and_b32_e32 v17, 0x80000000, v17
	v_lshl_add_u32 v4, v4, 23, v17
	s_delay_alu instid0(VALU_DEP_1) | instskip(NEXT) | instid1(VALU_DEP_1)
	v_lshl_or_b32 v4, v16, 21, v4
                                        ; implicit-def: $vgpr16
	v_add_nc_u32_e32 v4, 0x38000000, v4
.LBB4_6626:                             ;   in Loop: Header=BB4_5820 Depth=3
	s_and_not1_saveexec_b32 s43, s43
; %bb.6627:                             ;   in Loop: Header=BB4_5820 Depth=3
	v_bfe_i32 v4, v13, 0, 8
	s_delay_alu instid0(VALU_DEP_1) | instskip(SKIP_2) | instid1(VALU_DEP_2)
	v_cmp_lt_i16_e32 vcc_lo, -1, v4
	v_cndmask_b32_e32 v4, 0xff800000, v112, vcc_lo
	v_cmp_eq_u32_e32 vcc_lo, 0, v16
	v_cndmask_b32_e32 v4, 0x7f800001, v4, vcc_lo
; %bb.6628:                             ;   in Loop: Header=BB4_5820 Depth=3
	s_or_b32 exec_lo, exec_lo, s43
.LBB4_6629:                             ;   in Loop: Header=BB4_5820 Depth=3
	s_delay_alu instid0(SALU_CYCLE_1)
	s_or_b32 exec_lo, exec_lo, s42
.LBB4_6630:                             ;   in Loop: Header=BB4_5820 Depth=3
	s_delay_alu instid0(SALU_CYCLE_1) | instskip(SKIP_2) | instid1(VALU_DEP_1)
	s_or_b32 exec_lo, exec_lo, s13
	v_and_b32_e32 v16, 0xff, v9
	s_mov_b32 s13, exec_lo
	v_cmpx_ne_u16_e32 0, v16
	s_cbranch_execz .LBB4_6640
; %bb.6631:                             ;   in Loop: Header=BB4_5820 Depth=3
	v_bfrev_b32_e32 v5, 1
	s_mov_b32 s42, exec_lo
	v_cmpx_ne_u16_e32 0x80, v16
	s_cbranch_execz .LBB4_6639
; %bb.6632:                             ;   in Loop: Header=BB4_5820 Depth=3
	v_and_b32_e32 v5, 0x7c, v9
	v_and_b32_e32 v16, 3, v9
	s_delay_alu instid0(VALU_DEP_2) | instskip(SKIP_1) | instid1(SALU_CYCLE_1)
	v_cmp_ne_u32_e32 vcc_lo, 0x7c, v5
                                        ; implicit-def: $vgpr5
	s_and_saveexec_b32 s43, vcc_lo
	s_xor_b32 s43, exec_lo, s43
	s_cbranch_execz .LBB4_6636
; %bb.6633:                             ;   in Loop: Header=BB4_5820 Depth=3
	v_bfe_u32 v5, v9, 2, 5
	s_mov_b32 s72, exec_lo
	s_delay_alu instid0(VALU_DEP_1)
	v_cmpx_eq_u32_e32 0, v5
; %bb.6634:                             ;   in Loop: Header=BB4_5820 Depth=3
	v_clz_i32_u32_e32 v5, v16
	v_dual_mov_b32 v16, v9 :: v_dual_mov_b32 v17, v3
	s_delay_alu instid0(VALU_DEP_2) | instskip(NEXT) | instid1(VALU_DEP_1)
	v_min_u32_e32 v5, 32, v5
	v_subrev_nc_u32_e32 v101, 29, v5
	s_delay_alu instid0(VALU_DEP_1) | instskip(NEXT) | instid1(VALU_DEP_1)
	v_lshlrev_b64_e32 v[16:17], v101, v[16:17]
	v_dual_sub_nc_u32 v5, 30, v5 :: v_dual_bitop2_b32 v16, 3, v16 bitop3:0x40
; %bb.6635:                             ;   in Loop: Header=BB4_5820 Depth=3
	s_or_b32 exec_lo, exec_lo, s72
	v_lshlrev_b32_e32 v17, 24, v9
	s_delay_alu instid0(VALU_DEP_1) | instskip(NEXT) | instid1(VALU_DEP_1)
	v_and_b32_e32 v17, 0x80000000, v17
	v_lshl_add_u32 v5, v5, 23, v17
	s_delay_alu instid0(VALU_DEP_1) | instskip(NEXT) | instid1(VALU_DEP_1)
	v_lshl_or_b32 v5, v16, 21, v5
                                        ; implicit-def: $vgpr16
	v_add_nc_u32_e32 v5, 0x38000000, v5
.LBB4_6636:                             ;   in Loop: Header=BB4_5820 Depth=3
	s_and_not1_saveexec_b32 s43, s43
; %bb.6637:                             ;   in Loop: Header=BB4_5820 Depth=3
	v_bfe_i32 v5, v9, 0, 8
	s_delay_alu instid0(VALU_DEP_1) | instskip(SKIP_2) | instid1(VALU_DEP_2)
	v_cmp_lt_i16_e32 vcc_lo, -1, v5
	v_cndmask_b32_e32 v5, 0xff800000, v112, vcc_lo
	v_cmp_eq_u32_e32 vcc_lo, 0, v16
	v_cndmask_b32_e32 v5, 0x7f800001, v5, vcc_lo
; %bb.6638:                             ;   in Loop: Header=BB4_5820 Depth=3
	s_or_b32 exec_lo, exec_lo, s43
.LBB4_6639:                             ;   in Loop: Header=BB4_5820 Depth=3
	s_delay_alu instid0(SALU_CYCLE_1)
	s_or_b32 exec_lo, exec_lo, s42
.LBB4_6640:                             ;   in Loop: Header=BB4_5820 Depth=3
	s_delay_alu instid0(SALU_CYCLE_1) | instskip(NEXT) | instid1(VALU_DEP_1)
	s_or_b32 exec_lo, exec_lo, s13
	v_dual_mul_f32 v16, v4, v5 :: v_dual_mov_b32 v103, v3
	v_mov_b32_e32 v5, v3
                                        ; implicit-def: $vgpr101
	s_mov_b32 s13, exec_lo
	s_delay_alu instid0(VALU_DEP_2) | instskip(SKIP_2) | instid1(VALU_DEP_3)
	v_and_b32_e32 v102, 0x7f800000, v16
	v_and_b32_e32 v4, 0x7fffff, v16
	v_lshrrev_b32_e32 v17, 24, v16
	v_cmpx_ne_u64_e32 0x7f800000, v[102:103]
	s_xor_b32 s42, exec_lo, s13
	s_cbranch_execz .LBB4_6654
; %bb.6641:                             ;   in Loop: Header=BB4_5820 Depth=3
	v_and_b32_e32 v102, 0x7fffffff, v16
	v_mov_b32_e32 v103, v3
                                        ; implicit-def: $vgpr101
	s_delay_alu instid0(VALU_DEP_1) | instskip(SKIP_2) | instid1(SALU_CYCLE_1)
	v_cmp_gt_u64_e32 vcc_lo, 0x47600001, v[102:103]
	v_and_b32_e32 v102, 0x80, v17
	s_and_saveexec_b32 s13, vcc_lo
	s_xor_b32 s43, exec_lo, s13
	s_cbranch_execz .LBB4_6651
; %bb.6642:                             ;   in Loop: Header=BB4_5820 Depth=3
	v_mov_b32_e32 v101, 0
	s_mov_b32 s72, exec_lo
	v_cmpx_ne_u32_e32 0, v16
	s_cbranch_execz .LBB4_6650
; %bb.6643:                             ;   in Loop: Header=BB4_5820 Depth=3
	v_bfe_u32 v101, v16, 23, 8
	v_or_b32_e32 v17, 0x800000, v4
	s_delay_alu instid0(VALU_DEP_2) | instskip(SKIP_2) | instid1(VALU_DEP_2)
	v_cmp_gt_u32_e64 s13, 0x72, v101
	v_sub_nc_u32_e32 v16, 0x71, v101
	v_cmp_eq_u32_e32 vcc_lo, 0, v101
	v_cndmask_b32_e64 v16, 0, v16, s13
	s_delay_alu instid0(VALU_DEP_1) | instskip(NEXT) | instid1(VALU_DEP_1)
	v_cndmask_b32_e64 v103, v16, 0x70, vcc_lo
	v_dual_cndmask_b32 v4, v17, v4, vcc_lo :: v_dual_add_nc_u32 v16, 21, v103
	v_add_nc_u32_e32 v43, 20, v103
	s_delay_alu instid0(VALU_DEP_2) | instskip(NEXT) | instid1(VALU_DEP_2)
	v_lshlrev_b64_e64 v[16:17], v16, -1
	v_lshlrev_b64_e64 v[44:45], v43, 1
	s_delay_alu instid0(VALU_DEP_2) | instskip(SKIP_1) | instid1(VALU_DEP_4)
	v_bfi_b32 v16, v16, 0, v4
	v_lshrrev_b64 v[4:5], v103, v[4:5]
	v_bfi_b32 v17, v17, 0, 0
	s_delay_alu instid0(VALU_DEP_1) | instskip(NEXT) | instid1(VALU_DEP_3)
	v_cmp_eq_u64_e64 s13, v[16:17], v[44:45]
	v_mov_b64_e32 v[16:17], v[4:5]
	s_and_saveexec_b32 s73, s13
; %bb.6644:                             ;   in Loop: Header=BB4_5820 Depth=3
	v_bfe_u32 v16, v4, 21, 1
	v_mov_b32_e32 v17, v3
	s_delay_alu instid0(VALU_DEP_1) | instskip(NEXT) | instid1(VALU_DEP_1)
	v_add_nc_u64_e32 v[16:17], v[4:5], v[16:17]
	v_add_nc_u64_e32 v[16:17], -1, v[16:17]
; %bb.6645:                             ;   in Loop: Header=BB4_5820 Depth=3
	s_or_b32 exec_lo, exec_lo, s73
	v_add_nc_u32_e32 v5, 0xffffff81, v101
	v_lshrrev_b32_e32 v17, 23, v4
	s_mov_b32 s13, exec_lo
	s_delay_alu instid0(VALU_DEP_2) | instskip(NEXT) | instid1(VALU_DEP_1)
	v_cndmask_b32_e64 v5, v5, 0xffffff82, vcc_lo
	v_add3_u32 v17, v103, v5, v17
	v_and_b32_e32 v5, 0x1fffff, v16
                                        ; implicit-def: $vgpr16
	s_delay_alu instid0(VALU_DEP_1) | instskip(SKIP_1) | instid1(VALU_DEP_2)
	v_dual_add_nc_u32 v101, 14, v17 :: v_dual_add_nc_u32 v4, v5, v4
	v_mov_b32_e32 v5, v3
	v_cmpx_ne_u32_e32 0, v101
	s_xor_b32 s13, exec_lo, s13
; %bb.6646:                             ;   in Loop: Header=BB4_5820 Depth=3
	s_delay_alu instid0(VALU_DEP_2) | instskip(SKIP_2) | instid1(VALU_DEP_2)
	v_cmp_lt_u64_e32 vcc_lo, 0xffffff, v[4:5]
	v_add_nc_u32_e32 v16, 15, v17
	v_cndmask_b32_e64 v17, 0, 1, vcc_lo
	v_cndmask_b32_e32 v16, v101, v16, vcc_lo
	s_delay_alu instid0(VALU_DEP_2)
	v_lshrrev_b64 v[4:5], v17, v[4:5]
; %bb.6647:                             ;   in Loop: Header=BB4_5820 Depth=3
	s_and_not1_saveexec_b32 s13, s13
; %bb.6648:                             ;   in Loop: Header=BB4_5820 Depth=3
	s_delay_alu instid0(VALU_DEP_1)
	v_bfe_u32 v16, v4, 23, 1
; %bb.6649:                             ;   in Loop: Header=BB4_5820 Depth=3
	s_or_b32 exec_lo, exec_lo, s13
	s_delay_alu instid0(VALU_DEP_2) | instskip(NEXT) | instid1(VALU_DEP_2)
	v_lshrrev_b64 v[4:5], 21, v[4:5]
	v_cmp_gt_i32_e32 vcc_lo, 32, v16
	v_min_i32_e32 v17, 31, v16
	v_cmp_eq_u32_e64 s13, 0, v16
	s_delay_alu instid0(VALU_DEP_4) | instskip(NEXT) | instid1(VALU_DEP_3)
	v_cndmask_b32_e32 v5, 0, v5, vcc_lo
	v_dual_cndmask_b32 v4, 3, v4 :: v_dual_lshlrev_b32 v17, 2, v17
	s_delay_alu instid0(VALU_DEP_1) | instskip(NEXT) | instid1(VALU_DEP_2)
	v_and_b32_e32 v17, 0xfc, v17
	v_cmp_eq_u64_e32 vcc_lo, 0, v[4:5]
	s_delay_alu instid0(VALU_DEP_2)
	v_and_or_b32 v4, v4, 3, v17
	s_and_b32 s13, s13, vcc_lo
	s_delay_alu instid0(VALU_DEP_1) | instid1(SALU_CYCLE_1)
	v_cndmask_b32_e64 v4, v4, 0, s13
	s_delay_alu instid0(VALU_DEP_1)
	v_or_b32_e32 v101, v4, v102
.LBB4_6650:                             ;   in Loop: Header=BB4_5820 Depth=3
	s_or_b32 exec_lo, exec_lo, s72
                                        ; implicit-def: $vgpr102
.LBB4_6651:                             ;   in Loop: Header=BB4_5820 Depth=3
	s_and_not1_saveexec_b32 s13, s43
; %bb.6652:                             ;   in Loop: Header=BB4_5820 Depth=3
	v_or_b32_e32 v101, 0x7b, v102
; %bb.6653:                             ;   in Loop: Header=BB4_5820 Depth=3
	s_or_b32 exec_lo, exec_lo, s13
                                        ; implicit-def: $vgpr16
                                        ; implicit-def: $vgpr4_vgpr5
                                        ; implicit-def: $vgpr17
.LBB4_6654:                             ;   in Loop: Header=BB4_5820 Depth=3
	s_and_not1_saveexec_b32 s13, s42
	s_cbranch_execz .LBB4_6660
; %bb.6655:                             ;   in Loop: Header=BB4_5820 Depth=3
	s_mov_b32 s42, exec_lo
                                        ; implicit-def: $vgpr101
	v_cmpx_ne_u64_e32 0, v[4:5]
	s_xor_b32 s42, exec_lo, s42
; %bb.6656:                             ;   in Loop: Header=BB4_5820 Depth=3
	v_or_b32_e32 v101, 0x7f, v17
                                        ; implicit-def: $vgpr16
; %bb.6657:                             ;   in Loop: Header=BB4_5820 Depth=3
	s_and_not1_saveexec_b32 s42, s42
; %bb.6658:                             ;   in Loop: Header=BB4_5820 Depth=3
	v_cmp_lt_i32_e32 vcc_lo, -1, v16
	v_cndmask_b32_e32 v101, 0xfc, v113, vcc_lo
; %bb.6659:                             ;   in Loop: Header=BB4_5820 Depth=3
	s_or_b32 exec_lo, exec_lo, s42
.LBB4_6660:                             ;   in Loop: Header=BB4_5820 Depth=3
	s_delay_alu instid0(SALU_CYCLE_1) | instskip(SKIP_3) | instid1(VALU_DEP_2)
	s_or_b32 exec_lo, exec_lo, s13
	v_lshrrev_b16 v4, 8, v2
	v_dual_mov_b32 v16, 0 :: v_dual_mov_b32 v17, 0
	s_mov_b32 s13, exec_lo
	v_cmpx_ne_u16_e32 0, v4
	s_cbranch_execz .LBB4_6670
; %bb.6661:                             ;   in Loop: Header=BB4_5820 Depth=3
	v_bfrev_b32_e32 v17, 1
	s_mov_b32 s42, exec_lo
	v_cmpx_ne_u16_e32 0x80, v4
	s_cbranch_execz .LBB4_6669
; %bb.6662:                             ;   in Loop: Header=BB4_5820 Depth=3
	v_and_b32_e32 v102, 0xffff, v4
	s_delay_alu instid0(VALU_DEP_1) | instskip(SKIP_1) | instid1(VALU_DEP_2)
	v_and_b32_e32 v17, 0x7c, v102
	v_and_b32_e32 v5, 3, v102
	v_cmp_ne_u32_e32 vcc_lo, 0x7c, v17
                                        ; implicit-def: $vgpr17
	s_and_saveexec_b32 s43, vcc_lo
	s_delay_alu instid0(SALU_CYCLE_1)
	s_xor_b32 s43, exec_lo, s43
	s_cbranch_execz .LBB4_6666
; %bb.6663:                             ;   in Loop: Header=BB4_5820 Depth=3
	v_bfe_u32 v17, v102, 2, 5
	s_mov_b32 s72, exec_lo
	s_delay_alu instid0(VALU_DEP_1)
	v_cmpx_eq_u32_e32 0, v17
	s_cbranch_execz .LBB4_6665
; %bb.6664:                             ;   in Loop: Header=BB4_5820 Depth=3
	v_clz_i32_u32_e32 v5, v5
	s_delay_alu instid0(VALU_DEP_1) | instskip(SKIP_1) | instid1(VALU_DEP_2)
	v_min_u32_e32 v17, 32, v5
	v_mov_b32_e32 v5, v3
	v_subrev_nc_u32_e32 v102, 29, v17
	v_sub_nc_u32_e32 v17, 30, v17
	s_delay_alu instid0(VALU_DEP_2) | instskip(NEXT) | instid1(VALU_DEP_1)
	v_lshlrev_b64_e32 v[4:5], v102, v[4:5]
	v_and_b32_e32 v5, 3, v4
.LBB4_6665:                             ;   in Loop: Header=BB4_5820 Depth=3
	s_or_b32 exec_lo, exec_lo, s72
	v_lshlrev_b32_e32 v2, 16, v2
	s_delay_alu instid0(VALU_DEP_1) | instskip(NEXT) | instid1(VALU_DEP_1)
	v_and_b32_e32 v2, 0x80000000, v2
	v_lshl_add_u32 v2, v17, 23, v2
	s_delay_alu instid0(VALU_DEP_1) | instskip(NEXT) | instid1(VALU_DEP_1)
	v_lshl_or_b32 v2, v5, 21, v2
                                        ; implicit-def: $vgpr5
	v_add_nc_u32_e32 v17, 0x38000000, v2
.LBB4_6666:                             ;   in Loop: Header=BB4_5820 Depth=3
	s_and_not1_saveexec_b32 s43, s43
; %bb.6667:                             ;   in Loop: Header=BB4_5820 Depth=3
	v_cmp_lt_i16_e32 vcc_lo, -1, v2
	v_cndmask_b32_e32 v2, 0xff800000, v112, vcc_lo
	v_cmp_eq_u32_e32 vcc_lo, 0, v5
	s_delay_alu instid0(VALU_DEP_2)
	v_cndmask_b32_e32 v17, 0x7f800001, v2, vcc_lo
; %bb.6668:                             ;   in Loop: Header=BB4_5820 Depth=3
	s_or_b32 exec_lo, exec_lo, s43
.LBB4_6669:                             ;   in Loop: Header=BB4_5820 Depth=3
	s_delay_alu instid0(SALU_CYCLE_1)
	s_or_b32 exec_lo, exec_lo, s42
.LBB4_6670:                             ;   in Loop: Header=BB4_5820 Depth=3
	s_delay_alu instid0(SALU_CYCLE_1) | instskip(SKIP_2) | instid1(VALU_DEP_1)
	s_or_b32 exec_lo, exec_lo, s13
	v_lshrrev_b16 v4, 8, v9
	s_mov_b32 s13, exec_lo
	v_cmpx_ne_u16_e32 0, v4
	s_cbranch_execz .LBB4_6680
; %bb.6671:                             ;   in Loop: Header=BB4_5820 Depth=3
	v_bfrev_b32_e32 v16, 1
	s_mov_b32 s42, exec_lo
	v_cmpx_ne_u16_e32 0x80, v4
	s_cbranch_execz .LBB4_6679
; %bb.6672:                             ;   in Loop: Header=BB4_5820 Depth=3
	v_and_b32_e32 v5, 0xffff, v4
	s_delay_alu instid0(VALU_DEP_1) | instskip(SKIP_1) | instid1(VALU_DEP_2)
	v_and_b32_e32 v16, 0x7c, v5
	v_and_b32_e32 v2, 3, v5
	v_cmp_ne_u32_e32 vcc_lo, 0x7c, v16
                                        ; implicit-def: $vgpr16
	s_and_saveexec_b32 s43, vcc_lo
	s_delay_alu instid0(SALU_CYCLE_1)
	s_xor_b32 s43, exec_lo, s43
	s_cbranch_execz .LBB4_6676
; %bb.6673:                             ;   in Loop: Header=BB4_5820 Depth=3
	v_bfe_u32 v5, v5, 2, 5
	s_mov_b32 s72, exec_lo
	s_delay_alu instid0(VALU_DEP_1)
	v_cmpx_eq_u32_e32 0, v5
; %bb.6674:                             ;   in Loop: Header=BB4_5820 Depth=3
	v_clz_i32_u32_e32 v2, v2
	v_mov_b32_e32 v5, v3
	s_delay_alu instid0(VALU_DEP_2) | instskip(NEXT) | instid1(VALU_DEP_1)
	v_min_u32_e32 v2, 32, v2
	v_subrev_nc_u32_e32 v16, 29, v2
	s_delay_alu instid0(VALU_DEP_1) | instskip(NEXT) | instid1(VALU_DEP_1)
	v_lshlrev_b64_e32 v[4:5], v16, v[4:5]
	v_dual_sub_nc_u32 v5, 30, v2 :: v_dual_bitop2_b32 v2, 3, v4 bitop3:0x40
; %bb.6675:                             ;   in Loop: Header=BB4_5820 Depth=3
	s_or_b32 exec_lo, exec_lo, s72
	v_lshlrev_b32_e32 v4, 16, v9
	s_delay_alu instid0(VALU_DEP_1) | instskip(NEXT) | instid1(VALU_DEP_1)
	v_and_b32_e32 v4, 0x80000000, v4
	v_lshl_add_u32 v4, v5, 23, v4
	s_delay_alu instid0(VALU_DEP_1) | instskip(NEXT) | instid1(VALU_DEP_1)
	v_lshl_or_b32 v2, v2, 21, v4
	v_add_nc_u32_e32 v16, 0x38000000, v2
                                        ; implicit-def: $vgpr2
.LBB4_6676:                             ;   in Loop: Header=BB4_5820 Depth=3
	s_and_not1_saveexec_b32 s43, s43
; %bb.6677:                             ;   in Loop: Header=BB4_5820 Depth=3
	v_cmp_lt_i16_e32 vcc_lo, -1, v9
	v_cndmask_b32_e32 v4, 0xff800000, v112, vcc_lo
	v_cmp_eq_u32_e32 vcc_lo, 0, v2
	s_delay_alu instid0(VALU_DEP_2)
	v_cndmask_b32_e32 v16, 0x7f800001, v4, vcc_lo
; %bb.6678:                             ;   in Loop: Header=BB4_5820 Depth=3
	s_or_b32 exec_lo, exec_lo, s43
.LBB4_6679:                             ;   in Loop: Header=BB4_5820 Depth=3
	s_delay_alu instid0(SALU_CYCLE_1)
	s_or_b32 exec_lo, exec_lo, s42
.LBB4_6680:                             ;   in Loop: Header=BB4_5820 Depth=3
	s_delay_alu instid0(SALU_CYCLE_1) | instskip(NEXT) | instid1(VALU_DEP_1)
	s_or_b32 exec_lo, exec_lo, s13
	v_dual_mul_f32 v4, v17, v16 :: v_dual_mov_b32 v17, v3
                                        ; implicit-def: $vgpr102
	s_mov_b32 s13, exec_lo
	s_delay_alu instid0(VALU_DEP_1) | instskip(SKIP_2) | instid1(VALU_DEP_3)
	v_and_b32_e32 v16, 0x7f800000, v4
	v_and_b32_e32 v2, 0x7fffff, v4
	v_lshrrev_b32_e32 v5, 24, v4
	v_cmpx_ne_u64_e32 0x7f800000, v[16:17]
	s_xor_b32 s42, exec_lo, s13
	s_cbranch_execz .LBB4_6694
; %bb.6681:                             ;   in Loop: Header=BB4_5820 Depth=3
	v_and_b32_e32 v16, 0x7fffffff, v4
	v_mov_b32_e32 v17, v3
	v_and_b32_e32 v103, 0x80, v5
                                        ; implicit-def: $vgpr102
	s_mov_b32 s13, exec_lo
	s_delay_alu instid0(VALU_DEP_2)
	v_cmpx_gt_u64_e32 0x47600001, v[16:17]
	s_xor_b32 s43, exec_lo, s13
	s_cbranch_execz .LBB4_6691
; %bb.6682:                             ;   in Loop: Header=BB4_5820 Depth=3
	v_mov_b32_e32 v102, 0
	s_mov_b32 s72, exec_lo
	v_cmpx_ne_u32_e32 0, v4
	s_cbranch_execz .LBB4_6690
; %bb.6683:                             ;   in Loop: Header=BB4_5820 Depth=3
	v_bfe_u32 v102, v4, 23, 8
	v_or_b32_e32 v5, 0x800000, v2
	s_delay_alu instid0(VALU_DEP_2) | instskip(SKIP_2) | instid1(VALU_DEP_2)
	v_cmp_gt_u32_e64 s13, 0x72, v102
	v_sub_nc_u32_e32 v4, 0x71, v102
	v_cmp_eq_u32_e32 vcc_lo, 0, v102
	v_cndmask_b32_e64 v4, 0, v4, s13
	s_delay_alu instid0(VALU_DEP_1) | instskip(SKIP_1) | instid1(VALU_DEP_2)
	v_cndmask_b32_e64 v43, v4, 0x70, vcc_lo
	v_dual_cndmask_b32 v4, v5, v2 :: v_dual_mov_b32 v5, v3
	v_add_nc_u32_e32 v2, 21, v43
	s_delay_alu instid0(VALU_DEP_1) | instskip(SKIP_1) | instid1(VALU_DEP_1)
	v_lshlrev_b64_e64 v[16:17], v2, -1
	v_add_nc_u32_e32 v2, 20, v43
	v_lshlrev_b64_e64 v[44:45], v2, 1
	s_delay_alu instid0(VALU_DEP_3) | instskip(SKIP_2) | instid1(VALU_DEP_1)
	v_bfi_b32 v16, v16, 0, v4
	v_lshrrev_b64 v[4:5], v43, v[4:5]
	v_bfi_b32 v17, v17, 0, 0
	v_cmp_eq_u64_e64 s13, v[16:17], v[44:45]
	s_delay_alu instid0(VALU_DEP_3)
	v_mov_b64_e32 v[16:17], v[4:5]
	s_and_saveexec_b32 s73, s13
; %bb.6684:                             ;   in Loop: Header=BB4_5820 Depth=3
	v_bfe_u32 v16, v4, 21, 1
	v_mov_b32_e32 v17, v3
	s_delay_alu instid0(VALU_DEP_1) | instskip(NEXT) | instid1(VALU_DEP_1)
	v_add_nc_u64_e32 v[16:17], v[4:5], v[16:17]
	v_add_nc_u64_e32 v[16:17], -1, v[16:17]
; %bb.6685:                             ;   in Loop: Header=BB4_5820 Depth=3
	s_or_b32 exec_lo, exec_lo, s73
	v_add_nc_u32_e32 v2, 0xffffff81, v102
	v_lshrrev_b32_e32 v5, 23, v4
	s_mov_b32 s13, exec_lo
	s_delay_alu instid0(VALU_DEP_2) | instskip(NEXT) | instid1(VALU_DEP_1)
	v_cndmask_b32_e64 v2, v2, 0xffffff82, vcc_lo
	v_add3_u32 v17, v43, v2, v5
	v_and_b32_e32 v2, 0x1fffff, v16
                                        ; implicit-def: $vgpr16
	s_delay_alu instid0(VALU_DEP_1) | instskip(NEXT) | instid1(VALU_DEP_1)
	v_dual_add_nc_u32 v102, 14, v17 :: v_dual_add_nc_u32 v2, v2, v4
                                        ; implicit-def: $vgpr4_vgpr5
	v_cmpx_ne_u32_e32 0, v102
	s_xor_b32 s13, exec_lo, s13
; %bb.6686:                             ;   in Loop: Header=BB4_5820 Depth=3
	s_delay_alu instid0(VALU_DEP_2) | instskip(SKIP_1) | instid1(VALU_DEP_1)
	v_cmp_lt_u64_e32 vcc_lo, 0xffffff, v[2:3]
	v_add_nc_u32_e32 v4, 15, v17
	v_cndmask_b32_e32 v16, v102, v4, vcc_lo
	v_cndmask_b32_e64 v4, 0, 1, vcc_lo
	s_delay_alu instid0(VALU_DEP_1)
	v_lshrrev_b64 v[4:5], v4, v[2:3]
; %bb.6687:                             ;   in Loop: Header=BB4_5820 Depth=3
	s_and_not1_saveexec_b32 s13, s13
; %bb.6688:                             ;   in Loop: Header=BB4_5820 Depth=3
	v_mov_b64_e32 v[4:5], v[2:3]
	v_bfe_u32 v16, v2, 23, 1
; %bb.6689:                             ;   in Loop: Header=BB4_5820 Depth=3
	s_or_b32 exec_lo, exec_lo, s13
	s_delay_alu instid0(VALU_DEP_2) | instskip(NEXT) | instid1(VALU_DEP_2)
	v_lshrrev_b64 v[4:5], 21, v[4:5]
	v_cmp_gt_i32_e32 vcc_lo, 32, v16
	v_min_i32_e32 v2, 31, v16
	v_cmp_eq_u32_e64 s13, 0, v16
	s_delay_alu instid0(VALU_DEP_2) | instskip(SKIP_1) | instid1(VALU_DEP_2)
	v_dual_cndmask_b32 v5, 0, v5 :: v_dual_lshlrev_b32 v2, 2, v2
	v_cndmask_b32_e32 v4, 3, v4, vcc_lo
	v_and_b32_e32 v2, 0xfc, v2
	s_delay_alu instid0(VALU_DEP_2) | instskip(NEXT) | instid1(VALU_DEP_2)
	v_cmp_eq_u64_e32 vcc_lo, 0, v[4:5]
	v_and_or_b32 v2, v4, 3, v2
	s_and_b32 s13, s13, vcc_lo
	s_delay_alu instid0(VALU_DEP_1) | instid1(SALU_CYCLE_1)
	v_cndmask_b32_e64 v2, v2, 0, s13
	s_delay_alu instid0(VALU_DEP_1)
	v_or_b32_e32 v102, v2, v103
.LBB4_6690:                             ;   in Loop: Header=BB4_5820 Depth=3
	s_or_b32 exec_lo, exec_lo, s72
                                        ; implicit-def: $vgpr103
.LBB4_6691:                             ;   in Loop: Header=BB4_5820 Depth=3
	s_and_not1_saveexec_b32 s13, s43
; %bb.6692:                             ;   in Loop: Header=BB4_5820 Depth=3
	v_or_b32_e32 v102, 0x7b, v103
; %bb.6693:                             ;   in Loop: Header=BB4_5820 Depth=3
	s_or_b32 exec_lo, exec_lo, s13
                                        ; implicit-def: $vgpr4
                                        ; implicit-def: $vgpr5
.LBB4_6694:                             ;   in Loop: Header=BB4_5820 Depth=3
	s_and_not1_saveexec_b32 s13, s42
	s_cbranch_execz .LBB4_6700
; %bb.6695:                             ;   in Loop: Header=BB4_5820 Depth=3
	s_mov_b32 s42, exec_lo
                                        ; implicit-def: $vgpr102
	v_cmpx_ne_u64_e32 0, v[2:3]
	s_xor_b32 s42, exec_lo, s42
; %bb.6696:                             ;   in Loop: Header=BB4_5820 Depth=3
	v_or_b32_e32 v102, 0x7f, v5
                                        ; implicit-def: $vgpr4
; %bb.6697:                             ;   in Loop: Header=BB4_5820 Depth=3
	s_and_not1_saveexec_b32 s42, s42
; %bb.6698:                             ;   in Loop: Header=BB4_5820 Depth=3
	v_cmp_lt_i32_e32 vcc_lo, -1, v4
	v_cndmask_b32_e32 v102, 0xfc, v113, vcc_lo
; %bb.6699:                             ;   in Loop: Header=BB4_5820 Depth=3
	s_or_b32 exec_lo, exec_lo, s42
.LBB4_6700:                             ;   in Loop: Header=BB4_5820 Depth=3
	s_delay_alu instid0(SALU_CYCLE_1) | instskip(SKIP_3) | instid1(VALU_DEP_2)
	s_or_b32 exec_lo, exec_lo, s13
	v_dual_lshrrev_b32 v2, 16, v13 :: v_dual_mov_b32 v4, 0
	v_mov_b32_e32 v5, 0
	s_mov_b32 s13, exec_lo
	v_and_b32_e32 v16, 0xff, v2
	s_delay_alu instid0(VALU_DEP_1)
	v_cmpx_ne_u16_e32 0, v16
	s_cbranch_execz .LBB4_6710
; %bb.6701:                             ;   in Loop: Header=BB4_5820 Depth=3
	v_bfrev_b32_e32 v5, 1
	s_mov_b32 s42, exec_lo
	v_cmpx_ne_u16_e32 0x80, v16
	s_cbranch_execz .LBB4_6709
; %bb.6702:                             ;   in Loop: Header=BB4_5820 Depth=3
	v_and_b32_e32 v5, 0x7c0000, v13
	v_bfe_u32 v16, v13, 16, 2
	s_delay_alu instid0(VALU_DEP_2) | instskip(SKIP_1) | instid1(SALU_CYCLE_1)
	v_cmp_ne_u32_e32 vcc_lo, 0x7c0000, v5
                                        ; implicit-def: $vgpr5
	s_and_saveexec_b32 s43, vcc_lo
	s_xor_b32 s43, exec_lo, s43
	s_cbranch_execz .LBB4_6706
; %bb.6703:                             ;   in Loop: Header=BB4_5820 Depth=3
	v_bfe_u32 v5, v13, 18, 5
	s_mov_b32 s72, exec_lo
	s_delay_alu instid0(VALU_DEP_1)
	v_cmpx_eq_u32_e32 0, v5
; %bb.6704:                             ;   in Loop: Header=BB4_5820 Depth=3
	v_clz_i32_u32_e32 v5, v16
	s_delay_alu instid0(VALU_DEP_1) | instskip(NEXT) | instid1(VALU_DEP_1)
	v_min_u32_e32 v5, 32, v5
	v_subrev_nc_u32_e32 v16, 29, v5
	s_delay_alu instid0(VALU_DEP_1) | instskip(NEXT) | instid1(VALU_DEP_1)
	v_lshlrev_b64_e32 v[16:17], v16, v[2:3]
	v_dual_sub_nc_u32 v5, 30, v5 :: v_dual_bitop2_b32 v16, 3, v16 bitop3:0x40
; %bb.6705:                             ;   in Loop: Header=BB4_5820 Depth=3
	s_or_b32 exec_lo, exec_lo, s72
	v_lshlrev_b32_e32 v2, 24, v2
	s_delay_alu instid0(VALU_DEP_1) | instskip(NEXT) | instid1(VALU_DEP_1)
	v_and_b32_e32 v2, 0x80000000, v2
	v_lshl_add_u32 v2, v5, 23, v2
	s_delay_alu instid0(VALU_DEP_1) | instskip(NEXT) | instid1(VALU_DEP_1)
	v_lshl_or_b32 v2, v16, 21, v2
                                        ; implicit-def: $vgpr16
	v_add_nc_u32_e32 v5, 0x38000000, v2
                                        ; implicit-def: $vgpr2
.LBB4_6706:                             ;   in Loop: Header=BB4_5820 Depth=3
	s_and_not1_saveexec_b32 s43, s43
; %bb.6707:                             ;   in Loop: Header=BB4_5820 Depth=3
	v_bfe_i32 v2, v2, 0, 8
	s_delay_alu instid0(VALU_DEP_1) | instskip(SKIP_2) | instid1(VALU_DEP_2)
	v_cmp_lt_i16_e32 vcc_lo, -1, v2
	v_cndmask_b32_e32 v2, 0xff800000, v112, vcc_lo
	v_cmp_eq_u32_e32 vcc_lo, 0, v16
	v_cndmask_b32_e32 v5, 0x7f800001, v2, vcc_lo
; %bb.6708:                             ;   in Loop: Header=BB4_5820 Depth=3
	s_or_b32 exec_lo, exec_lo, s43
.LBB4_6709:                             ;   in Loop: Header=BB4_5820 Depth=3
	s_delay_alu instid0(SALU_CYCLE_1)
	s_or_b32 exec_lo, exec_lo, s42
.LBB4_6710:                             ;   in Loop: Header=BB4_5820 Depth=3
	s_delay_alu instid0(SALU_CYCLE_1) | instskip(SKIP_2) | instid1(VALU_DEP_1)
	s_or_b32 exec_lo, exec_lo, s13
	v_lshrrev_b32_e32 v2, 16, v9
	s_mov_b32 s13, exec_lo
	v_and_b32_e32 v16, 0xff, v2
	s_delay_alu instid0(VALU_DEP_1)
	v_cmpx_ne_u16_e32 0, v16
	s_cbranch_execz .LBB4_6720
; %bb.6711:                             ;   in Loop: Header=BB4_5820 Depth=3
	v_bfrev_b32_e32 v4, 1
	s_mov_b32 s42, exec_lo
	v_cmpx_ne_u16_e32 0x80, v16
	s_cbranch_execz .LBB4_6719
; %bb.6712:                             ;   in Loop: Header=BB4_5820 Depth=3
	v_and_b32_e32 v4, 0x7c0000, v9
	v_bfe_u32 v16, v9, 16, 2
	s_delay_alu instid0(VALU_DEP_2) | instskip(SKIP_1) | instid1(SALU_CYCLE_1)
	v_cmp_ne_u32_e32 vcc_lo, 0x7c0000, v4
                                        ; implicit-def: $vgpr4
	s_and_saveexec_b32 s43, vcc_lo
	s_xor_b32 s43, exec_lo, s43
	s_cbranch_execz .LBB4_6716
; %bb.6713:                             ;   in Loop: Header=BB4_5820 Depth=3
	v_bfe_u32 v4, v9, 18, 5
	s_mov_b32 s72, exec_lo
	s_delay_alu instid0(VALU_DEP_1)
	v_cmpx_eq_u32_e32 0, v4
; %bb.6714:                             ;   in Loop: Header=BB4_5820 Depth=3
	v_clz_i32_u32_e32 v4, v16
	s_delay_alu instid0(VALU_DEP_1) | instskip(NEXT) | instid1(VALU_DEP_1)
	v_min_u32_e32 v4, 32, v4
	v_subrev_nc_u32_e32 v16, 29, v4
	v_sub_nc_u32_e32 v4, 30, v4
	s_delay_alu instid0(VALU_DEP_2) | instskip(NEXT) | instid1(VALU_DEP_1)
	v_lshlrev_b64_e32 v[16:17], v16, v[2:3]
	v_and_b32_e32 v16, 3, v16
; %bb.6715:                             ;   in Loop: Header=BB4_5820 Depth=3
	s_or_b32 exec_lo, exec_lo, s72
	v_lshlrev_b32_e32 v2, 24, v2
	s_delay_alu instid0(VALU_DEP_1) | instskip(NEXT) | instid1(VALU_DEP_1)
	v_and_b32_e32 v2, 0x80000000, v2
	v_lshl_add_u32 v2, v4, 23, v2
	s_delay_alu instid0(VALU_DEP_1) | instskip(NEXT) | instid1(VALU_DEP_1)
	v_lshl_or_b32 v2, v16, 21, v2
                                        ; implicit-def: $vgpr16
	v_add_nc_u32_e32 v4, 0x38000000, v2
                                        ; implicit-def: $vgpr2
.LBB4_6716:                             ;   in Loop: Header=BB4_5820 Depth=3
	s_and_not1_saveexec_b32 s43, s43
; %bb.6717:                             ;   in Loop: Header=BB4_5820 Depth=3
	v_bfe_i32 v2, v2, 0, 8
	s_delay_alu instid0(VALU_DEP_1) | instskip(SKIP_2) | instid1(VALU_DEP_2)
	v_cmp_lt_i16_e32 vcc_lo, -1, v2
	v_cndmask_b32_e32 v2, 0xff800000, v112, vcc_lo
	v_cmp_eq_u32_e32 vcc_lo, 0, v16
	v_cndmask_b32_e32 v4, 0x7f800001, v2, vcc_lo
; %bb.6718:                             ;   in Loop: Header=BB4_5820 Depth=3
	s_or_b32 exec_lo, exec_lo, s43
.LBB4_6719:                             ;   in Loop: Header=BB4_5820 Depth=3
	s_delay_alu instid0(SALU_CYCLE_1)
	s_or_b32 exec_lo, exec_lo, s42
.LBB4_6720:                             ;   in Loop: Header=BB4_5820 Depth=3
	s_delay_alu instid0(SALU_CYCLE_1) | instskip(NEXT) | instid1(VALU_DEP_1)
	s_or_b32 exec_lo, exec_lo, s13
	v_dual_mul_f32 v4, v5, v4 :: v_dual_mov_b32 v17, v3
	s_delay_alu instid0(VALU_DEP_1) | instskip(SKIP_2) | instid1(VALU_DEP_3)
	v_and_b32_e32 v16, 0x7f800000, v4
	v_and_b32_e32 v2, 0x7fffff, v4
	v_lshrrev_b32_e32 v5, 24, v4
	v_cmp_ne_u64_e32 vcc_lo, 0x7f800000, v[16:17]
                                        ; implicit-def: $vgpr16
	s_and_saveexec_b32 s13, vcc_lo
	s_delay_alu instid0(SALU_CYCLE_1)
	s_xor_b32 s42, exec_lo, s13
	s_cbranch_execz .LBB4_6734
; %bb.6721:                             ;   in Loop: Header=BB4_5820 Depth=3
	v_and_b32_e32 v16, 0x7fffffff, v4
	v_mov_b32_e32 v17, v3
	v_and_b32_e32 v103, 0x80, v5
	s_delay_alu instid0(VALU_DEP_2) | instskip(SKIP_1) | instid1(SALU_CYCLE_1)
	v_cmp_gt_u64_e32 vcc_lo, 0x47600001, v[16:17]
                                        ; implicit-def: $vgpr16
	s_and_saveexec_b32 s13, vcc_lo
	s_xor_b32 s43, exec_lo, s13
	s_cbranch_execz .LBB4_6731
; %bb.6722:                             ;   in Loop: Header=BB4_5820 Depth=3
	v_mov_b32_e32 v16, 0
	s_mov_b32 s72, exec_lo
	v_cmpx_ne_u32_e32 0, v4
	s_cbranch_execz .LBB4_6730
; %bb.6723:                             ;   in Loop: Header=BB4_5820 Depth=3
	v_bfe_u32 v43, v4, 23, 8
	v_or_b32_e32 v5, 0x800000, v2
	s_delay_alu instid0(VALU_DEP_2) | instskip(SKIP_2) | instid1(VALU_DEP_2)
	v_cmp_gt_u32_e64 s13, 0x72, v43
	v_sub_nc_u32_e32 v4, 0x71, v43
	v_cmp_eq_u32_e32 vcc_lo, 0, v43
	v_cndmask_b32_e64 v4, 0, v4, s13
	s_delay_alu instid0(VALU_DEP_1) | instskip(SKIP_1) | instid1(VALU_DEP_2)
	v_cndmask_b32_e64 v44, v4, 0x70, vcc_lo
	v_dual_cndmask_b32 v4, v5, v2 :: v_dual_mov_b32 v5, v3
	v_add_nc_u32_e32 v2, 21, v44
	s_delay_alu instid0(VALU_DEP_1) | instskip(SKIP_1) | instid1(VALU_DEP_1)
	v_lshlrev_b64_e64 v[16:17], v2, -1
	v_add_nc_u32_e32 v2, 20, v44
	v_lshlrev_b64_e64 v[46:47], v2, 1
	s_delay_alu instid0(VALU_DEP_3) | instskip(SKIP_2) | instid1(VALU_DEP_1)
	v_bfi_b32 v16, v16, 0, v4
	v_lshrrev_b64 v[4:5], v44, v[4:5]
	v_bfi_b32 v17, v17, 0, 0
	v_cmp_eq_u64_e64 s13, v[16:17], v[46:47]
	s_delay_alu instid0(VALU_DEP_3)
	v_mov_b64_e32 v[16:17], v[4:5]
	s_and_saveexec_b32 s73, s13
; %bb.6724:                             ;   in Loop: Header=BB4_5820 Depth=3
	v_bfe_u32 v16, v4, 21, 1
	v_mov_b32_e32 v17, v3
	s_delay_alu instid0(VALU_DEP_1) | instskip(NEXT) | instid1(VALU_DEP_1)
	v_add_nc_u64_e32 v[16:17], v[4:5], v[16:17]
	v_add_nc_u64_e32 v[16:17], -1, v[16:17]
; %bb.6725:                             ;   in Loop: Header=BB4_5820 Depth=3
	s_or_b32 exec_lo, exec_lo, s73
	v_add_nc_u32_e32 v2, 0xffffff81, v43
	v_lshrrev_b32_e32 v5, 23, v4
	s_mov_b32 s13, exec_lo
	s_delay_alu instid0(VALU_DEP_2) | instskip(NEXT) | instid1(VALU_DEP_1)
	v_cndmask_b32_e64 v2, v2, 0xffffff82, vcc_lo
	v_add3_u32 v17, v44, v2, v5
	v_and_b32_e32 v2, 0x1fffff, v16
                                        ; implicit-def: $vgpr16
	s_delay_alu instid0(VALU_DEP_1) | instskip(NEXT) | instid1(VALU_DEP_1)
	v_dual_add_nc_u32 v43, 14, v17 :: v_dual_add_nc_u32 v2, v2, v4
                                        ; implicit-def: $vgpr4_vgpr5
	v_cmpx_ne_u32_e32 0, v43
	s_xor_b32 s13, exec_lo, s13
; %bb.6726:                             ;   in Loop: Header=BB4_5820 Depth=3
	s_delay_alu instid0(VALU_DEP_2) | instskip(SKIP_1) | instid1(VALU_DEP_1)
	v_cmp_lt_u64_e32 vcc_lo, 0xffffff, v[2:3]
	v_add_nc_u32_e32 v4, 15, v17
	v_cndmask_b32_e32 v16, v43, v4, vcc_lo
	v_cndmask_b32_e64 v4, 0, 1, vcc_lo
	s_delay_alu instid0(VALU_DEP_1)
	v_lshrrev_b64 v[4:5], v4, v[2:3]
; %bb.6727:                             ;   in Loop: Header=BB4_5820 Depth=3
	s_and_not1_saveexec_b32 s13, s13
; %bb.6728:                             ;   in Loop: Header=BB4_5820 Depth=3
	v_mov_b64_e32 v[4:5], v[2:3]
	v_bfe_u32 v16, v2, 23, 1
; %bb.6729:                             ;   in Loop: Header=BB4_5820 Depth=3
	s_or_b32 exec_lo, exec_lo, s13
	s_delay_alu instid0(VALU_DEP_2) | instskip(NEXT) | instid1(VALU_DEP_2)
	v_lshrrev_b64 v[4:5], 21, v[4:5]
	v_cmp_gt_i32_e32 vcc_lo, 32, v16
	v_min_i32_e32 v2, 31, v16
	v_cmp_eq_u32_e64 s13, 0, v16
	s_delay_alu instid0(VALU_DEP_2) | instskip(SKIP_1) | instid1(VALU_DEP_2)
	v_dual_cndmask_b32 v5, 0, v5 :: v_dual_lshlrev_b32 v2, 2, v2
	v_cndmask_b32_e32 v4, 3, v4, vcc_lo
	v_and_b32_e32 v2, 0xfc, v2
	s_delay_alu instid0(VALU_DEP_2) | instskip(NEXT) | instid1(VALU_DEP_2)
	v_cmp_eq_u64_e32 vcc_lo, 0, v[4:5]
	v_and_or_b32 v2, v4, 3, v2
	s_and_b32 s13, s13, vcc_lo
	s_delay_alu instid0(VALU_DEP_1) | instid1(SALU_CYCLE_1)
	v_cndmask_b32_e64 v2, v2, 0, s13
	s_delay_alu instid0(VALU_DEP_1)
	v_or_b32_e32 v16, v2, v103
.LBB4_6730:                             ;   in Loop: Header=BB4_5820 Depth=3
	s_or_b32 exec_lo, exec_lo, s72
                                        ; implicit-def: $vgpr103
.LBB4_6731:                             ;   in Loop: Header=BB4_5820 Depth=3
	s_and_not1_saveexec_b32 s13, s43
; %bb.6732:                             ;   in Loop: Header=BB4_5820 Depth=3
	v_or_b32_e32 v16, 0x7b, v103
; %bb.6733:                             ;   in Loop: Header=BB4_5820 Depth=3
	s_or_b32 exec_lo, exec_lo, s13
                                        ; implicit-def: $vgpr4
                                        ; implicit-def: $vgpr5
.LBB4_6734:                             ;   in Loop: Header=BB4_5820 Depth=3
	s_and_not1_saveexec_b32 s13, s42
	s_cbranch_execz .LBB4_6740
; %bb.6735:                             ;   in Loop: Header=BB4_5820 Depth=3
	s_mov_b32 s42, exec_lo
                                        ; implicit-def: $vgpr16
	v_cmpx_ne_u64_e32 0, v[2:3]
	s_xor_b32 s42, exec_lo, s42
; %bb.6736:                             ;   in Loop: Header=BB4_5820 Depth=3
	v_or_b32_e32 v16, 0x7f, v5
                                        ; implicit-def: $vgpr4
; %bb.6737:                             ;   in Loop: Header=BB4_5820 Depth=3
	s_and_not1_saveexec_b32 s42, s42
; %bb.6738:                             ;   in Loop: Header=BB4_5820 Depth=3
	v_cmp_lt_i32_e32 vcc_lo, -1, v4
	v_cndmask_b32_e32 v16, 0xfc, v113, vcc_lo
; %bb.6739:                             ;   in Loop: Header=BB4_5820 Depth=3
	s_or_b32 exec_lo, exec_lo, s42
.LBB4_6740:                             ;   in Loop: Header=BB4_5820 Depth=3
	s_delay_alu instid0(SALU_CYCLE_1)
	s_or_b32 exec_lo, exec_lo, s13
	v_dual_mov_b32 v4, 0 :: v_dual_mov_b32 v5, 0
	s_mov_b32 s13, exec_lo
	v_cmpx_lt_u64_e64 s[22:23], v[12:13]
	s_cbranch_execz .LBB4_6750
; %bb.6741:                             ;   in Loop: Header=BB4_5820 Depth=3
	v_lshrrev_b32_e32 v2, 24, v13
	v_bfrev_b32_e32 v5, 1
	s_mov_b32 s42, exec_lo
	s_delay_alu instid0(VALU_DEP_2)
	v_cmpx_ne_u32_e32 0x80, v2
	s_cbranch_execz .LBB4_6749
; %bb.6742:                             ;   in Loop: Header=BB4_5820 Depth=3
	v_and_b32_e32 v5, 0x7c000000, v13
	v_bfe_u32 v17, v13, 24, 2
	s_delay_alu instid0(VALU_DEP_2) | instskip(SKIP_1) | instid1(SALU_CYCLE_1)
	v_cmp_ne_u32_e32 vcc_lo, 0x7c000000, v5
                                        ; implicit-def: $vgpr5
	s_and_saveexec_b32 s43, vcc_lo
	s_xor_b32 s43, exec_lo, s43
	s_cbranch_execz .LBB4_6746
; %bb.6743:                             ;   in Loop: Header=BB4_5820 Depth=3
	v_bfe_u32 v5, v13, 26, 5
	s_mov_b32 s72, exec_lo
	s_delay_alu instid0(VALU_DEP_1)
	v_cmpx_eq_u32_e32 0, v5
; %bb.6744:                             ;   in Loop: Header=BB4_5820 Depth=3
	v_clz_i32_u32_e32 v5, v17
	s_delay_alu instid0(VALU_DEP_1) | instskip(NEXT) | instid1(VALU_DEP_1)
	v_min_u32_e32 v5, 32, v5
	v_subrev_nc_u32_e32 v17, 29, v5
	s_delay_alu instid0(VALU_DEP_1) | instskip(NEXT) | instid1(VALU_DEP_1)
	v_lshlrev_b64_e32 v[44:45], v17, v[2:3]
	v_dual_sub_nc_u32 v5, 30, v5 :: v_dual_bitop2_b32 v17, 3, v44 bitop3:0x40
; %bb.6745:                             ;   in Loop: Header=BB4_5820 Depth=3
	s_or_b32 exec_lo, exec_lo, s72
	v_and_b32_e32 v2, 0x80000000, v13
	s_delay_alu instid0(VALU_DEP_1) | instskip(NEXT) | instid1(VALU_DEP_1)
	v_lshl_add_u32 v2, v5, 23, v2
	v_lshl_or_b32 v2, v17, 21, v2
                                        ; implicit-def: $vgpr17
	s_delay_alu instid0(VALU_DEP_1)
	v_add_nc_u32_e32 v5, 0x38000000, v2
.LBB4_6746:                             ;   in Loop: Header=BB4_5820 Depth=3
	s_and_not1_saveexec_b32 s43, s43
; %bb.6747:                             ;   in Loop: Header=BB4_5820 Depth=3
	v_cmp_lt_i64_e32 vcc_lo, -1, v[12:13]
	v_cndmask_b32_e32 v2, 0xff800000, v112, vcc_lo
	v_cmp_eq_u32_e32 vcc_lo, 0, v17
	s_delay_alu instid0(VALU_DEP_2)
	v_cndmask_b32_e32 v5, 0x7f800001, v2, vcc_lo
; %bb.6748:                             ;   in Loop: Header=BB4_5820 Depth=3
	s_or_b32 exec_lo, exec_lo, s43
.LBB4_6749:                             ;   in Loop: Header=BB4_5820 Depth=3
	s_delay_alu instid0(SALU_CYCLE_1)
	s_or_b32 exec_lo, exec_lo, s42
.LBB4_6750:                             ;   in Loop: Header=BB4_5820 Depth=3
	s_delay_alu instid0(SALU_CYCLE_1) | instskip(NEXT) | instid1(SALU_CYCLE_1)
	s_or_b32 exec_lo, exec_lo, s13
	s_mov_b32 s13, exec_lo
	v_cmpx_lt_u64_e64 s[22:23], v[8:9]
	s_cbranch_execz .LBB4_6760
; %bb.6751:                             ;   in Loop: Header=BB4_5820 Depth=3
	v_lshrrev_b32_e32 v2, 24, v9
	v_bfrev_b32_e32 v4, 1
	s_mov_b32 s42, exec_lo
	s_delay_alu instid0(VALU_DEP_2)
	v_cmpx_ne_u32_e32 0x80, v2
	s_cbranch_execz .LBB4_6759
; %bb.6752:                             ;   in Loop: Header=BB4_5820 Depth=3
	v_and_b32_e32 v4, 0x7c000000, v9
	v_bfe_u32 v12, v9, 24, 2
	s_delay_alu instid0(VALU_DEP_2) | instskip(SKIP_1) | instid1(SALU_CYCLE_1)
	v_cmp_ne_u32_e32 vcc_lo, 0x7c000000, v4
                                        ; implicit-def: $vgpr4
	s_and_saveexec_b32 s43, vcc_lo
	s_xor_b32 s43, exec_lo, s43
	s_cbranch_execz .LBB4_6756
; %bb.6753:                             ;   in Loop: Header=BB4_5820 Depth=3
	v_bfe_u32 v4, v9, 26, 5
	s_mov_b32 s72, exec_lo
	s_delay_alu instid0(VALU_DEP_1)
	v_cmpx_eq_u32_e32 0, v4
; %bb.6754:                             ;   in Loop: Header=BB4_5820 Depth=3
	v_clz_i32_u32_e32 v4, v12
	s_delay_alu instid0(VALU_DEP_1) | instskip(NEXT) | instid1(VALU_DEP_1)
	v_min_u32_e32 v4, 32, v4
	v_subrev_nc_u32_e32 v12, 29, v4
	v_sub_nc_u32_e32 v4, 30, v4
	s_delay_alu instid0(VALU_DEP_2) | instskip(NEXT) | instid1(VALU_DEP_1)
	v_lshlrev_b64_e32 v[12:13], v12, v[2:3]
	v_and_b32_e32 v12, 3, v12
; %bb.6755:                             ;   in Loop: Header=BB4_5820 Depth=3
	s_or_b32 exec_lo, exec_lo, s72
	v_and_b32_e32 v2, 0x80000000, v9
	s_delay_alu instid0(VALU_DEP_1) | instskip(NEXT) | instid1(VALU_DEP_1)
	v_lshl_add_u32 v2, v4, 23, v2
	v_lshl_or_b32 v2, v12, 21, v2
                                        ; implicit-def: $vgpr12
	s_delay_alu instid0(VALU_DEP_1)
	v_add_nc_u32_e32 v4, 0x38000000, v2
.LBB4_6756:                             ;   in Loop: Header=BB4_5820 Depth=3
	s_and_not1_saveexec_b32 s43, s43
; %bb.6757:                             ;   in Loop: Header=BB4_5820 Depth=3
	v_cmp_lt_i64_e32 vcc_lo, -1, v[8:9]
	v_cndmask_b32_e32 v2, 0xff800000, v112, vcc_lo
	v_cmp_eq_u32_e32 vcc_lo, 0, v12
	s_delay_alu instid0(VALU_DEP_2)
	v_cndmask_b32_e32 v4, 0x7f800001, v2, vcc_lo
; %bb.6758:                             ;   in Loop: Header=BB4_5820 Depth=3
	s_or_b32 exec_lo, exec_lo, s43
.LBB4_6759:                             ;   in Loop: Header=BB4_5820 Depth=3
	s_delay_alu instid0(SALU_CYCLE_1)
	s_or_b32 exec_lo, exec_lo, s42
.LBB4_6760:                             ;   in Loop: Header=BB4_5820 Depth=3
	s_delay_alu instid0(SALU_CYCLE_1) | instskip(NEXT) | instid1(VALU_DEP_1)
	s_or_b32 exec_lo, exec_lo, s13
	v_dual_mul_f32 v4, v5, v4 :: v_dual_mov_b32 v9, v3
                                        ; implicit-def: $vgpr12
	s_mov_b32 s13, exec_lo
	s_delay_alu instid0(VALU_DEP_1) | instskip(SKIP_2) | instid1(VALU_DEP_3)
	v_and_b32_e32 v8, 0x7f800000, v4
	v_and_b32_e32 v2, 0x7fffff, v4
	v_lshrrev_b32_e32 v5, 24, v4
	v_cmpx_ne_u64_e32 0x7f800000, v[8:9]
	s_xor_b32 s42, exec_lo, s13
	s_cbranch_execz .LBB4_6774
; %bb.6761:                             ;   in Loop: Header=BB4_5820 Depth=3
	v_and_b32_e32 v8, 0x7fffffff, v4
	v_mov_b32_e32 v9, v3
	v_and_b32_e32 v13, 0x80, v5
                                        ; implicit-def: $vgpr12
	s_mov_b32 s13, exec_lo
	s_delay_alu instid0(VALU_DEP_2)
	v_cmpx_gt_u64_e32 0x47600001, v[8:9]
	s_xor_b32 s43, exec_lo, s13
	s_cbranch_execz .LBB4_6771
; %bb.6762:                             ;   in Loop: Header=BB4_5820 Depth=3
	v_mov_b32_e32 v12, 0
	s_mov_b32 s72, exec_lo
	v_cmpx_ne_u32_e32 0, v4
	s_cbranch_execz .LBB4_6770
; %bb.6763:                             ;   in Loop: Header=BB4_5820 Depth=3
	v_bfe_u32 v12, v4, 23, 8
	v_or_b32_e32 v8, 0x800000, v2
	s_mov_b32 s73, exec_lo
	s_delay_alu instid0(VALU_DEP_2) | instskip(SKIP_1) | instid1(VALU_DEP_2)
	v_dual_mov_b32 v9, v3 :: v_dual_sub_nc_u32 v4, 0x71, v12
	v_cmp_gt_u32_e32 vcc_lo, 0x72, v12
	v_cndmask_b32_e32 v4, 0, v4, vcc_lo
	v_cmp_eq_u32_e32 vcc_lo, 0, v12
	s_delay_alu instid0(VALU_DEP_2) | instskip(NEXT) | instid1(VALU_DEP_1)
	v_cndmask_b32_e64 v17, v4, 0x70, vcc_lo
	v_dual_cndmask_b32 v8, v8, v2, vcc_lo :: v_dual_add_nc_u32 v4, 21, v17
	v_add_nc_u32_e32 v103, 20, v17
	s_delay_alu instid0(VALU_DEP_2) | instskip(NEXT) | instid1(VALU_DEP_2)
	v_lshlrev_b64_e64 v[4:5], v4, -1
	v_lshlrev_b64_e64 v[44:45], v103, 1
	s_delay_alu instid0(VALU_DEP_2) | instskip(NEXT) | instid1(VALU_DEP_3)
	v_bfi_b32 v47, v5, 0, 0
	v_bfi_b32 v46, v4, 0, v8
	v_lshrrev_b64 v[4:5], v17, v[8:9]
	s_delay_alu instid0(VALU_DEP_1) | instskip(NEXT) | instid1(VALU_DEP_3)
	v_mov_b64_e32 v[8:9], v[4:5]
	v_cmpx_eq_u64_e64 v[46:47], v[44:45]
; %bb.6764:                             ;   in Loop: Header=BB4_5820 Depth=3
	v_bfe_u32 v8, v4, 21, 1
	v_mov_b32_e32 v9, v3
	s_delay_alu instid0(VALU_DEP_1) | instskip(NEXT) | instid1(VALU_DEP_1)
	v_add_nc_u64_e32 v[8:9], v[4:5], v[8:9]
	v_add_nc_u64_e32 v[8:9], -1, v[8:9]
; %bb.6765:                             ;   in Loop: Header=BB4_5820 Depth=3
	s_or_b32 exec_lo, exec_lo, s73
	v_add_nc_u32_e32 v2, 0xffffff81, v12
	v_lshrrev_b32_e32 v5, 23, v4
	s_mov_b32 s13, exec_lo
	s_delay_alu instid0(VALU_DEP_2) | instskip(NEXT) | instid1(VALU_DEP_1)
	v_cndmask_b32_e64 v2, v2, 0xffffff82, vcc_lo
	v_add3_u32 v9, v17, v2, v5
	v_and_b32_e32 v2, 0x1fffff, v8
                                        ; implicit-def: $vgpr8
	s_delay_alu instid0(VALU_DEP_1) | instskip(NEXT) | instid1(VALU_DEP_1)
	v_dual_add_nc_u32 v12, 14, v9 :: v_dual_add_nc_u32 v2, v2, v4
                                        ; implicit-def: $vgpr4_vgpr5
	v_cmpx_ne_u32_e32 0, v12
	s_xor_b32 s13, exec_lo, s13
; %bb.6766:                             ;   in Loop: Header=BB4_5820 Depth=3
	s_delay_alu instid0(VALU_DEP_2) | instskip(SKIP_1) | instid1(VALU_DEP_1)
	v_cmp_lt_u64_e32 vcc_lo, 0xffffff, v[2:3]
	v_add_nc_u32_e32 v4, 15, v9
	v_cndmask_b32_e32 v8, v12, v4, vcc_lo
	v_cndmask_b32_e64 v4, 0, 1, vcc_lo
	s_delay_alu instid0(VALU_DEP_1)
	v_lshrrev_b64 v[4:5], v4, v[2:3]
; %bb.6767:                             ;   in Loop: Header=BB4_5820 Depth=3
	s_and_not1_saveexec_b32 s13, s13
; %bb.6768:                             ;   in Loop: Header=BB4_5820 Depth=3
	v_mov_b64_e32 v[4:5], v[2:3]
	v_bfe_u32 v8, v2, 23, 1
; %bb.6769:                             ;   in Loop: Header=BB4_5820 Depth=3
	s_or_b32 exec_lo, exec_lo, s13
	s_delay_alu instid0(VALU_DEP_2) | instskip(NEXT) | instid1(VALU_DEP_2)
	v_lshrrev_b64 v[4:5], 21, v[4:5]
	v_cmp_gt_i32_e32 vcc_lo, 32, v8
	v_min_i32_e32 v2, 31, v8
	v_cmp_eq_u32_e64 s13, 0, v8
	s_delay_alu instid0(VALU_DEP_2) | instskip(SKIP_1) | instid1(VALU_DEP_2)
	v_dual_cndmask_b32 v5, 0, v5 :: v_dual_lshlrev_b32 v2, 2, v2
	v_cndmask_b32_e32 v4, 3, v4, vcc_lo
	v_and_b32_e32 v2, 0xfc, v2
	s_delay_alu instid0(VALU_DEP_2) | instskip(NEXT) | instid1(VALU_DEP_2)
	v_cmp_eq_u64_e32 vcc_lo, 0, v[4:5]
	v_and_or_b32 v2, v4, 3, v2
	s_and_b32 s13, s13, vcc_lo
	s_delay_alu instid0(VALU_DEP_1) | instid1(SALU_CYCLE_1)
	v_cndmask_b32_e64 v2, v2, 0, s13
	s_delay_alu instid0(VALU_DEP_1)
	v_or_b32_e32 v12, v2, v13
.LBB4_6770:                             ;   in Loop: Header=BB4_5820 Depth=3
	s_or_b32 exec_lo, exec_lo, s72
                                        ; implicit-def: $vgpr13
.LBB4_6771:                             ;   in Loop: Header=BB4_5820 Depth=3
	s_and_not1_saveexec_b32 s13, s43
; %bb.6772:                             ;   in Loop: Header=BB4_5820 Depth=3
	v_or_b32_e32 v12, 0x7b, v13
; %bb.6773:                             ;   in Loop: Header=BB4_5820 Depth=3
	s_or_b32 exec_lo, exec_lo, s13
                                        ; implicit-def: $vgpr4
                                        ; implicit-def: $vgpr5
.LBB4_6774:                             ;   in Loop: Header=BB4_5820 Depth=3
	s_and_not1_saveexec_b32 s13, s42
	s_cbranch_execz .LBB4_6780
; %bb.6775:                             ;   in Loop: Header=BB4_5820 Depth=3
	s_mov_b32 s42, exec_lo
                                        ; implicit-def: $vgpr12
	v_cmpx_ne_u64_e32 0, v[2:3]
	s_xor_b32 s42, exec_lo, s42
; %bb.6776:                             ;   in Loop: Header=BB4_5820 Depth=3
	v_or_b32_e32 v12, 0x7f, v5
                                        ; implicit-def: $vgpr4
; %bb.6777:                             ;   in Loop: Header=BB4_5820 Depth=3
	s_and_not1_saveexec_b32 s42, s42
; %bb.6778:                             ;   in Loop: Header=BB4_5820 Depth=3
	v_cmp_lt_i32_e32 vcc_lo, -1, v4
	v_cndmask_b32_e32 v12, 0xfc, v113, vcc_lo
; %bb.6779:                             ;   in Loop: Header=BB4_5820 Depth=3
	s_or_b32 exec_lo, exec_lo, s42
.LBB4_6780:                             ;   in Loop: Header=BB4_5820 Depth=3
	s_delay_alu instid0(SALU_CYCLE_1) | instskip(SKIP_2) | instid1(VALU_DEP_2)
	s_or_b32 exec_lo, exec_lo, s13
	v_and_b32_e32 v4, 0xff, v14
	v_mov_b32_e32 v2, 0
	v_cmp_ne_u16_e32 vcc_lo, 0, v4
	v_mov_b32_e32 v4, 0
	s_and_saveexec_b32 s13, vcc_lo
	s_cbranch_execz .LBB4_6790
; %bb.6781:                             ;   in Loop: Header=BB4_5820 Depth=3
	v_bfe_i32 v8, v14, 0, 8
	v_bfrev_b32_e32 v4, 1
	s_mov_b32 s42, exec_lo
	s_delay_alu instid0(VALU_DEP_2)
	v_cmpx_ne_u16_e32 0xff80, v8
	s_cbranch_execz .LBB4_6789
; %bb.6782:                             ;   in Loop: Header=BB4_5820 Depth=3
	v_and_b32_e32 v4, 0x7c, v14
	v_and_b32_e32 v5, 3, v14
	s_delay_alu instid0(VALU_DEP_2) | instskip(SKIP_1) | instid1(SALU_CYCLE_1)
	v_cmp_ne_u32_e32 vcc_lo, 0x7c, v4
                                        ; implicit-def: $vgpr4
	s_and_saveexec_b32 s43, vcc_lo
	s_xor_b32 s43, exec_lo, s43
	s_cbranch_execz .LBB4_6786
; %bb.6783:                             ;   in Loop: Header=BB4_5820 Depth=3
	v_bfe_u32 v4, v14, 2, 5
	s_mov_b32 s72, exec_lo
	s_delay_alu instid0(VALU_DEP_1)
	v_cmpx_eq_u32_e32 0, v4
; %bb.6784:                             ;   in Loop: Header=BB4_5820 Depth=3
	v_clz_i32_u32_e32 v4, v5
	s_delay_alu instid0(VALU_DEP_1) | instskip(NEXT) | instid1(VALU_DEP_1)
	v_min_u32_e32 v4, 32, v4
	v_subrev_nc_u32_e32 v5, 29, v4
	v_sub_nc_u32_e32 v4, 30, v4
	s_delay_alu instid0(VALU_DEP_2) | instskip(NEXT) | instid1(VALU_DEP_1)
	v_lshlrev_b64_e32 v[8:9], v5, v[14:15]
	v_and_b32_e32 v5, 3, v8
; %bb.6785:                             ;   in Loop: Header=BB4_5820 Depth=3
	s_or_b32 exec_lo, exec_lo, s72
	v_lshlrev_b32_e32 v8, 24, v14
	s_delay_alu instid0(VALU_DEP_1) | instskip(NEXT) | instid1(VALU_DEP_1)
	v_and_b32_e32 v8, 0x80000000, v8
	v_lshl_add_u32 v4, v4, 23, v8
                                        ; implicit-def: $vgpr8
	s_delay_alu instid0(VALU_DEP_1) | instskip(NEXT) | instid1(VALU_DEP_1)
	v_lshl_or_b32 v4, v5, 21, v4
                                        ; implicit-def: $vgpr5
	v_add_nc_u32_e32 v4, 0x38000000, v4
.LBB4_6786:                             ;   in Loop: Header=BB4_5820 Depth=3
	s_and_not1_saveexec_b32 s43, s43
; %bb.6787:                             ;   in Loop: Header=BB4_5820 Depth=3
	v_cmp_lt_i16_e32 vcc_lo, -1, v8
	v_cndmask_b32_e32 v4, 0xff800000, v112, vcc_lo
	v_cmp_eq_u32_e32 vcc_lo, 0, v5
	s_delay_alu instid0(VALU_DEP_2)
	v_cndmask_b32_e32 v4, 0x7f800001, v4, vcc_lo
; %bb.6788:                             ;   in Loop: Header=BB4_5820 Depth=3
	s_or_b32 exec_lo, exec_lo, s43
.LBB4_6789:                             ;   in Loop: Header=BB4_5820 Depth=3
	s_delay_alu instid0(SALU_CYCLE_1)
	s_or_b32 exec_lo, exec_lo, s42
.LBB4_6790:                             ;   in Loop: Header=BB4_5820 Depth=3
	s_delay_alu instid0(SALU_CYCLE_1) | instskip(SKIP_2) | instid1(VALU_DEP_1)
	s_or_b32 exec_lo, exec_lo, s13
	v_and_b32_e32 v5, 0xff, v10
	s_mov_b32 s13, exec_lo
	v_cmpx_ne_u16_e32 0, v5
	s_cbranch_execz .LBB4_6800
; %bb.6791:                             ;   in Loop: Header=BB4_5820 Depth=3
	v_bfe_i32 v8, v10, 0, 8
	v_bfrev_b32_e32 v2, 1
	s_mov_b32 s42, exec_lo
	s_delay_alu instid0(VALU_DEP_2)
	v_cmpx_ne_u16_e32 0xff80, v8
	s_cbranch_execz .LBB4_6799
; %bb.6792:                             ;   in Loop: Header=BB4_5820 Depth=3
	v_and_b32_e32 v2, 0x7c, v10
	v_and_b32_e32 v5, 3, v10
	s_delay_alu instid0(VALU_DEP_2) | instskip(SKIP_1) | instid1(SALU_CYCLE_1)
	v_cmp_ne_u32_e32 vcc_lo, 0x7c, v2
                                        ; implicit-def: $vgpr2
	s_and_saveexec_b32 s43, vcc_lo
	s_xor_b32 s43, exec_lo, s43
	s_cbranch_execz .LBB4_6796
; %bb.6793:                             ;   in Loop: Header=BB4_5820 Depth=3
	v_bfe_u32 v2, v10, 2, 5
	s_mov_b32 s72, exec_lo
	s_delay_alu instid0(VALU_DEP_1)
	v_cmpx_eq_u32_e32 0, v2
; %bb.6794:                             ;   in Loop: Header=BB4_5820 Depth=3
	v_clz_i32_u32_e32 v2, v5
	s_delay_alu instid0(VALU_DEP_1) | instskip(NEXT) | instid1(VALU_DEP_1)
	v_min_u32_e32 v2, 32, v2
	v_subrev_nc_u32_e32 v5, 29, v2
	s_delay_alu instid0(VALU_DEP_1) | instskip(NEXT) | instid1(VALU_DEP_1)
	v_lshlrev_b64_e32 v[8:9], v5, v[10:11]
	v_dual_sub_nc_u32 v2, 30, v2 :: v_dual_bitop2_b32 v5, 3, v8 bitop3:0x40
; %bb.6795:                             ;   in Loop: Header=BB4_5820 Depth=3
	s_or_b32 exec_lo, exec_lo, s72
	v_lshlrev_b32_e32 v8, 24, v10
	s_delay_alu instid0(VALU_DEP_1) | instskip(NEXT) | instid1(VALU_DEP_1)
	v_and_b32_e32 v8, 0x80000000, v8
	v_lshl_add_u32 v2, v2, 23, v8
                                        ; implicit-def: $vgpr8
	s_delay_alu instid0(VALU_DEP_1) | instskip(NEXT) | instid1(VALU_DEP_1)
	v_lshl_or_b32 v2, v5, 21, v2
                                        ; implicit-def: $vgpr5
	v_add_nc_u32_e32 v2, 0x38000000, v2
.LBB4_6796:                             ;   in Loop: Header=BB4_5820 Depth=3
	s_and_not1_saveexec_b32 s43, s43
; %bb.6797:                             ;   in Loop: Header=BB4_5820 Depth=3
	v_cmp_lt_i16_e32 vcc_lo, -1, v8
	v_cndmask_b32_e32 v2, 0xff800000, v112, vcc_lo
	v_cmp_eq_u32_e32 vcc_lo, 0, v5
	s_delay_alu instid0(VALU_DEP_2)
	v_cndmask_b32_e32 v2, 0x7f800001, v2, vcc_lo
; %bb.6798:                             ;   in Loop: Header=BB4_5820 Depth=3
	s_or_b32 exec_lo, exec_lo, s43
.LBB4_6799:                             ;   in Loop: Header=BB4_5820 Depth=3
	s_delay_alu instid0(SALU_CYCLE_1)
	s_or_b32 exec_lo, exec_lo, s42
.LBB4_6800:                             ;   in Loop: Header=BB4_5820 Depth=3
	s_delay_alu instid0(SALU_CYCLE_1) | instskip(NEXT) | instid1(VALU_DEP_1)
	s_or_b32 exec_lo, exec_lo, s13
	v_dual_mul_f32 v4, v4, v2 :: v_dual_mov_b32 v9, v3
                                        ; implicit-def: $vgpr13
	s_mov_b32 s13, exec_lo
	s_delay_alu instid0(VALU_DEP_1) | instskip(SKIP_2) | instid1(VALU_DEP_3)
	v_and_b32_e32 v8, 0x7f800000, v4
	v_and_b32_e32 v2, 0x7fffff, v4
	v_lshrrev_b32_e32 v5, 24, v4
	v_cmpx_ne_u64_e32 0x7f800000, v[8:9]
	s_xor_b32 s42, exec_lo, s13
	s_cbranch_execz .LBB4_6814
; %bb.6801:                             ;   in Loop: Header=BB4_5820 Depth=3
	v_and_b32_e32 v8, 0x7fffffff, v4
	v_mov_b32_e32 v9, v3
	v_and_b32_e32 v17, 0x80, v5
                                        ; implicit-def: $vgpr13
	s_mov_b32 s13, exec_lo
	s_delay_alu instid0(VALU_DEP_2)
	v_cmpx_gt_u64_e32 0x47600001, v[8:9]
	s_xor_b32 s43, exec_lo, s13
	s_cbranch_execz .LBB4_6811
; %bb.6802:                             ;   in Loop: Header=BB4_5820 Depth=3
	v_mov_b32_e32 v13, 0
	s_mov_b32 s72, exec_lo
	v_cmpx_ne_u32_e32 0, v4
	s_cbranch_execz .LBB4_6810
; %bb.6803:                             ;   in Loop: Header=BB4_5820 Depth=3
	v_bfe_u32 v13, v4, 23, 8
	v_or_b32_e32 v5, 0x800000, v2
	s_delay_alu instid0(VALU_DEP_2) | instskip(SKIP_2) | instid1(VALU_DEP_2)
	v_cmp_gt_u32_e64 s13, 0x72, v13
	v_sub_nc_u32_e32 v4, 0x71, v13
	v_cmp_eq_u32_e32 vcc_lo, 0, v13
	v_cndmask_b32_e64 v4, 0, v4, s13
	s_delay_alu instid0(VALU_DEP_1) | instskip(SKIP_1) | instid1(VALU_DEP_2)
	v_cndmask_b32_e64 v103, v4, 0x70, vcc_lo
	v_dual_cndmask_b32 v4, v5, v2 :: v_dual_mov_b32 v5, v3
	v_add_nc_u32_e32 v2, 21, v103
	s_delay_alu instid0(VALU_DEP_1) | instskip(SKIP_1) | instid1(VALU_DEP_1)
	v_lshlrev_b64_e64 v[8:9], v2, -1
	v_add_nc_u32_e32 v2, 20, v103
	v_lshlrev_b64_e64 v[44:45], v2, 1
	s_delay_alu instid0(VALU_DEP_3) | instskip(SKIP_2) | instid1(VALU_DEP_1)
	v_bfi_b32 v8, v8, 0, v4
	v_lshrrev_b64 v[4:5], v103, v[4:5]
	v_bfi_b32 v9, v9, 0, 0
	v_cmp_eq_u64_e64 s13, v[8:9], v[44:45]
	s_delay_alu instid0(VALU_DEP_3)
	v_mov_b64_e32 v[8:9], v[4:5]
	s_and_saveexec_b32 s73, s13
; %bb.6804:                             ;   in Loop: Header=BB4_5820 Depth=3
	v_bfe_u32 v8, v4, 21, 1
	v_mov_b32_e32 v9, v3
	s_delay_alu instid0(VALU_DEP_1) | instskip(NEXT) | instid1(VALU_DEP_1)
	v_add_nc_u64_e32 v[8:9], v[4:5], v[8:9]
	v_add_nc_u64_e32 v[8:9], -1, v[8:9]
; %bb.6805:                             ;   in Loop: Header=BB4_5820 Depth=3
	s_or_b32 exec_lo, exec_lo, s73
	v_add_nc_u32_e32 v2, 0xffffff81, v13
	v_lshrrev_b32_e32 v5, 23, v4
	s_mov_b32 s13, exec_lo
	s_delay_alu instid0(VALU_DEP_2) | instskip(NEXT) | instid1(VALU_DEP_1)
	v_cndmask_b32_e64 v2, v2, 0xffffff82, vcc_lo
	v_add3_u32 v9, v103, v2, v5
	v_and_b32_e32 v2, 0x1fffff, v8
                                        ; implicit-def: $vgpr8
	s_delay_alu instid0(VALU_DEP_1) | instskip(NEXT) | instid1(VALU_DEP_1)
	v_dual_add_nc_u32 v13, 14, v9 :: v_dual_add_nc_u32 v2, v2, v4
                                        ; implicit-def: $vgpr4_vgpr5
	v_cmpx_ne_u32_e32 0, v13
	s_xor_b32 s13, exec_lo, s13
; %bb.6806:                             ;   in Loop: Header=BB4_5820 Depth=3
	s_delay_alu instid0(VALU_DEP_2) | instskip(SKIP_1) | instid1(VALU_DEP_1)
	v_cmp_lt_u64_e32 vcc_lo, 0xffffff, v[2:3]
	v_add_nc_u32_e32 v4, 15, v9
	v_cndmask_b32_e32 v8, v13, v4, vcc_lo
	v_cndmask_b32_e64 v4, 0, 1, vcc_lo
	s_delay_alu instid0(VALU_DEP_1)
	v_lshrrev_b64 v[4:5], v4, v[2:3]
; %bb.6807:                             ;   in Loop: Header=BB4_5820 Depth=3
	s_and_not1_saveexec_b32 s13, s13
; %bb.6808:                             ;   in Loop: Header=BB4_5820 Depth=3
	v_mov_b64_e32 v[4:5], v[2:3]
	v_bfe_u32 v8, v2, 23, 1
; %bb.6809:                             ;   in Loop: Header=BB4_5820 Depth=3
	s_or_b32 exec_lo, exec_lo, s13
	s_delay_alu instid0(VALU_DEP_2) | instskip(NEXT) | instid1(VALU_DEP_2)
	v_lshrrev_b64 v[4:5], 21, v[4:5]
	v_cmp_gt_i32_e32 vcc_lo, 32, v8
	v_min_i32_e32 v2, 31, v8
	v_cmp_eq_u32_e64 s13, 0, v8
	s_delay_alu instid0(VALU_DEP_2) | instskip(SKIP_1) | instid1(VALU_DEP_2)
	v_dual_cndmask_b32 v5, 0, v5 :: v_dual_lshlrev_b32 v2, 2, v2
	v_cndmask_b32_e32 v4, 3, v4, vcc_lo
	v_and_b32_e32 v2, 0xfc, v2
	s_delay_alu instid0(VALU_DEP_2) | instskip(NEXT) | instid1(VALU_DEP_2)
	v_cmp_eq_u64_e32 vcc_lo, 0, v[4:5]
	v_and_or_b32 v2, v4, 3, v2
	s_and_b32 s13, s13, vcc_lo
	s_delay_alu instid0(VALU_DEP_1) | instid1(SALU_CYCLE_1)
	v_cndmask_b32_e64 v2, v2, 0, s13
	s_delay_alu instid0(VALU_DEP_1)
	v_or_b32_e32 v13, v2, v17
.LBB4_6810:                             ;   in Loop: Header=BB4_5820 Depth=3
	s_or_b32 exec_lo, exec_lo, s72
                                        ; implicit-def: $vgpr17
.LBB4_6811:                             ;   in Loop: Header=BB4_5820 Depth=3
	s_and_not1_saveexec_b32 s13, s43
; %bb.6812:                             ;   in Loop: Header=BB4_5820 Depth=3
	v_or_b32_e32 v13, 0x7b, v17
; %bb.6813:                             ;   in Loop: Header=BB4_5820 Depth=3
	s_or_b32 exec_lo, exec_lo, s13
                                        ; implicit-def: $vgpr4
                                        ; implicit-def: $vgpr5
.LBB4_6814:                             ;   in Loop: Header=BB4_5820 Depth=3
	s_and_not1_saveexec_b32 s13, s42
	s_cbranch_execz .LBB4_6820
; %bb.6815:                             ;   in Loop: Header=BB4_5820 Depth=3
	s_mov_b32 s42, exec_lo
                                        ; implicit-def: $vgpr13
	v_cmpx_ne_u64_e32 0, v[2:3]
	s_xor_b32 s42, exec_lo, s42
; %bb.6816:                             ;   in Loop: Header=BB4_5820 Depth=3
	v_or_b32_e32 v13, 0x7f, v5
                                        ; implicit-def: $vgpr4
; %bb.6817:                             ;   in Loop: Header=BB4_5820 Depth=3
	s_and_not1_saveexec_b32 s42, s42
; %bb.6818:                             ;   in Loop: Header=BB4_5820 Depth=3
	v_cmp_lt_i32_e32 vcc_lo, -1, v4
	v_cndmask_b32_e32 v13, 0xfc, v113, vcc_lo
; %bb.6819:                             ;   in Loop: Header=BB4_5820 Depth=3
	s_or_b32 exec_lo, exec_lo, s42
.LBB4_6820:                             ;   in Loop: Header=BB4_5820 Depth=3
	s_delay_alu instid0(SALU_CYCLE_1) | instskip(SKIP_3) | instid1(VALU_DEP_2)
	s_or_b32 exec_lo, exec_lo, s13
	v_lshrrev_b16 v4, 8, v14
	v_dual_mov_b32 v2, 0 :: v_dual_mov_b32 v8, 0
	s_mov_b32 s13, exec_lo
	v_cmpx_ne_u16_e32 0, v4
	s_cbranch_execz .LBB4_6830
; %bb.6821:                             ;   in Loop: Header=BB4_5820 Depth=3
	v_bfrev_b32_e32 v8, 1
	s_mov_b32 s42, exec_lo
	v_cmpx_ne_u16_e32 0x80, v4
	s_cbranch_execz .LBB4_6829
; %bb.6822:                             ;   in Loop: Header=BB4_5820 Depth=3
	v_and_b32_e32 v9, 0xffff, v4
	s_delay_alu instid0(VALU_DEP_1) | instskip(SKIP_1) | instid1(VALU_DEP_2)
	v_and_b32_e32 v8, 0x7c, v9
	v_and_b32_e32 v5, 3, v9
	v_cmp_ne_u32_e32 vcc_lo, 0x7c, v8
                                        ; implicit-def: $vgpr8
	s_and_saveexec_b32 s43, vcc_lo
	s_delay_alu instid0(SALU_CYCLE_1)
	s_xor_b32 s43, exec_lo, s43
	s_cbranch_execz .LBB4_6826
; %bb.6823:                             ;   in Loop: Header=BB4_5820 Depth=3
	v_bfe_u32 v8, v9, 2, 5
	s_mov_b32 s72, exec_lo
	s_delay_alu instid0(VALU_DEP_1)
	v_cmpx_eq_u32_e32 0, v8
	s_cbranch_execz .LBB4_6825
; %bb.6824:                             ;   in Loop: Header=BB4_5820 Depth=3
	v_clz_i32_u32_e32 v5, v5
	s_delay_alu instid0(VALU_DEP_1) | instskip(SKIP_1) | instid1(VALU_DEP_2)
	v_min_u32_e32 v8, 32, v5
	v_mov_b32_e32 v5, v3
	v_subrev_nc_u32_e32 v9, 29, v8
	v_sub_nc_u32_e32 v8, 30, v8
	s_delay_alu instid0(VALU_DEP_2) | instskip(NEXT) | instid1(VALU_DEP_1)
	v_lshlrev_b64_e32 v[4:5], v9, v[4:5]
	v_and_b32_e32 v5, 3, v4
.LBB4_6825:                             ;   in Loop: Header=BB4_5820 Depth=3
	s_or_b32 exec_lo, exec_lo, s72
	v_lshlrev_b32_e32 v4, 16, v14
	s_delay_alu instid0(VALU_DEP_1) | instskip(NEXT) | instid1(VALU_DEP_1)
	v_and_b32_e32 v4, 0x80000000, v4
	v_lshl_add_u32 v4, v8, 23, v4
	s_delay_alu instid0(VALU_DEP_1) | instskip(NEXT) | instid1(VALU_DEP_1)
	v_lshl_or_b32 v4, v5, 21, v4
                                        ; implicit-def: $vgpr5
	v_add_nc_u32_e32 v8, 0x38000000, v4
.LBB4_6826:                             ;   in Loop: Header=BB4_5820 Depth=3
	s_and_not1_saveexec_b32 s43, s43
; %bb.6827:                             ;   in Loop: Header=BB4_5820 Depth=3
	v_cmp_lt_i16_e32 vcc_lo, -1, v14
	v_cndmask_b32_e32 v4, 0xff800000, v112, vcc_lo
	v_cmp_eq_u32_e32 vcc_lo, 0, v5
	s_delay_alu instid0(VALU_DEP_2)
	v_cndmask_b32_e32 v8, 0x7f800001, v4, vcc_lo
; %bb.6828:                             ;   in Loop: Header=BB4_5820 Depth=3
	s_or_b32 exec_lo, exec_lo, s43
.LBB4_6829:                             ;   in Loop: Header=BB4_5820 Depth=3
	s_delay_alu instid0(SALU_CYCLE_1)
	s_or_b32 exec_lo, exec_lo, s42
.LBB4_6830:                             ;   in Loop: Header=BB4_5820 Depth=3
	s_delay_alu instid0(SALU_CYCLE_1) | instskip(SKIP_2) | instid1(VALU_DEP_1)
	s_or_b32 exec_lo, exec_lo, s13
	v_lshrrev_b16 v4, 8, v10
	s_mov_b32 s13, exec_lo
	v_cmpx_ne_u16_e32 0, v4
	s_cbranch_execz .LBB4_6840
; %bb.6831:                             ;   in Loop: Header=BB4_5820 Depth=3
	v_bfrev_b32_e32 v2, 1
	s_mov_b32 s42, exec_lo
	v_cmpx_ne_u16_e32 0x80, v4
	s_cbranch_execz .LBB4_6839
; %bb.6832:                             ;   in Loop: Header=BB4_5820 Depth=3
	v_and_b32_e32 v9, 0xffff, v4
	s_delay_alu instid0(VALU_DEP_1) | instskip(SKIP_1) | instid1(VALU_DEP_2)
	v_and_b32_e32 v2, 0x7c, v9
	v_and_b32_e32 v5, 3, v9
	v_cmp_ne_u32_e32 vcc_lo, 0x7c, v2
                                        ; implicit-def: $vgpr2
	s_and_saveexec_b32 s43, vcc_lo
	s_delay_alu instid0(SALU_CYCLE_1)
	s_xor_b32 s43, exec_lo, s43
	s_cbranch_execz .LBB4_6836
; %bb.6833:                             ;   in Loop: Header=BB4_5820 Depth=3
	v_bfe_u32 v2, v9, 2, 5
	s_mov_b32 s72, exec_lo
	s_delay_alu instid0(VALU_DEP_1)
	v_cmpx_eq_u32_e32 0, v2
	s_cbranch_execz .LBB4_6835
; %bb.6834:                             ;   in Loop: Header=BB4_5820 Depth=3
	v_clz_i32_u32_e32 v2, v5
	s_delay_alu instid0(VALU_DEP_1) | instskip(SKIP_1) | instid1(VALU_DEP_2)
	v_min_u32_e32 v2, 32, v2
	v_mov_b32_e32 v5, v3
	v_subrev_nc_u32_e32 v9, 29, v2
	v_sub_nc_u32_e32 v2, 30, v2
	s_delay_alu instid0(VALU_DEP_2) | instskip(NEXT) | instid1(VALU_DEP_1)
	v_lshlrev_b64_e32 v[4:5], v9, v[4:5]
	v_and_b32_e32 v5, 3, v4
.LBB4_6835:                             ;   in Loop: Header=BB4_5820 Depth=3
	s_or_b32 exec_lo, exec_lo, s72
	v_lshlrev_b32_e32 v4, 16, v10
	s_delay_alu instid0(VALU_DEP_1) | instskip(NEXT) | instid1(VALU_DEP_1)
	v_and_b32_e32 v4, 0x80000000, v4
	v_lshl_add_u32 v2, v2, 23, v4
	s_delay_alu instid0(VALU_DEP_1) | instskip(NEXT) | instid1(VALU_DEP_1)
	v_lshl_or_b32 v2, v5, 21, v2
                                        ; implicit-def: $vgpr5
	v_add_nc_u32_e32 v2, 0x38000000, v2
.LBB4_6836:                             ;   in Loop: Header=BB4_5820 Depth=3
	s_and_not1_saveexec_b32 s43, s43
; %bb.6837:                             ;   in Loop: Header=BB4_5820 Depth=3
	v_cmp_lt_i16_e32 vcc_lo, -1, v10
	v_cndmask_b32_e32 v2, 0xff800000, v112, vcc_lo
	v_cmp_eq_u32_e32 vcc_lo, 0, v5
	s_delay_alu instid0(VALU_DEP_2)
	v_cndmask_b32_e32 v2, 0x7f800001, v2, vcc_lo
; %bb.6838:                             ;   in Loop: Header=BB4_5820 Depth=3
	s_or_b32 exec_lo, exec_lo, s43
.LBB4_6839:                             ;   in Loop: Header=BB4_5820 Depth=3
	s_delay_alu instid0(SALU_CYCLE_1)
	s_or_b32 exec_lo, exec_lo, s42
.LBB4_6840:                             ;   in Loop: Header=BB4_5820 Depth=3
	s_delay_alu instid0(SALU_CYCLE_1) | instskip(NEXT) | instid1(VALU_DEP_1)
	s_or_b32 exec_lo, exec_lo, s13
	v_dual_mul_f32 v4, v8, v2 :: v_dual_mov_b32 v9, v3
                                        ; implicit-def: $vgpr17
	s_mov_b32 s13, exec_lo
	s_delay_alu instid0(VALU_DEP_1) | instskip(SKIP_2) | instid1(VALU_DEP_3)
	v_and_b32_e32 v8, 0x7f800000, v4
	v_and_b32_e32 v2, 0x7fffff, v4
	v_lshrrev_b32_e32 v5, 24, v4
	v_cmpx_ne_u64_e32 0x7f800000, v[8:9]
	s_xor_b32 s42, exec_lo, s13
	s_cbranch_execz .LBB4_6854
; %bb.6841:                             ;   in Loop: Header=BB4_5820 Depth=3
	v_and_b32_e32 v8, 0x7fffffff, v4
	v_mov_b32_e32 v9, v3
	v_and_b32_e32 v103, 0x80, v5
                                        ; implicit-def: $vgpr17
	s_mov_b32 s13, exec_lo
	s_delay_alu instid0(VALU_DEP_2)
	v_cmpx_gt_u64_e32 0x47600001, v[8:9]
	s_xor_b32 s43, exec_lo, s13
	s_cbranch_execz .LBB4_6851
; %bb.6842:                             ;   in Loop: Header=BB4_5820 Depth=3
	v_mov_b32_e32 v17, 0
	s_mov_b32 s72, exec_lo
	v_cmpx_ne_u32_e32 0, v4
	s_cbranch_execz .LBB4_6850
; %bb.6843:                             ;   in Loop: Header=BB4_5820 Depth=3
	v_bfe_u32 v17, v4, 23, 8
	v_or_b32_e32 v5, 0x800000, v2
	s_delay_alu instid0(VALU_DEP_2) | instskip(SKIP_2) | instid1(VALU_DEP_2)
	v_cmp_gt_u32_e64 s13, 0x72, v17
	v_sub_nc_u32_e32 v4, 0x71, v17
	v_cmp_eq_u32_e32 vcc_lo, 0, v17
	v_cndmask_b32_e64 v4, 0, v4, s13
	s_delay_alu instid0(VALU_DEP_1) | instskip(SKIP_1) | instid1(VALU_DEP_2)
	v_cndmask_b32_e64 v43, v4, 0x70, vcc_lo
	v_dual_cndmask_b32 v4, v5, v2 :: v_dual_mov_b32 v5, v3
	v_add_nc_u32_e32 v2, 21, v43
	s_delay_alu instid0(VALU_DEP_1) | instskip(SKIP_1) | instid1(VALU_DEP_1)
	v_lshlrev_b64_e64 v[8:9], v2, -1
	v_add_nc_u32_e32 v2, 20, v43
	v_lshlrev_b64_e64 v[44:45], v2, 1
	s_delay_alu instid0(VALU_DEP_3) | instskip(SKIP_2) | instid1(VALU_DEP_1)
	v_bfi_b32 v8, v8, 0, v4
	v_lshrrev_b64 v[4:5], v43, v[4:5]
	v_bfi_b32 v9, v9, 0, 0
	v_cmp_eq_u64_e64 s13, v[8:9], v[44:45]
	s_delay_alu instid0(VALU_DEP_3)
	v_mov_b64_e32 v[8:9], v[4:5]
	s_and_saveexec_b32 s73, s13
; %bb.6844:                             ;   in Loop: Header=BB4_5820 Depth=3
	v_bfe_u32 v8, v4, 21, 1
	v_mov_b32_e32 v9, v3
	s_delay_alu instid0(VALU_DEP_1) | instskip(NEXT) | instid1(VALU_DEP_1)
	v_add_nc_u64_e32 v[8:9], v[4:5], v[8:9]
	v_add_nc_u64_e32 v[8:9], -1, v[8:9]
; %bb.6845:                             ;   in Loop: Header=BB4_5820 Depth=3
	s_or_b32 exec_lo, exec_lo, s73
	v_add_nc_u32_e32 v2, 0xffffff81, v17
	v_lshrrev_b32_e32 v5, 23, v4
	s_mov_b32 s13, exec_lo
	s_delay_alu instid0(VALU_DEP_2) | instskip(NEXT) | instid1(VALU_DEP_1)
	v_cndmask_b32_e64 v2, v2, 0xffffff82, vcc_lo
	v_add3_u32 v9, v43, v2, v5
	v_and_b32_e32 v2, 0x1fffff, v8
                                        ; implicit-def: $vgpr8
	s_delay_alu instid0(VALU_DEP_1) | instskip(NEXT) | instid1(VALU_DEP_1)
	v_dual_add_nc_u32 v17, 14, v9 :: v_dual_add_nc_u32 v2, v2, v4
                                        ; implicit-def: $vgpr4_vgpr5
	v_cmpx_ne_u32_e32 0, v17
	s_xor_b32 s13, exec_lo, s13
; %bb.6846:                             ;   in Loop: Header=BB4_5820 Depth=3
	s_delay_alu instid0(VALU_DEP_2) | instskip(SKIP_1) | instid1(VALU_DEP_1)
	v_cmp_lt_u64_e32 vcc_lo, 0xffffff, v[2:3]
	v_add_nc_u32_e32 v4, 15, v9
	v_cndmask_b32_e32 v8, v17, v4, vcc_lo
	v_cndmask_b32_e64 v4, 0, 1, vcc_lo
	s_delay_alu instid0(VALU_DEP_1)
	v_lshrrev_b64 v[4:5], v4, v[2:3]
; %bb.6847:                             ;   in Loop: Header=BB4_5820 Depth=3
	s_and_not1_saveexec_b32 s13, s13
; %bb.6848:                             ;   in Loop: Header=BB4_5820 Depth=3
	v_mov_b64_e32 v[4:5], v[2:3]
	v_bfe_u32 v8, v2, 23, 1
; %bb.6849:                             ;   in Loop: Header=BB4_5820 Depth=3
	s_or_b32 exec_lo, exec_lo, s13
	s_delay_alu instid0(VALU_DEP_2) | instskip(NEXT) | instid1(VALU_DEP_2)
	v_lshrrev_b64 v[4:5], 21, v[4:5]
	v_cmp_gt_i32_e32 vcc_lo, 32, v8
	v_min_i32_e32 v2, 31, v8
	v_cmp_eq_u32_e64 s13, 0, v8
	s_delay_alu instid0(VALU_DEP_2) | instskip(SKIP_1) | instid1(VALU_DEP_2)
	v_dual_cndmask_b32 v5, 0, v5 :: v_dual_lshlrev_b32 v2, 2, v2
	v_cndmask_b32_e32 v4, 3, v4, vcc_lo
	v_and_b32_e32 v2, 0xfc, v2
	s_delay_alu instid0(VALU_DEP_2) | instskip(NEXT) | instid1(VALU_DEP_2)
	v_cmp_eq_u64_e32 vcc_lo, 0, v[4:5]
	v_and_or_b32 v2, v4, 3, v2
	s_and_b32 s13, s13, vcc_lo
	s_delay_alu instid0(VALU_DEP_1) | instid1(SALU_CYCLE_1)
	v_cndmask_b32_e64 v2, v2, 0, s13
	s_delay_alu instid0(VALU_DEP_1)
	v_or_b32_e32 v17, v2, v103
.LBB4_6850:                             ;   in Loop: Header=BB4_5820 Depth=3
	s_or_b32 exec_lo, exec_lo, s72
                                        ; implicit-def: $vgpr103
.LBB4_6851:                             ;   in Loop: Header=BB4_5820 Depth=3
	s_and_not1_saveexec_b32 s13, s43
; %bb.6852:                             ;   in Loop: Header=BB4_5820 Depth=3
	v_or_b32_e32 v17, 0x7b, v103
; %bb.6853:                             ;   in Loop: Header=BB4_5820 Depth=3
	s_or_b32 exec_lo, exec_lo, s13
                                        ; implicit-def: $vgpr4
                                        ; implicit-def: $vgpr5
.LBB4_6854:                             ;   in Loop: Header=BB4_5820 Depth=3
	s_and_not1_saveexec_b32 s13, s42
	s_cbranch_execz .LBB4_6860
; %bb.6855:                             ;   in Loop: Header=BB4_5820 Depth=3
	s_mov_b32 s42, exec_lo
                                        ; implicit-def: $vgpr17
	v_cmpx_ne_u64_e32 0, v[2:3]
	s_xor_b32 s42, exec_lo, s42
; %bb.6856:                             ;   in Loop: Header=BB4_5820 Depth=3
	v_or_b32_e32 v17, 0x7f, v5
                                        ; implicit-def: $vgpr4
; %bb.6857:                             ;   in Loop: Header=BB4_5820 Depth=3
	s_and_not1_saveexec_b32 s42, s42
; %bb.6858:                             ;   in Loop: Header=BB4_5820 Depth=3
	v_cmp_lt_i32_e32 vcc_lo, -1, v4
	v_cndmask_b32_e32 v17, 0xfc, v113, vcc_lo
; %bb.6859:                             ;   in Loop: Header=BB4_5820 Depth=3
	s_or_b32 exec_lo, exec_lo, s42
.LBB4_6860:                             ;   in Loop: Header=BB4_5820 Depth=3
	s_delay_alu instid0(SALU_CYCLE_1) | instskip(SKIP_3) | instid1(VALU_DEP_2)
	s_or_b32 exec_lo, exec_lo, s13
	v_dual_lshrrev_b32 v2, 16, v14 :: v_dual_mov_b32 v4, 0
	v_mov_b32_e32 v5, 0
	s_mov_b32 s13, exec_lo
	v_and_b32_e32 v8, 0xff, v2
	s_delay_alu instid0(VALU_DEP_1)
	v_cmpx_ne_u16_e32 0, v8
	s_cbranch_execz .LBB4_6870
; %bb.6861:                             ;   in Loop: Header=BB4_5820 Depth=3
	v_bfrev_b32_e32 v5, 1
	s_mov_b32 s42, exec_lo
	v_cmpx_ne_u16_e32 0x80, v8
	s_cbranch_execz .LBB4_6869
; %bb.6862:                             ;   in Loop: Header=BB4_5820 Depth=3
	v_and_b32_e32 v5, 0x7c0000, v14
	v_bfe_u32 v8, v14, 16, 2
	s_delay_alu instid0(VALU_DEP_2) | instskip(SKIP_1) | instid1(SALU_CYCLE_1)
	v_cmp_ne_u32_e32 vcc_lo, 0x7c0000, v5
                                        ; implicit-def: $vgpr5
	s_and_saveexec_b32 s43, vcc_lo
	s_xor_b32 s43, exec_lo, s43
	s_cbranch_execz .LBB4_6866
; %bb.6863:                             ;   in Loop: Header=BB4_5820 Depth=3
	v_bfe_u32 v5, v14, 18, 5
	s_mov_b32 s72, exec_lo
	s_delay_alu instid0(VALU_DEP_1)
	v_cmpx_eq_u32_e32 0, v5
; %bb.6864:                             ;   in Loop: Header=BB4_5820 Depth=3
	v_clz_i32_u32_e32 v5, v8
	s_delay_alu instid0(VALU_DEP_1) | instskip(NEXT) | instid1(VALU_DEP_1)
	v_min_u32_e32 v5, 32, v5
	v_subrev_nc_u32_e32 v8, 29, v5
	s_delay_alu instid0(VALU_DEP_1) | instskip(NEXT) | instid1(VALU_DEP_1)
	v_lshlrev_b64_e32 v[8:9], v8, v[2:3]
	v_dual_sub_nc_u32 v5, 30, v5 :: v_dual_bitop2_b32 v8, 3, v8 bitop3:0x40
; %bb.6865:                             ;   in Loop: Header=BB4_5820 Depth=3
	s_or_b32 exec_lo, exec_lo, s72
	v_lshlrev_b32_e32 v2, 24, v2
	s_delay_alu instid0(VALU_DEP_1) | instskip(NEXT) | instid1(VALU_DEP_1)
	v_and_b32_e32 v2, 0x80000000, v2
	v_lshl_add_u32 v2, v5, 23, v2
	s_delay_alu instid0(VALU_DEP_1) | instskip(NEXT) | instid1(VALU_DEP_1)
	v_lshl_or_b32 v2, v8, 21, v2
                                        ; implicit-def: $vgpr8
	v_add_nc_u32_e32 v5, 0x38000000, v2
                                        ; implicit-def: $vgpr2
.LBB4_6866:                             ;   in Loop: Header=BB4_5820 Depth=3
	s_and_not1_saveexec_b32 s43, s43
; %bb.6867:                             ;   in Loop: Header=BB4_5820 Depth=3
	v_bfe_i32 v2, v2, 0, 8
	s_delay_alu instid0(VALU_DEP_1) | instskip(SKIP_2) | instid1(VALU_DEP_2)
	v_cmp_lt_i16_e32 vcc_lo, -1, v2
	v_cndmask_b32_e32 v2, 0xff800000, v112, vcc_lo
	v_cmp_eq_u32_e32 vcc_lo, 0, v8
	v_cndmask_b32_e32 v5, 0x7f800001, v2, vcc_lo
; %bb.6868:                             ;   in Loop: Header=BB4_5820 Depth=3
	s_or_b32 exec_lo, exec_lo, s43
.LBB4_6869:                             ;   in Loop: Header=BB4_5820 Depth=3
	s_delay_alu instid0(SALU_CYCLE_1)
	s_or_b32 exec_lo, exec_lo, s42
.LBB4_6870:                             ;   in Loop: Header=BB4_5820 Depth=3
	s_delay_alu instid0(SALU_CYCLE_1) | instskip(SKIP_2) | instid1(VALU_DEP_1)
	s_or_b32 exec_lo, exec_lo, s13
	v_lshrrev_b32_e32 v2, 16, v10
	s_mov_b32 s13, exec_lo
	v_and_b32_e32 v8, 0xff, v2
	s_delay_alu instid0(VALU_DEP_1)
	v_cmpx_ne_u16_e32 0, v8
	s_cbranch_execz .LBB4_6880
; %bb.6871:                             ;   in Loop: Header=BB4_5820 Depth=3
	v_bfrev_b32_e32 v4, 1
	s_mov_b32 s42, exec_lo
	v_cmpx_ne_u16_e32 0x80, v8
	s_cbranch_execz .LBB4_6879
; %bb.6872:                             ;   in Loop: Header=BB4_5820 Depth=3
	v_and_b32_e32 v4, 0x7c0000, v10
	v_bfe_u32 v8, v10, 16, 2
	s_delay_alu instid0(VALU_DEP_2) | instskip(SKIP_1) | instid1(SALU_CYCLE_1)
	v_cmp_ne_u32_e32 vcc_lo, 0x7c0000, v4
                                        ; implicit-def: $vgpr4
	s_and_saveexec_b32 s43, vcc_lo
	s_xor_b32 s43, exec_lo, s43
	s_cbranch_execz .LBB4_6876
; %bb.6873:                             ;   in Loop: Header=BB4_5820 Depth=3
	v_bfe_u32 v4, v10, 18, 5
	s_mov_b32 s72, exec_lo
	s_delay_alu instid0(VALU_DEP_1)
	v_cmpx_eq_u32_e32 0, v4
; %bb.6874:                             ;   in Loop: Header=BB4_5820 Depth=3
	v_clz_i32_u32_e32 v4, v8
	s_delay_alu instid0(VALU_DEP_1) | instskip(NEXT) | instid1(VALU_DEP_1)
	v_min_u32_e32 v4, 32, v4
	v_subrev_nc_u32_e32 v8, 29, v4
	v_sub_nc_u32_e32 v4, 30, v4
	s_delay_alu instid0(VALU_DEP_2) | instskip(NEXT) | instid1(VALU_DEP_1)
	v_lshlrev_b64_e32 v[8:9], v8, v[2:3]
	v_and_b32_e32 v8, 3, v8
; %bb.6875:                             ;   in Loop: Header=BB4_5820 Depth=3
	s_or_b32 exec_lo, exec_lo, s72
	v_lshlrev_b32_e32 v2, 24, v2
	s_delay_alu instid0(VALU_DEP_1) | instskip(NEXT) | instid1(VALU_DEP_1)
	v_and_b32_e32 v2, 0x80000000, v2
	v_lshl_add_u32 v2, v4, 23, v2
	s_delay_alu instid0(VALU_DEP_1) | instskip(NEXT) | instid1(VALU_DEP_1)
	v_lshl_or_b32 v2, v8, 21, v2
                                        ; implicit-def: $vgpr8
	v_add_nc_u32_e32 v4, 0x38000000, v2
                                        ; implicit-def: $vgpr2
.LBB4_6876:                             ;   in Loop: Header=BB4_5820 Depth=3
	s_and_not1_saveexec_b32 s43, s43
; %bb.6877:                             ;   in Loop: Header=BB4_5820 Depth=3
	v_bfe_i32 v2, v2, 0, 8
	s_delay_alu instid0(VALU_DEP_1) | instskip(SKIP_2) | instid1(VALU_DEP_2)
	v_cmp_lt_i16_e32 vcc_lo, -1, v2
	v_cndmask_b32_e32 v2, 0xff800000, v112, vcc_lo
	v_cmp_eq_u32_e32 vcc_lo, 0, v8
	v_cndmask_b32_e32 v4, 0x7f800001, v2, vcc_lo
; %bb.6878:                             ;   in Loop: Header=BB4_5820 Depth=3
	s_or_b32 exec_lo, exec_lo, s43
.LBB4_6879:                             ;   in Loop: Header=BB4_5820 Depth=3
	s_delay_alu instid0(SALU_CYCLE_1)
	s_or_b32 exec_lo, exec_lo, s42
.LBB4_6880:                             ;   in Loop: Header=BB4_5820 Depth=3
	s_delay_alu instid0(SALU_CYCLE_1) | instskip(NEXT) | instid1(VALU_DEP_1)
	s_or_b32 exec_lo, exec_lo, s13
	v_dual_mul_f32 v4, v5, v4 :: v_dual_mov_b32 v9, v3
                                        ; implicit-def: $vgpr103
	s_mov_b32 s13, exec_lo
	s_delay_alu instid0(VALU_DEP_1) | instskip(SKIP_2) | instid1(VALU_DEP_3)
	v_and_b32_e32 v8, 0x7f800000, v4
	v_and_b32_e32 v2, 0x7fffff, v4
	v_lshrrev_b32_e32 v5, 24, v4
	v_cmpx_ne_u64_e32 0x7f800000, v[8:9]
	s_xor_b32 s42, exec_lo, s13
	s_cbranch_execz .LBB4_6894
; %bb.6881:                             ;   in Loop: Header=BB4_5820 Depth=3
	v_and_b32_e32 v8, 0x7fffffff, v4
	v_mov_b32_e32 v9, v3
	v_and_b32_e32 v43, 0x80, v5
                                        ; implicit-def: $vgpr103
	s_mov_b32 s13, exec_lo
	s_delay_alu instid0(VALU_DEP_2)
	v_cmpx_gt_u64_e32 0x47600001, v[8:9]
	s_xor_b32 s43, exec_lo, s13
	s_cbranch_execz .LBB4_6891
; %bb.6882:                             ;   in Loop: Header=BB4_5820 Depth=3
	v_mov_b32_e32 v103, 0
	s_mov_b32 s72, exec_lo
	v_cmpx_ne_u32_e32 0, v4
	s_cbranch_execz .LBB4_6890
; %bb.6883:                             ;   in Loop: Header=BB4_5820 Depth=3
	v_bfe_u32 v103, v4, 23, 8
	v_or_b32_e32 v5, 0x800000, v2
	s_delay_alu instid0(VALU_DEP_2) | instskip(SKIP_2) | instid1(VALU_DEP_2)
	v_cmp_gt_u32_e64 s13, 0x72, v103
	v_sub_nc_u32_e32 v4, 0x71, v103
	v_cmp_eq_u32_e32 vcc_lo, 0, v103
	v_cndmask_b32_e64 v4, 0, v4, s13
	s_delay_alu instid0(VALU_DEP_1) | instskip(SKIP_1) | instid1(VALU_DEP_2)
	v_cndmask_b32_e64 v44, v4, 0x70, vcc_lo
	v_dual_cndmask_b32 v4, v5, v2 :: v_dual_mov_b32 v5, v3
	v_add_nc_u32_e32 v2, 21, v44
	s_delay_alu instid0(VALU_DEP_1) | instskip(SKIP_1) | instid1(VALU_DEP_1)
	v_lshlrev_b64_e64 v[8:9], v2, -1
	v_add_nc_u32_e32 v2, 20, v44
	v_lshlrev_b64_e64 v[46:47], v2, 1
	s_delay_alu instid0(VALU_DEP_3) | instskip(SKIP_2) | instid1(VALU_DEP_1)
	v_bfi_b32 v8, v8, 0, v4
	v_lshrrev_b64 v[4:5], v44, v[4:5]
	v_bfi_b32 v9, v9, 0, 0
	v_cmp_eq_u64_e64 s13, v[8:9], v[46:47]
	s_delay_alu instid0(VALU_DEP_3)
	v_mov_b64_e32 v[8:9], v[4:5]
	s_and_saveexec_b32 s73, s13
; %bb.6884:                             ;   in Loop: Header=BB4_5820 Depth=3
	v_bfe_u32 v8, v4, 21, 1
	v_mov_b32_e32 v9, v3
	s_delay_alu instid0(VALU_DEP_1) | instskip(NEXT) | instid1(VALU_DEP_1)
	v_add_nc_u64_e32 v[8:9], v[4:5], v[8:9]
	v_add_nc_u64_e32 v[8:9], -1, v[8:9]
; %bb.6885:                             ;   in Loop: Header=BB4_5820 Depth=3
	s_or_b32 exec_lo, exec_lo, s73
	v_add_nc_u32_e32 v2, 0xffffff81, v103
	v_lshrrev_b32_e32 v5, 23, v4
	s_mov_b32 s13, exec_lo
	s_delay_alu instid0(VALU_DEP_2) | instskip(NEXT) | instid1(VALU_DEP_1)
	v_cndmask_b32_e64 v2, v2, 0xffffff82, vcc_lo
	v_add3_u32 v9, v44, v2, v5
	v_and_b32_e32 v2, 0x1fffff, v8
                                        ; implicit-def: $vgpr8
	s_delay_alu instid0(VALU_DEP_1) | instskip(NEXT) | instid1(VALU_DEP_1)
	v_dual_add_nc_u32 v103, 14, v9 :: v_dual_add_nc_u32 v2, v2, v4
                                        ; implicit-def: $vgpr4_vgpr5
	v_cmpx_ne_u32_e32 0, v103
	s_xor_b32 s13, exec_lo, s13
; %bb.6886:                             ;   in Loop: Header=BB4_5820 Depth=3
	s_delay_alu instid0(VALU_DEP_2) | instskip(SKIP_1) | instid1(VALU_DEP_1)
	v_cmp_lt_u64_e32 vcc_lo, 0xffffff, v[2:3]
	v_add_nc_u32_e32 v4, 15, v9
	v_cndmask_b32_e32 v8, v103, v4, vcc_lo
	v_cndmask_b32_e64 v4, 0, 1, vcc_lo
	s_delay_alu instid0(VALU_DEP_1)
	v_lshrrev_b64 v[4:5], v4, v[2:3]
; %bb.6887:                             ;   in Loop: Header=BB4_5820 Depth=3
	s_and_not1_saveexec_b32 s13, s13
; %bb.6888:                             ;   in Loop: Header=BB4_5820 Depth=3
	v_mov_b64_e32 v[4:5], v[2:3]
	v_bfe_u32 v8, v2, 23, 1
; %bb.6889:                             ;   in Loop: Header=BB4_5820 Depth=3
	s_or_b32 exec_lo, exec_lo, s13
	s_delay_alu instid0(VALU_DEP_2) | instskip(NEXT) | instid1(VALU_DEP_2)
	v_lshrrev_b64 v[4:5], 21, v[4:5]
	v_cmp_gt_i32_e32 vcc_lo, 32, v8
	v_min_i32_e32 v2, 31, v8
	v_cmp_eq_u32_e64 s13, 0, v8
	s_delay_alu instid0(VALU_DEP_2) | instskip(SKIP_1) | instid1(VALU_DEP_2)
	v_dual_cndmask_b32 v5, 0, v5 :: v_dual_lshlrev_b32 v2, 2, v2
	v_cndmask_b32_e32 v4, 3, v4, vcc_lo
	v_and_b32_e32 v2, 0xfc, v2
	s_delay_alu instid0(VALU_DEP_2) | instskip(NEXT) | instid1(VALU_DEP_2)
	v_cmp_eq_u64_e32 vcc_lo, 0, v[4:5]
	v_and_or_b32 v2, v4, 3, v2
	s_and_b32 s13, s13, vcc_lo
	s_delay_alu instid0(VALU_DEP_1) | instid1(SALU_CYCLE_1)
	v_cndmask_b32_e64 v2, v2, 0, s13
	s_delay_alu instid0(VALU_DEP_1)
	v_or_b32_e32 v103, v2, v43
.LBB4_6890:                             ;   in Loop: Header=BB4_5820 Depth=3
	s_or_b32 exec_lo, exec_lo, s72
                                        ; implicit-def: $vgpr43
.LBB4_6891:                             ;   in Loop: Header=BB4_5820 Depth=3
	s_and_not1_saveexec_b32 s13, s43
; %bb.6892:                             ;   in Loop: Header=BB4_5820 Depth=3
	v_or_b32_e32 v103, 0x7b, v43
; %bb.6893:                             ;   in Loop: Header=BB4_5820 Depth=3
	s_or_b32 exec_lo, exec_lo, s13
                                        ; implicit-def: $vgpr4
                                        ; implicit-def: $vgpr5
.LBB4_6894:                             ;   in Loop: Header=BB4_5820 Depth=3
	s_and_not1_saveexec_b32 s13, s42
	s_cbranch_execz .LBB4_6900
; %bb.6895:                             ;   in Loop: Header=BB4_5820 Depth=3
	s_mov_b32 s42, exec_lo
                                        ; implicit-def: $vgpr103
	v_cmpx_ne_u64_e32 0, v[2:3]
	s_xor_b32 s42, exec_lo, s42
; %bb.6896:                             ;   in Loop: Header=BB4_5820 Depth=3
	v_or_b32_e32 v103, 0x7f, v5
                                        ; implicit-def: $vgpr4
; %bb.6897:                             ;   in Loop: Header=BB4_5820 Depth=3
	s_and_not1_saveexec_b32 s42, s42
; %bb.6898:                             ;   in Loop: Header=BB4_5820 Depth=3
	v_cmp_lt_i32_e32 vcc_lo, -1, v4
	v_cndmask_b32_e32 v103, 0xfc, v113, vcc_lo
; %bb.6899:                             ;   in Loop: Header=BB4_5820 Depth=3
	s_or_b32 exec_lo, exec_lo, s42
.LBB4_6900:                             ;   in Loop: Header=BB4_5820 Depth=3
	s_delay_alu instid0(SALU_CYCLE_1)
	s_or_b32 exec_lo, exec_lo, s13
	v_dual_mov_b32 v4, 0 :: v_dual_mov_b32 v5, 0
	s_mov_b32 s13, exec_lo
	v_cmpx_lt_u32_e32 0xffffff, v14
	s_cbranch_execz .LBB4_6910
; %bb.6901:                             ;   in Loop: Header=BB4_5820 Depth=3
	v_lshrrev_b32_e32 v2, 24, v14
	v_bfrev_b32_e32 v5, 1
	s_mov_b32 s42, exec_lo
	s_delay_alu instid0(VALU_DEP_2)
	v_cmpx_ne_u32_e32 0x80, v2
	s_cbranch_execz .LBB4_6909
; %bb.6902:                             ;   in Loop: Header=BB4_5820 Depth=3
	v_and_b32_e32 v5, 0x7c000000, v14
	v_bfe_u32 v8, v14, 24, 2
	s_delay_alu instid0(VALU_DEP_2) | instskip(SKIP_1) | instid1(SALU_CYCLE_1)
	v_cmp_ne_u32_e32 vcc_lo, 0x7c000000, v5
                                        ; implicit-def: $vgpr5
	s_and_saveexec_b32 s43, vcc_lo
	s_xor_b32 s43, exec_lo, s43
	s_cbranch_execz .LBB4_6906
; %bb.6903:                             ;   in Loop: Header=BB4_5820 Depth=3
	v_bfe_u32 v5, v14, 26, 5
	s_mov_b32 s72, exec_lo
	s_delay_alu instid0(VALU_DEP_1)
	v_cmpx_eq_u32_e32 0, v5
; %bb.6904:                             ;   in Loop: Header=BB4_5820 Depth=3
	v_clz_i32_u32_e32 v5, v8
	s_delay_alu instid0(VALU_DEP_1) | instskip(NEXT) | instid1(VALU_DEP_1)
	v_min_u32_e32 v5, 32, v5
	v_subrev_nc_u32_e32 v8, 29, v5
	s_delay_alu instid0(VALU_DEP_1) | instskip(NEXT) | instid1(VALU_DEP_1)
	v_lshlrev_b64_e32 v[8:9], v8, v[2:3]
	v_dual_sub_nc_u32 v5, 30, v5 :: v_dual_bitop2_b32 v8, 3, v8 bitop3:0x40
; %bb.6905:                             ;   in Loop: Header=BB4_5820 Depth=3
	s_or_b32 exec_lo, exec_lo, s72
	v_and_b32_e32 v2, 0x80000000, v14
	s_delay_alu instid0(VALU_DEP_1) | instskip(NEXT) | instid1(VALU_DEP_1)
	v_lshl_add_u32 v2, v5, 23, v2
	v_lshl_or_b32 v2, v8, 21, v2
                                        ; implicit-def: $vgpr8
	s_delay_alu instid0(VALU_DEP_1)
	v_add_nc_u32_e32 v5, 0x38000000, v2
.LBB4_6906:                             ;   in Loop: Header=BB4_5820 Depth=3
	s_and_not1_saveexec_b32 s43, s43
; %bb.6907:                             ;   in Loop: Header=BB4_5820 Depth=3
	v_cmp_lt_i32_e32 vcc_lo, -1, v14
	v_cndmask_b32_e32 v2, 0xff800000, v112, vcc_lo
	v_cmp_eq_u32_e32 vcc_lo, 0, v8
	s_delay_alu instid0(VALU_DEP_2)
	v_cndmask_b32_e32 v5, 0x7f800001, v2, vcc_lo
; %bb.6908:                             ;   in Loop: Header=BB4_5820 Depth=3
	s_or_b32 exec_lo, exec_lo, s43
.LBB4_6909:                             ;   in Loop: Header=BB4_5820 Depth=3
	s_delay_alu instid0(SALU_CYCLE_1)
	s_or_b32 exec_lo, exec_lo, s42
.LBB4_6910:                             ;   in Loop: Header=BB4_5820 Depth=3
	s_delay_alu instid0(SALU_CYCLE_1) | instskip(NEXT) | instid1(SALU_CYCLE_1)
	s_or_b32 exec_lo, exec_lo, s13
	s_mov_b32 s13, exec_lo
	v_cmpx_lt_u32_e32 0xffffff, v10
	s_cbranch_execz .LBB4_6920
; %bb.6911:                             ;   in Loop: Header=BB4_5820 Depth=3
	v_lshrrev_b32_e32 v2, 24, v10
	v_bfrev_b32_e32 v4, 1
	s_mov_b32 s42, exec_lo
	s_delay_alu instid0(VALU_DEP_2)
	v_cmpx_ne_u32_e32 0x80, v2
	s_cbranch_execz .LBB4_6919
; %bb.6912:                             ;   in Loop: Header=BB4_5820 Depth=3
	v_and_b32_e32 v4, 0x7c000000, v10
	v_bfe_u32 v8, v10, 24, 2
	s_delay_alu instid0(VALU_DEP_2) | instskip(SKIP_1) | instid1(SALU_CYCLE_1)
	v_cmp_ne_u32_e32 vcc_lo, 0x7c000000, v4
                                        ; implicit-def: $vgpr4
	s_and_saveexec_b32 s43, vcc_lo
	s_xor_b32 s43, exec_lo, s43
	s_cbranch_execz .LBB4_6916
; %bb.6913:                             ;   in Loop: Header=BB4_5820 Depth=3
	v_bfe_u32 v4, v10, 26, 5
	s_mov_b32 s72, exec_lo
	s_delay_alu instid0(VALU_DEP_1)
	v_cmpx_eq_u32_e32 0, v4
; %bb.6914:                             ;   in Loop: Header=BB4_5820 Depth=3
	v_clz_i32_u32_e32 v4, v8
	s_delay_alu instid0(VALU_DEP_1) | instskip(NEXT) | instid1(VALU_DEP_1)
	v_min_u32_e32 v4, 32, v4
	v_subrev_nc_u32_e32 v8, 29, v4
	v_sub_nc_u32_e32 v4, 30, v4
	s_delay_alu instid0(VALU_DEP_2) | instskip(NEXT) | instid1(VALU_DEP_1)
	v_lshlrev_b64_e32 v[8:9], v8, v[2:3]
	v_and_b32_e32 v8, 3, v8
; %bb.6915:                             ;   in Loop: Header=BB4_5820 Depth=3
	s_or_b32 exec_lo, exec_lo, s72
	v_and_b32_e32 v2, 0x80000000, v10
	s_delay_alu instid0(VALU_DEP_1) | instskip(NEXT) | instid1(VALU_DEP_1)
	v_lshl_add_u32 v2, v4, 23, v2
	v_lshl_or_b32 v2, v8, 21, v2
                                        ; implicit-def: $vgpr8
	s_delay_alu instid0(VALU_DEP_1)
	v_add_nc_u32_e32 v4, 0x38000000, v2
.LBB4_6916:                             ;   in Loop: Header=BB4_5820 Depth=3
	s_and_not1_saveexec_b32 s43, s43
; %bb.6917:                             ;   in Loop: Header=BB4_5820 Depth=3
	v_cmp_lt_i32_e32 vcc_lo, -1, v10
	v_cndmask_b32_e32 v2, 0xff800000, v112, vcc_lo
	v_cmp_eq_u32_e32 vcc_lo, 0, v8
	s_delay_alu instid0(VALU_DEP_2)
	v_cndmask_b32_e32 v4, 0x7f800001, v2, vcc_lo
; %bb.6918:                             ;   in Loop: Header=BB4_5820 Depth=3
	s_or_b32 exec_lo, exec_lo, s43
.LBB4_6919:                             ;   in Loop: Header=BB4_5820 Depth=3
	s_delay_alu instid0(SALU_CYCLE_1)
	s_or_b32 exec_lo, exec_lo, s42
.LBB4_6920:                             ;   in Loop: Header=BB4_5820 Depth=3
	s_delay_alu instid0(SALU_CYCLE_1) | instskip(NEXT) | instid1(VALU_DEP_1)
	s_or_b32 exec_lo, exec_lo, s13
	v_dual_mul_f32 v4, v5, v4 :: v_dual_mov_b32 v9, v3
                                        ; implicit-def: $vgpr43
	s_mov_b32 s13, exec_lo
	s_delay_alu instid0(VALU_DEP_1) | instskip(SKIP_2) | instid1(VALU_DEP_3)
	v_and_b32_e32 v8, 0x7f800000, v4
	v_and_b32_e32 v2, 0x7fffff, v4
	v_lshrrev_b32_e32 v5, 24, v4
	v_cmpx_ne_u64_e32 0x7f800000, v[8:9]
	s_xor_b32 s42, exec_lo, s13
	s_cbranch_execz .LBB4_6934
; %bb.6921:                             ;   in Loop: Header=BB4_5820 Depth=3
	v_and_b32_e32 v8, 0x7fffffff, v4
	v_mov_b32_e32 v9, v3
	v_and_b32_e32 v44, 0x80, v5
                                        ; implicit-def: $vgpr43
	s_mov_b32 s13, exec_lo
	s_delay_alu instid0(VALU_DEP_2)
	v_cmpx_gt_u64_e32 0x47600001, v[8:9]
	s_xor_b32 s43, exec_lo, s13
	s_cbranch_execz .LBB4_6931
; %bb.6922:                             ;   in Loop: Header=BB4_5820 Depth=3
	v_mov_b32_e32 v43, 0
	s_mov_b32 s72, exec_lo
	v_cmpx_ne_u32_e32 0, v4
	s_cbranch_execz .LBB4_6930
; %bb.6923:                             ;   in Loop: Header=BB4_5820 Depth=3
	v_bfe_u32 v43, v4, 23, 8
	v_or_b32_e32 v5, 0x800000, v2
	s_delay_alu instid0(VALU_DEP_2) | instskip(SKIP_2) | instid1(VALU_DEP_2)
	v_cmp_gt_u32_e64 s13, 0x72, v43
	v_sub_nc_u32_e32 v4, 0x71, v43
	v_cmp_eq_u32_e32 vcc_lo, 0, v43
	v_cndmask_b32_e64 v4, 0, v4, s13
	s_delay_alu instid0(VALU_DEP_1) | instskip(SKIP_1) | instid1(VALU_DEP_2)
	v_cndmask_b32_e64 v45, v4, 0x70, vcc_lo
	v_dual_cndmask_b32 v4, v5, v2 :: v_dual_mov_b32 v5, v3
	v_add_nc_u32_e32 v2, 21, v45
	s_delay_alu instid0(VALU_DEP_1) | instskip(SKIP_1) | instid1(VALU_DEP_1)
	v_lshlrev_b64_e64 v[8:9], v2, -1
	v_add_nc_u32_e32 v2, 20, v45
	v_lshlrev_b64_e64 v[46:47], v2, 1
	s_delay_alu instid0(VALU_DEP_3) | instskip(SKIP_2) | instid1(VALU_DEP_1)
	v_bfi_b32 v8, v8, 0, v4
	v_lshrrev_b64 v[4:5], v45, v[4:5]
	v_bfi_b32 v9, v9, 0, 0
	v_cmp_eq_u64_e64 s13, v[8:9], v[46:47]
	s_delay_alu instid0(VALU_DEP_3)
	v_mov_b64_e32 v[8:9], v[4:5]
	s_and_saveexec_b32 s73, s13
; %bb.6924:                             ;   in Loop: Header=BB4_5820 Depth=3
	v_bfe_u32 v8, v4, 21, 1
	v_mov_b32_e32 v9, v3
	s_delay_alu instid0(VALU_DEP_1) | instskip(NEXT) | instid1(VALU_DEP_1)
	v_add_nc_u64_e32 v[8:9], v[4:5], v[8:9]
	v_add_nc_u64_e32 v[8:9], -1, v[8:9]
; %bb.6925:                             ;   in Loop: Header=BB4_5820 Depth=3
	s_or_b32 exec_lo, exec_lo, s73
	v_add_nc_u32_e32 v2, 0xffffff81, v43
	v_lshrrev_b32_e32 v5, 23, v4
	s_mov_b32 s13, exec_lo
	s_delay_alu instid0(VALU_DEP_2) | instskip(NEXT) | instid1(VALU_DEP_1)
	v_cndmask_b32_e64 v2, v2, 0xffffff82, vcc_lo
	v_add3_u32 v9, v45, v2, v5
	v_and_b32_e32 v2, 0x1fffff, v8
                                        ; implicit-def: $vgpr8
	s_delay_alu instid0(VALU_DEP_1) | instskip(NEXT) | instid1(VALU_DEP_1)
	v_dual_add_nc_u32 v43, 14, v9 :: v_dual_add_nc_u32 v2, v2, v4
                                        ; implicit-def: $vgpr4_vgpr5
	v_cmpx_ne_u32_e32 0, v43
	s_xor_b32 s13, exec_lo, s13
; %bb.6926:                             ;   in Loop: Header=BB4_5820 Depth=3
	s_delay_alu instid0(VALU_DEP_2) | instskip(SKIP_1) | instid1(VALU_DEP_1)
	v_cmp_lt_u64_e32 vcc_lo, 0xffffff, v[2:3]
	v_add_nc_u32_e32 v4, 15, v9
	v_cndmask_b32_e32 v8, v43, v4, vcc_lo
	v_cndmask_b32_e64 v4, 0, 1, vcc_lo
	s_delay_alu instid0(VALU_DEP_1)
	v_lshrrev_b64 v[4:5], v4, v[2:3]
; %bb.6927:                             ;   in Loop: Header=BB4_5820 Depth=3
	s_and_not1_saveexec_b32 s13, s13
; %bb.6928:                             ;   in Loop: Header=BB4_5820 Depth=3
	v_mov_b64_e32 v[4:5], v[2:3]
	v_bfe_u32 v8, v2, 23, 1
; %bb.6929:                             ;   in Loop: Header=BB4_5820 Depth=3
	s_or_b32 exec_lo, exec_lo, s13
	s_delay_alu instid0(VALU_DEP_2) | instskip(NEXT) | instid1(VALU_DEP_2)
	v_lshrrev_b64 v[4:5], 21, v[4:5]
	v_cmp_gt_i32_e32 vcc_lo, 32, v8
	v_min_i32_e32 v2, 31, v8
	v_cmp_eq_u32_e64 s13, 0, v8
	s_delay_alu instid0(VALU_DEP_2) | instskip(SKIP_1) | instid1(VALU_DEP_2)
	v_dual_cndmask_b32 v5, 0, v5 :: v_dual_lshlrev_b32 v2, 2, v2
	v_cndmask_b32_e32 v4, 3, v4, vcc_lo
	v_and_b32_e32 v2, 0xfc, v2
	s_delay_alu instid0(VALU_DEP_2) | instskip(NEXT) | instid1(VALU_DEP_2)
	v_cmp_eq_u64_e32 vcc_lo, 0, v[4:5]
	v_and_or_b32 v2, v4, 3, v2
	s_and_b32 s13, s13, vcc_lo
	s_delay_alu instid0(VALU_DEP_1) | instid1(SALU_CYCLE_1)
	v_cndmask_b32_e64 v2, v2, 0, s13
	s_delay_alu instid0(VALU_DEP_1)
	v_or_b32_e32 v43, v2, v44
.LBB4_6930:                             ;   in Loop: Header=BB4_5820 Depth=3
	s_or_b32 exec_lo, exec_lo, s72
                                        ; implicit-def: $vgpr44
.LBB4_6931:                             ;   in Loop: Header=BB4_5820 Depth=3
	s_and_not1_saveexec_b32 s13, s43
; %bb.6932:                             ;   in Loop: Header=BB4_5820 Depth=3
	v_or_b32_e32 v43, 0x7b, v44
; %bb.6933:                             ;   in Loop: Header=BB4_5820 Depth=3
	s_or_b32 exec_lo, exec_lo, s13
                                        ; implicit-def: $vgpr4
                                        ; implicit-def: $vgpr5
.LBB4_6934:                             ;   in Loop: Header=BB4_5820 Depth=3
	s_and_not1_saveexec_b32 s13, s42
	s_cbranch_execz .LBB4_6940
; %bb.6935:                             ;   in Loop: Header=BB4_5820 Depth=3
	s_mov_b32 s42, exec_lo
                                        ; implicit-def: $vgpr43
	v_cmpx_ne_u64_e32 0, v[2:3]
	s_xor_b32 s42, exec_lo, s42
; %bb.6936:                             ;   in Loop: Header=BB4_5820 Depth=3
	v_or_b32_e32 v43, 0x7f, v5
                                        ; implicit-def: $vgpr4
; %bb.6937:                             ;   in Loop: Header=BB4_5820 Depth=3
	s_and_not1_saveexec_b32 s42, s42
; %bb.6938:                             ;   in Loop: Header=BB4_5820 Depth=3
	v_cmp_lt_i32_e32 vcc_lo, -1, v4
	v_cndmask_b32_e32 v43, 0xfc, v113, vcc_lo
; %bb.6939:                             ;   in Loop: Header=BB4_5820 Depth=3
	s_or_b32 exec_lo, exec_lo, s42
.LBB4_6940:                             ;   in Loop: Header=BB4_5820 Depth=3
	s_delay_alu instid0(SALU_CYCLE_1) | instskip(SKIP_4) | instid1(VALU_DEP_3)
	s_or_b32 exec_lo, exec_lo, s13
	v_and_b32_e32 v8, 0xff, v15
	v_dual_mov_b32 v2, v15 :: v_dual_mov_b32 v5, 0
	v_mov_b32_e32 v4, 0
	s_mov_b32 s13, exec_lo
	v_cmpx_ne_u16_e32 0, v8
	s_cbranch_execz .LBB4_6950
; %bb.6941:                             ;   in Loop: Header=BB4_5820 Depth=3
	v_bfrev_b32_e32 v4, 1
	s_mov_b32 s42, exec_lo
	v_cmpx_ne_u16_e32 0x80, v8
	s_cbranch_execz .LBB4_6949
; %bb.6942:                             ;   in Loop: Header=BB4_5820 Depth=3
	v_and_b32_e32 v4, 0x7c, v15
	v_and_b32_e32 v8, 3, v15
	s_delay_alu instid0(VALU_DEP_2) | instskip(SKIP_1) | instid1(SALU_CYCLE_1)
	v_cmp_ne_u32_e32 vcc_lo, 0x7c, v4
                                        ; implicit-def: $vgpr4
	s_and_saveexec_b32 s43, vcc_lo
	s_xor_b32 s43, exec_lo, s43
	s_cbranch_execz .LBB4_6946
; %bb.6943:                             ;   in Loop: Header=BB4_5820 Depth=3
	v_bfe_u32 v4, v15, 2, 5
	s_mov_b32 s72, exec_lo
	s_delay_alu instid0(VALU_DEP_1)
	v_cmpx_eq_u32_e32 0, v4
; %bb.6944:                             ;   in Loop: Header=BB4_5820 Depth=3
	v_clz_i32_u32_e32 v4, v8
	s_delay_alu instid0(VALU_DEP_1) | instskip(NEXT) | instid1(VALU_DEP_1)
	v_min_u32_e32 v4, 32, v4
	v_subrev_nc_u32_e32 v8, 29, v4
	v_sub_nc_u32_e32 v4, 30, v4
	s_delay_alu instid0(VALU_DEP_2) | instskip(NEXT) | instid1(VALU_DEP_1)
	v_lshlrev_b64_e32 v[8:9], v8, v[2:3]
	v_and_b32_e32 v8, 3, v8
; %bb.6945:                             ;   in Loop: Header=BB4_5820 Depth=3
	s_or_b32 exec_lo, exec_lo, s72
	v_lshlrev_b32_e32 v9, 24, v15
	s_delay_alu instid0(VALU_DEP_1) | instskip(NEXT) | instid1(VALU_DEP_1)
	v_and_b32_e32 v9, 0x80000000, v9
	v_lshl_add_u32 v4, v4, 23, v9
	s_delay_alu instid0(VALU_DEP_1) | instskip(NEXT) | instid1(VALU_DEP_1)
	v_lshl_or_b32 v4, v8, 21, v4
                                        ; implicit-def: $vgpr8
	v_add_nc_u32_e32 v4, 0x38000000, v4
.LBB4_6946:                             ;   in Loop: Header=BB4_5820 Depth=3
	s_and_not1_saveexec_b32 s43, s43
; %bb.6947:                             ;   in Loop: Header=BB4_5820 Depth=3
	v_bfe_i32 v4, v15, 0, 8
	s_delay_alu instid0(VALU_DEP_1) | instskip(SKIP_2) | instid1(VALU_DEP_2)
	v_cmp_lt_i16_e32 vcc_lo, -1, v4
	v_cndmask_b32_e32 v4, 0xff800000, v112, vcc_lo
	v_cmp_eq_u32_e32 vcc_lo, 0, v8
	v_cndmask_b32_e32 v4, 0x7f800001, v4, vcc_lo
; %bb.6948:                             ;   in Loop: Header=BB4_5820 Depth=3
	s_or_b32 exec_lo, exec_lo, s43
.LBB4_6949:                             ;   in Loop: Header=BB4_5820 Depth=3
	s_delay_alu instid0(SALU_CYCLE_1)
	s_or_b32 exec_lo, exec_lo, s42
.LBB4_6950:                             ;   in Loop: Header=BB4_5820 Depth=3
	s_delay_alu instid0(SALU_CYCLE_1) | instskip(SKIP_2) | instid1(VALU_DEP_1)
	s_or_b32 exec_lo, exec_lo, s13
	v_and_b32_e32 v8, 0xff, v11
	s_mov_b32 s13, exec_lo
	v_cmpx_ne_u16_e32 0, v8
	s_cbranch_execz .LBB4_6960
; %bb.6951:                             ;   in Loop: Header=BB4_5820 Depth=3
	v_bfrev_b32_e32 v5, 1
	s_mov_b32 s42, exec_lo
	v_cmpx_ne_u16_e32 0x80, v8
	s_cbranch_execz .LBB4_6959
; %bb.6952:                             ;   in Loop: Header=BB4_5820 Depth=3
	v_and_b32_e32 v5, 0x7c, v11
	v_and_b32_e32 v8, 3, v11
	s_delay_alu instid0(VALU_DEP_2) | instskip(SKIP_1) | instid1(SALU_CYCLE_1)
	v_cmp_ne_u32_e32 vcc_lo, 0x7c, v5
                                        ; implicit-def: $vgpr5
	s_and_saveexec_b32 s43, vcc_lo
	s_xor_b32 s43, exec_lo, s43
	s_cbranch_execz .LBB4_6956
; %bb.6953:                             ;   in Loop: Header=BB4_5820 Depth=3
	v_bfe_u32 v5, v11, 2, 5
	s_mov_b32 s72, exec_lo
	s_delay_alu instid0(VALU_DEP_1)
	v_cmpx_eq_u32_e32 0, v5
; %bb.6954:                             ;   in Loop: Header=BB4_5820 Depth=3
	v_clz_i32_u32_e32 v5, v8
	v_dual_mov_b32 v8, v11 :: v_dual_mov_b32 v9, v3
	s_delay_alu instid0(VALU_DEP_2) | instskip(NEXT) | instid1(VALU_DEP_1)
	v_min_u32_e32 v5, 32, v5
	v_subrev_nc_u32_e32 v44, 29, v5
	s_delay_alu instid0(VALU_DEP_1) | instskip(NEXT) | instid1(VALU_DEP_1)
	v_lshlrev_b64_e32 v[8:9], v44, v[8:9]
	v_dual_sub_nc_u32 v5, 30, v5 :: v_dual_bitop2_b32 v8, 3, v8 bitop3:0x40
; %bb.6955:                             ;   in Loop: Header=BB4_5820 Depth=3
	s_or_b32 exec_lo, exec_lo, s72
	v_lshlrev_b32_e32 v9, 24, v11
	s_delay_alu instid0(VALU_DEP_1) | instskip(NEXT) | instid1(VALU_DEP_1)
	v_and_b32_e32 v9, 0x80000000, v9
	v_lshl_add_u32 v5, v5, 23, v9
	s_delay_alu instid0(VALU_DEP_1) | instskip(NEXT) | instid1(VALU_DEP_1)
	v_lshl_or_b32 v5, v8, 21, v5
                                        ; implicit-def: $vgpr8
	v_add_nc_u32_e32 v5, 0x38000000, v5
.LBB4_6956:                             ;   in Loop: Header=BB4_5820 Depth=3
	s_and_not1_saveexec_b32 s43, s43
; %bb.6957:                             ;   in Loop: Header=BB4_5820 Depth=3
	v_bfe_i32 v5, v11, 0, 8
	s_delay_alu instid0(VALU_DEP_1) | instskip(SKIP_2) | instid1(VALU_DEP_2)
	v_cmp_lt_i16_e32 vcc_lo, -1, v5
	v_cndmask_b32_e32 v5, 0xff800000, v112, vcc_lo
	v_cmp_eq_u32_e32 vcc_lo, 0, v8
	v_cndmask_b32_e32 v5, 0x7f800001, v5, vcc_lo
; %bb.6958:                             ;   in Loop: Header=BB4_5820 Depth=3
	s_or_b32 exec_lo, exec_lo, s43
.LBB4_6959:                             ;   in Loop: Header=BB4_5820 Depth=3
	s_delay_alu instid0(SALU_CYCLE_1)
	s_or_b32 exec_lo, exec_lo, s42
.LBB4_6960:                             ;   in Loop: Header=BB4_5820 Depth=3
	s_delay_alu instid0(SALU_CYCLE_1) | instskip(NEXT) | instid1(VALU_DEP_1)
	s_or_b32 exec_lo, exec_lo, s13
	v_dual_mul_f32 v8, v4, v5 :: v_dual_mov_b32 v45, v3
	s_delay_alu instid0(VALU_DEP_1) | instskip(SKIP_2) | instid1(VALU_DEP_2)
	v_dual_mov_b32 v5, v3 :: v_dual_lshrrev_b32 v9, 24, v8
	v_and_b32_e32 v44, 0x7f800000, v8
	v_and_b32_e32 v4, 0x7fffff, v8
	v_cmp_ne_u64_e32 vcc_lo, 0x7f800000, v[44:45]
                                        ; implicit-def: $vgpr44
	s_and_saveexec_b32 s13, vcc_lo
	s_delay_alu instid0(SALU_CYCLE_1)
	s_xor_b32 s42, exec_lo, s13
	s_cbranch_execz .LBB4_6974
; %bb.6961:                             ;   in Loop: Header=BB4_5820 Depth=3
	v_and_b32_e32 v44, 0x7fffffff, v8
	v_mov_b32_e32 v45, v3
	s_delay_alu instid0(VALU_DEP_1) | instskip(SKIP_2) | instid1(SALU_CYCLE_1)
	v_cmp_gt_u64_e32 vcc_lo, 0x47600001, v[44:45]
	v_and_b32_e32 v45, 0x80, v9
                                        ; implicit-def: $vgpr44
	s_and_saveexec_b32 s13, vcc_lo
	s_xor_b32 s43, exec_lo, s13
	s_cbranch_execz .LBB4_6971
; %bb.6962:                             ;   in Loop: Header=BB4_5820 Depth=3
	v_mov_b32_e32 v44, 0
	s_mov_b32 s72, exec_lo
	v_cmpx_ne_u32_e32 0, v8
	s_cbranch_execz .LBB4_6970
; %bb.6963:                             ;   in Loop: Header=BB4_5820 Depth=3
	v_bfe_u32 v44, v8, 23, 8
	v_or_b32_e32 v9, 0x800000, v4
	s_delay_alu instid0(VALU_DEP_2) | instskip(SKIP_2) | instid1(VALU_DEP_2)
	v_cmp_gt_u32_e64 s13, 0x72, v44
	v_sub_nc_u32_e32 v8, 0x71, v44
	v_cmp_eq_u32_e32 vcc_lo, 0, v44
	v_cndmask_b32_e64 v8, 0, v8, s13
	s_delay_alu instid0(VALU_DEP_1) | instskip(NEXT) | instid1(VALU_DEP_1)
	v_cndmask_b32_e64 v46, v8, 0x70, vcc_lo
	v_dual_cndmask_b32 v4, v9, v4, vcc_lo :: v_dual_add_nc_u32 v8, 21, v46
	v_add_nc_u32_e32 v47, 20, v46
	s_delay_alu instid0(VALU_DEP_2) | instskip(NEXT) | instid1(VALU_DEP_2)
	v_lshlrev_b64_e64 v[8:9], v8, -1
	v_lshlrev_b64_e64 v[56:57], v47, 1
	s_delay_alu instid0(VALU_DEP_2) | instskip(SKIP_1) | instid1(VALU_DEP_4)
	v_bfi_b32 v8, v8, 0, v4
	v_lshrrev_b64 v[4:5], v46, v[4:5]
	v_bfi_b32 v9, v9, 0, 0
	s_delay_alu instid0(VALU_DEP_1) | instskip(NEXT) | instid1(VALU_DEP_3)
	v_cmp_eq_u64_e64 s13, v[8:9], v[56:57]
	v_mov_b64_e32 v[8:9], v[4:5]
	s_and_saveexec_b32 s73, s13
; %bb.6964:                             ;   in Loop: Header=BB4_5820 Depth=3
	v_bfe_u32 v8, v4, 21, 1
	v_mov_b32_e32 v9, v3
	s_delay_alu instid0(VALU_DEP_1) | instskip(NEXT) | instid1(VALU_DEP_1)
	v_add_nc_u64_e32 v[8:9], v[4:5], v[8:9]
	v_add_nc_u64_e32 v[8:9], -1, v[8:9]
; %bb.6965:                             ;   in Loop: Header=BB4_5820 Depth=3
	s_or_b32 exec_lo, exec_lo, s73
	v_add_nc_u32_e32 v5, 0xffffff81, v44
	v_lshrrev_b32_e32 v9, 23, v4
	s_mov_b32 s13, exec_lo
	s_delay_alu instid0(VALU_DEP_2) | instskip(NEXT) | instid1(VALU_DEP_1)
	v_cndmask_b32_e64 v5, v5, 0xffffff82, vcc_lo
	v_add3_u32 v44, v46, v5, v9
	v_and_b32_e32 v5, 0x1fffff, v8
                                        ; implicit-def: $vgpr8
	s_delay_alu instid0(VALU_DEP_2) | instskip(NEXT) | instid1(VALU_DEP_2)
	v_add_nc_u32_e32 v9, 14, v44
	v_dual_mov_b32 v5, v3 :: v_dual_add_nc_u32 v4, v5, v4
	s_delay_alu instid0(VALU_DEP_2)
	v_cmpx_ne_u32_e32 0, v9
	s_xor_b32 s13, exec_lo, s13
; %bb.6966:                             ;   in Loop: Header=BB4_5820 Depth=3
	s_delay_alu instid0(VALU_DEP_2) | instskip(SKIP_1) | instid1(VALU_DEP_1)
	v_cmp_lt_u64_e32 vcc_lo, 0xffffff, v[4:5]
	v_add_nc_u32_e32 v8, 15, v44
	v_cndmask_b32_e32 v8, v9, v8, vcc_lo
	v_cndmask_b32_e64 v9, 0, 1, vcc_lo
	s_delay_alu instid0(VALU_DEP_1)
	v_lshrrev_b64 v[4:5], v9, v[4:5]
; %bb.6967:                             ;   in Loop: Header=BB4_5820 Depth=3
	s_and_not1_saveexec_b32 s13, s13
; %bb.6968:                             ;   in Loop: Header=BB4_5820 Depth=3
	s_delay_alu instid0(VALU_DEP_1)
	v_bfe_u32 v8, v4, 23, 1
; %bb.6969:                             ;   in Loop: Header=BB4_5820 Depth=3
	s_or_b32 exec_lo, exec_lo, s13
	s_delay_alu instid0(VALU_DEP_2) | instskip(NEXT) | instid1(VALU_DEP_2)
	v_lshrrev_b64 v[4:5], 21, v[4:5]
	v_cmp_gt_i32_e32 vcc_lo, 32, v8
	v_min_i32_e32 v9, 31, v8
	v_cmp_eq_u32_e64 s13, 0, v8
	s_delay_alu instid0(VALU_DEP_4) | instskip(NEXT) | instid1(VALU_DEP_3)
	v_cndmask_b32_e32 v5, 0, v5, vcc_lo
	v_dual_cndmask_b32 v4, 3, v4 :: v_dual_lshlrev_b32 v9, 2, v9
	s_delay_alu instid0(VALU_DEP_1) | instskip(NEXT) | instid1(VALU_DEP_2)
	v_and_b32_e32 v9, 0xfc, v9
	v_cmp_eq_u64_e32 vcc_lo, 0, v[4:5]
	s_delay_alu instid0(VALU_DEP_2)
	v_and_or_b32 v4, v4, 3, v9
	s_and_b32 s13, s13, vcc_lo
	s_delay_alu instid0(VALU_DEP_1) | instid1(SALU_CYCLE_1)
	v_cndmask_b32_e64 v4, v4, 0, s13
	s_delay_alu instid0(VALU_DEP_1)
	v_or_b32_e32 v44, v4, v45
.LBB4_6970:                             ;   in Loop: Header=BB4_5820 Depth=3
	s_or_b32 exec_lo, exec_lo, s72
                                        ; implicit-def: $vgpr45
.LBB4_6971:                             ;   in Loop: Header=BB4_5820 Depth=3
	s_and_not1_saveexec_b32 s13, s43
; %bb.6972:                             ;   in Loop: Header=BB4_5820 Depth=3
	v_or_b32_e32 v44, 0x7b, v45
; %bb.6973:                             ;   in Loop: Header=BB4_5820 Depth=3
	s_or_b32 exec_lo, exec_lo, s13
                                        ; implicit-def: $vgpr8
                                        ; implicit-def: $vgpr4_vgpr5
                                        ; implicit-def: $vgpr9
.LBB4_6974:                             ;   in Loop: Header=BB4_5820 Depth=3
	s_and_not1_saveexec_b32 s13, s42
	s_cbranch_execz .LBB4_6980
; %bb.6975:                             ;   in Loop: Header=BB4_5820 Depth=3
	s_mov_b32 s42, exec_lo
                                        ; implicit-def: $vgpr44
	v_cmpx_ne_u64_e32 0, v[4:5]
	s_xor_b32 s42, exec_lo, s42
; %bb.6976:                             ;   in Loop: Header=BB4_5820 Depth=3
	v_or_b32_e32 v44, 0x7f, v9
                                        ; implicit-def: $vgpr8
; %bb.6977:                             ;   in Loop: Header=BB4_5820 Depth=3
	s_and_not1_saveexec_b32 s42, s42
; %bb.6978:                             ;   in Loop: Header=BB4_5820 Depth=3
	v_cmp_lt_i32_e32 vcc_lo, -1, v8
	v_cndmask_b32_e32 v44, 0xfc, v113, vcc_lo
; %bb.6979:                             ;   in Loop: Header=BB4_5820 Depth=3
	s_or_b32 exec_lo, exec_lo, s42
.LBB4_6980:                             ;   in Loop: Header=BB4_5820 Depth=3
	s_delay_alu instid0(SALU_CYCLE_1) | instskip(SKIP_3) | instid1(VALU_DEP_2)
	s_or_b32 exec_lo, exec_lo, s13
	v_lshrrev_b16 v4, 8, v2
	v_dual_mov_b32 v8, 0 :: v_dual_mov_b32 v9, 0
	s_mov_b32 s13, exec_lo
	v_cmpx_ne_u16_e32 0, v4
	s_cbranch_execz .LBB4_6990
; %bb.6981:                             ;   in Loop: Header=BB4_5820 Depth=3
	v_bfrev_b32_e32 v9, 1
	s_mov_b32 s42, exec_lo
	v_cmpx_ne_u16_e32 0x80, v4
	s_cbranch_execz .LBB4_6989
; %bb.6982:                             ;   in Loop: Header=BB4_5820 Depth=3
	v_and_b32_e32 v45, 0xffff, v4
	s_delay_alu instid0(VALU_DEP_1) | instskip(SKIP_1) | instid1(VALU_DEP_2)
	v_and_b32_e32 v9, 0x7c, v45
	v_and_b32_e32 v5, 3, v45
	v_cmp_ne_u32_e32 vcc_lo, 0x7c, v9
                                        ; implicit-def: $vgpr9
	s_and_saveexec_b32 s43, vcc_lo
	s_delay_alu instid0(SALU_CYCLE_1)
	s_xor_b32 s43, exec_lo, s43
	s_cbranch_execz .LBB4_6986
; %bb.6983:                             ;   in Loop: Header=BB4_5820 Depth=3
	v_bfe_u32 v9, v45, 2, 5
	s_mov_b32 s72, exec_lo
	s_delay_alu instid0(VALU_DEP_1)
	v_cmpx_eq_u32_e32 0, v9
	s_cbranch_execz .LBB4_6985
; %bb.6984:                             ;   in Loop: Header=BB4_5820 Depth=3
	v_clz_i32_u32_e32 v5, v5
	s_delay_alu instid0(VALU_DEP_1) | instskip(SKIP_1) | instid1(VALU_DEP_2)
	v_min_u32_e32 v9, 32, v5
	v_mov_b32_e32 v5, v3
	v_subrev_nc_u32_e32 v45, 29, v9
	v_sub_nc_u32_e32 v9, 30, v9
	s_delay_alu instid0(VALU_DEP_2) | instskip(NEXT) | instid1(VALU_DEP_1)
	v_lshlrev_b64_e32 v[4:5], v45, v[4:5]
	v_and_b32_e32 v5, 3, v4
.LBB4_6985:                             ;   in Loop: Header=BB4_5820 Depth=3
	s_or_b32 exec_lo, exec_lo, s72
	v_lshlrev_b32_e32 v2, 16, v2
	s_delay_alu instid0(VALU_DEP_1) | instskip(NEXT) | instid1(VALU_DEP_1)
	v_and_b32_e32 v2, 0x80000000, v2
	v_lshl_add_u32 v2, v9, 23, v2
	s_delay_alu instid0(VALU_DEP_1) | instskip(NEXT) | instid1(VALU_DEP_1)
	v_lshl_or_b32 v2, v5, 21, v2
                                        ; implicit-def: $vgpr5
	v_add_nc_u32_e32 v9, 0x38000000, v2
.LBB4_6986:                             ;   in Loop: Header=BB4_5820 Depth=3
	s_and_not1_saveexec_b32 s43, s43
; %bb.6987:                             ;   in Loop: Header=BB4_5820 Depth=3
	v_cmp_lt_i16_e32 vcc_lo, -1, v2
	v_cndmask_b32_e32 v2, 0xff800000, v112, vcc_lo
	v_cmp_eq_u32_e32 vcc_lo, 0, v5
	s_delay_alu instid0(VALU_DEP_2)
	v_cndmask_b32_e32 v9, 0x7f800001, v2, vcc_lo
; %bb.6988:                             ;   in Loop: Header=BB4_5820 Depth=3
	s_or_b32 exec_lo, exec_lo, s43
.LBB4_6989:                             ;   in Loop: Header=BB4_5820 Depth=3
	s_delay_alu instid0(SALU_CYCLE_1)
	s_or_b32 exec_lo, exec_lo, s42
.LBB4_6990:                             ;   in Loop: Header=BB4_5820 Depth=3
	s_delay_alu instid0(SALU_CYCLE_1) | instskip(SKIP_2) | instid1(VALU_DEP_1)
	s_or_b32 exec_lo, exec_lo, s13
	v_lshrrev_b16 v4, 8, v11
	s_mov_b32 s13, exec_lo
	v_cmpx_ne_u16_e32 0, v4
	s_cbranch_execz .LBB4_7000
; %bb.6991:                             ;   in Loop: Header=BB4_5820 Depth=3
	v_bfrev_b32_e32 v8, 1
	s_mov_b32 s42, exec_lo
	v_cmpx_ne_u16_e32 0x80, v4
	s_cbranch_execz .LBB4_6999
; %bb.6992:                             ;   in Loop: Header=BB4_5820 Depth=3
	v_and_b32_e32 v5, 0xffff, v4
	s_delay_alu instid0(VALU_DEP_1) | instskip(SKIP_1) | instid1(VALU_DEP_2)
	v_and_b32_e32 v8, 0x7c, v5
	v_and_b32_e32 v2, 3, v5
	v_cmp_ne_u32_e32 vcc_lo, 0x7c, v8
                                        ; implicit-def: $vgpr8
	s_and_saveexec_b32 s43, vcc_lo
	s_delay_alu instid0(SALU_CYCLE_1)
	s_xor_b32 s43, exec_lo, s43
	s_cbranch_execz .LBB4_6996
; %bb.6993:                             ;   in Loop: Header=BB4_5820 Depth=3
	v_bfe_u32 v5, v5, 2, 5
	s_mov_b32 s72, exec_lo
	s_delay_alu instid0(VALU_DEP_1)
	v_cmpx_eq_u32_e32 0, v5
; %bb.6994:                             ;   in Loop: Header=BB4_5820 Depth=3
	v_clz_i32_u32_e32 v2, v2
	v_mov_b32_e32 v5, v3
	s_delay_alu instid0(VALU_DEP_2) | instskip(NEXT) | instid1(VALU_DEP_1)
	v_min_u32_e32 v2, 32, v2
	v_subrev_nc_u32_e32 v8, 29, v2
	s_delay_alu instid0(VALU_DEP_1) | instskip(NEXT) | instid1(VALU_DEP_1)
	v_lshlrev_b64_e32 v[4:5], v8, v[4:5]
	v_dual_sub_nc_u32 v5, 30, v2 :: v_dual_bitop2_b32 v2, 3, v4 bitop3:0x40
; %bb.6995:                             ;   in Loop: Header=BB4_5820 Depth=3
	s_or_b32 exec_lo, exec_lo, s72
	v_lshlrev_b32_e32 v4, 16, v11
	s_delay_alu instid0(VALU_DEP_1) | instskip(NEXT) | instid1(VALU_DEP_1)
	v_and_b32_e32 v4, 0x80000000, v4
	v_lshl_add_u32 v4, v5, 23, v4
	s_delay_alu instid0(VALU_DEP_1) | instskip(NEXT) | instid1(VALU_DEP_1)
	v_lshl_or_b32 v2, v2, 21, v4
	v_add_nc_u32_e32 v8, 0x38000000, v2
                                        ; implicit-def: $vgpr2
.LBB4_6996:                             ;   in Loop: Header=BB4_5820 Depth=3
	s_and_not1_saveexec_b32 s43, s43
; %bb.6997:                             ;   in Loop: Header=BB4_5820 Depth=3
	v_cmp_lt_i16_e32 vcc_lo, -1, v11
	v_cndmask_b32_e32 v4, 0xff800000, v112, vcc_lo
	v_cmp_eq_u32_e32 vcc_lo, 0, v2
	s_delay_alu instid0(VALU_DEP_2)
	v_cndmask_b32_e32 v8, 0x7f800001, v4, vcc_lo
; %bb.6998:                             ;   in Loop: Header=BB4_5820 Depth=3
	s_or_b32 exec_lo, exec_lo, s43
.LBB4_6999:                             ;   in Loop: Header=BB4_5820 Depth=3
	s_delay_alu instid0(SALU_CYCLE_1)
	s_or_b32 exec_lo, exec_lo, s42
.LBB4_7000:                             ;   in Loop: Header=BB4_5820 Depth=3
	s_delay_alu instid0(SALU_CYCLE_1) | instskip(NEXT) | instid1(VALU_DEP_1)
	s_or_b32 exec_lo, exec_lo, s13
	v_dual_mul_f32 v4, v9, v8 :: v_dual_mov_b32 v9, v3
                                        ; implicit-def: $vgpr45
	s_mov_b32 s13, exec_lo
	s_delay_alu instid0(VALU_DEP_1) | instskip(SKIP_2) | instid1(VALU_DEP_3)
	v_and_b32_e32 v8, 0x7f800000, v4
	v_and_b32_e32 v2, 0x7fffff, v4
	v_lshrrev_b32_e32 v5, 24, v4
	v_cmpx_ne_u64_e32 0x7f800000, v[8:9]
	s_xor_b32 s42, exec_lo, s13
	s_cbranch_execz .LBB4_7014
; %bb.7001:                             ;   in Loop: Header=BB4_5820 Depth=3
	v_and_b32_e32 v8, 0x7fffffff, v4
	v_mov_b32_e32 v9, v3
	v_and_b32_e32 v46, 0x80, v5
                                        ; implicit-def: $vgpr45
	s_mov_b32 s13, exec_lo
	s_delay_alu instid0(VALU_DEP_2)
	v_cmpx_gt_u64_e32 0x47600001, v[8:9]
	s_xor_b32 s43, exec_lo, s13
	s_cbranch_execz .LBB4_7011
; %bb.7002:                             ;   in Loop: Header=BB4_5820 Depth=3
	v_mov_b32_e32 v45, 0
	s_mov_b32 s72, exec_lo
	v_cmpx_ne_u32_e32 0, v4
	s_cbranch_execz .LBB4_7010
; %bb.7003:                             ;   in Loop: Header=BB4_5820 Depth=3
	v_bfe_u32 v45, v4, 23, 8
	v_or_b32_e32 v5, 0x800000, v2
	s_delay_alu instid0(VALU_DEP_2) | instskip(SKIP_2) | instid1(VALU_DEP_2)
	v_cmp_gt_u32_e64 s13, 0x72, v45
	v_sub_nc_u32_e32 v4, 0x71, v45
	v_cmp_eq_u32_e32 vcc_lo, 0, v45
	v_cndmask_b32_e64 v4, 0, v4, s13
	s_delay_alu instid0(VALU_DEP_1) | instskip(SKIP_1) | instid1(VALU_DEP_2)
	v_cndmask_b32_e64 v47, v4, 0x70, vcc_lo
	v_dual_cndmask_b32 v4, v5, v2 :: v_dual_mov_b32 v5, v3
	v_add_nc_u32_e32 v2, 21, v47
	s_delay_alu instid0(VALU_DEP_1) | instskip(SKIP_1) | instid1(VALU_DEP_1)
	v_lshlrev_b64_e64 v[8:9], v2, -1
	v_add_nc_u32_e32 v2, 20, v47
	v_lshlrev_b64_e64 v[56:57], v2, 1
	s_delay_alu instid0(VALU_DEP_3) | instskip(SKIP_2) | instid1(VALU_DEP_1)
	v_bfi_b32 v8, v8, 0, v4
	v_lshrrev_b64 v[4:5], v47, v[4:5]
	v_bfi_b32 v9, v9, 0, 0
	v_cmp_eq_u64_e64 s13, v[8:9], v[56:57]
	s_delay_alu instid0(VALU_DEP_3)
	v_mov_b64_e32 v[8:9], v[4:5]
	s_and_saveexec_b32 s73, s13
; %bb.7004:                             ;   in Loop: Header=BB4_5820 Depth=3
	v_bfe_u32 v8, v4, 21, 1
	v_mov_b32_e32 v9, v3
	s_delay_alu instid0(VALU_DEP_1) | instskip(NEXT) | instid1(VALU_DEP_1)
	v_add_nc_u64_e32 v[8:9], v[4:5], v[8:9]
	v_add_nc_u64_e32 v[8:9], -1, v[8:9]
; %bb.7005:                             ;   in Loop: Header=BB4_5820 Depth=3
	s_or_b32 exec_lo, exec_lo, s73
	v_add_nc_u32_e32 v2, 0xffffff81, v45
	v_lshrrev_b32_e32 v5, 23, v4
	s_mov_b32 s13, exec_lo
	s_delay_alu instid0(VALU_DEP_2) | instskip(NEXT) | instid1(VALU_DEP_1)
	v_cndmask_b32_e64 v2, v2, 0xffffff82, vcc_lo
	v_add3_u32 v45, v47, v2, v5
	v_and_b32_e32 v2, 0x1fffff, v8
                                        ; implicit-def: $vgpr8
	s_delay_alu instid0(VALU_DEP_1) | instskip(NEXT) | instid1(VALU_DEP_1)
	v_dual_add_nc_u32 v9, 14, v45 :: v_dual_add_nc_u32 v2, v2, v4
                                        ; implicit-def: $vgpr4_vgpr5
	v_cmpx_ne_u32_e32 0, v9
	s_xor_b32 s13, exec_lo, s13
; %bb.7006:                             ;   in Loop: Header=BB4_5820 Depth=3
	s_delay_alu instid0(VALU_DEP_2) | instskip(SKIP_1) | instid1(VALU_DEP_1)
	v_cmp_lt_u64_e32 vcc_lo, 0xffffff, v[2:3]
	v_add_nc_u32_e32 v4, 15, v45
	v_cndmask_b32_e32 v8, v9, v4, vcc_lo
	v_cndmask_b32_e64 v4, 0, 1, vcc_lo
	s_delay_alu instid0(VALU_DEP_1)
	v_lshrrev_b64 v[4:5], v4, v[2:3]
; %bb.7007:                             ;   in Loop: Header=BB4_5820 Depth=3
	s_and_not1_saveexec_b32 s13, s13
; %bb.7008:                             ;   in Loop: Header=BB4_5820 Depth=3
	v_mov_b64_e32 v[4:5], v[2:3]
	v_bfe_u32 v8, v2, 23, 1
; %bb.7009:                             ;   in Loop: Header=BB4_5820 Depth=3
	s_or_b32 exec_lo, exec_lo, s13
	s_delay_alu instid0(VALU_DEP_2) | instskip(NEXT) | instid1(VALU_DEP_2)
	v_lshrrev_b64 v[4:5], 21, v[4:5]
	v_cmp_gt_i32_e32 vcc_lo, 32, v8
	v_min_i32_e32 v2, 31, v8
	v_cmp_eq_u32_e64 s13, 0, v8
	s_delay_alu instid0(VALU_DEP_2) | instskip(SKIP_1) | instid1(VALU_DEP_2)
	v_dual_cndmask_b32 v5, 0, v5 :: v_dual_lshlrev_b32 v2, 2, v2
	v_cndmask_b32_e32 v4, 3, v4, vcc_lo
	v_and_b32_e32 v2, 0xfc, v2
	s_delay_alu instid0(VALU_DEP_2) | instskip(NEXT) | instid1(VALU_DEP_2)
	v_cmp_eq_u64_e32 vcc_lo, 0, v[4:5]
	v_and_or_b32 v2, v4, 3, v2
	s_and_b32 s13, s13, vcc_lo
	s_delay_alu instid0(VALU_DEP_1) | instid1(SALU_CYCLE_1)
	v_cndmask_b32_e64 v2, v2, 0, s13
	s_delay_alu instid0(VALU_DEP_1)
	v_or_b32_e32 v45, v2, v46
.LBB4_7010:                             ;   in Loop: Header=BB4_5820 Depth=3
	s_or_b32 exec_lo, exec_lo, s72
                                        ; implicit-def: $vgpr46
.LBB4_7011:                             ;   in Loop: Header=BB4_5820 Depth=3
	s_and_not1_saveexec_b32 s13, s43
; %bb.7012:                             ;   in Loop: Header=BB4_5820 Depth=3
	v_or_b32_e32 v45, 0x7b, v46
; %bb.7013:                             ;   in Loop: Header=BB4_5820 Depth=3
	s_or_b32 exec_lo, exec_lo, s13
                                        ; implicit-def: $vgpr4
                                        ; implicit-def: $vgpr5
.LBB4_7014:                             ;   in Loop: Header=BB4_5820 Depth=3
	s_and_not1_saveexec_b32 s13, s42
	s_cbranch_execz .LBB4_7020
; %bb.7015:                             ;   in Loop: Header=BB4_5820 Depth=3
	s_mov_b32 s42, exec_lo
                                        ; implicit-def: $vgpr45
	v_cmpx_ne_u64_e32 0, v[2:3]
	s_xor_b32 s42, exec_lo, s42
; %bb.7016:                             ;   in Loop: Header=BB4_5820 Depth=3
	v_or_b32_e32 v45, 0x7f, v5
                                        ; implicit-def: $vgpr4
; %bb.7017:                             ;   in Loop: Header=BB4_5820 Depth=3
	s_and_not1_saveexec_b32 s42, s42
; %bb.7018:                             ;   in Loop: Header=BB4_5820 Depth=3
	v_cmp_lt_i32_e32 vcc_lo, -1, v4
	v_cndmask_b32_e32 v45, 0xfc, v113, vcc_lo
; %bb.7019:                             ;   in Loop: Header=BB4_5820 Depth=3
	s_or_b32 exec_lo, exec_lo, s42
.LBB4_7020:                             ;   in Loop: Header=BB4_5820 Depth=3
	s_delay_alu instid0(SALU_CYCLE_1) | instskip(SKIP_3) | instid1(VALU_DEP_2)
	s_or_b32 exec_lo, exec_lo, s13
	v_dual_lshrrev_b32 v2, 16, v15 :: v_dual_mov_b32 v4, 0
	v_mov_b32_e32 v5, 0
	s_mov_b32 s13, exec_lo
	v_and_b32_e32 v8, 0xff, v2
	s_delay_alu instid0(VALU_DEP_1)
	v_cmpx_ne_u16_e32 0, v8
	s_cbranch_execz .LBB4_7030
; %bb.7021:                             ;   in Loop: Header=BB4_5820 Depth=3
	v_bfrev_b32_e32 v5, 1
	s_mov_b32 s42, exec_lo
	v_cmpx_ne_u16_e32 0x80, v8
	s_cbranch_execz .LBB4_7029
; %bb.7022:                             ;   in Loop: Header=BB4_5820 Depth=3
	v_and_b32_e32 v5, 0x7c0000, v15
	v_bfe_u32 v8, v15, 16, 2
	s_delay_alu instid0(VALU_DEP_2) | instskip(SKIP_1) | instid1(SALU_CYCLE_1)
	v_cmp_ne_u32_e32 vcc_lo, 0x7c0000, v5
                                        ; implicit-def: $vgpr5
	s_and_saveexec_b32 s43, vcc_lo
	s_xor_b32 s43, exec_lo, s43
	s_cbranch_execz .LBB4_7026
; %bb.7023:                             ;   in Loop: Header=BB4_5820 Depth=3
	v_bfe_u32 v5, v15, 18, 5
	s_mov_b32 s72, exec_lo
	s_delay_alu instid0(VALU_DEP_1)
	v_cmpx_eq_u32_e32 0, v5
; %bb.7024:                             ;   in Loop: Header=BB4_5820 Depth=3
	v_clz_i32_u32_e32 v5, v8
	s_delay_alu instid0(VALU_DEP_1) | instskip(NEXT) | instid1(VALU_DEP_1)
	v_min_u32_e32 v5, 32, v5
	v_subrev_nc_u32_e32 v8, 29, v5
	s_delay_alu instid0(VALU_DEP_1) | instskip(NEXT) | instid1(VALU_DEP_1)
	v_lshlrev_b64_e32 v[8:9], v8, v[2:3]
	v_dual_sub_nc_u32 v5, 30, v5 :: v_dual_bitop2_b32 v8, 3, v8 bitop3:0x40
; %bb.7025:                             ;   in Loop: Header=BB4_5820 Depth=3
	s_or_b32 exec_lo, exec_lo, s72
	v_lshlrev_b32_e32 v2, 24, v2
	s_delay_alu instid0(VALU_DEP_1) | instskip(NEXT) | instid1(VALU_DEP_1)
	v_and_b32_e32 v2, 0x80000000, v2
	v_lshl_add_u32 v2, v5, 23, v2
	s_delay_alu instid0(VALU_DEP_1) | instskip(NEXT) | instid1(VALU_DEP_1)
	v_lshl_or_b32 v2, v8, 21, v2
                                        ; implicit-def: $vgpr8
	v_add_nc_u32_e32 v5, 0x38000000, v2
                                        ; implicit-def: $vgpr2
.LBB4_7026:                             ;   in Loop: Header=BB4_5820 Depth=3
	s_and_not1_saveexec_b32 s43, s43
; %bb.7027:                             ;   in Loop: Header=BB4_5820 Depth=3
	v_bfe_i32 v2, v2, 0, 8
	s_delay_alu instid0(VALU_DEP_1) | instskip(SKIP_2) | instid1(VALU_DEP_2)
	v_cmp_lt_i16_e32 vcc_lo, -1, v2
	v_cndmask_b32_e32 v2, 0xff800000, v112, vcc_lo
	v_cmp_eq_u32_e32 vcc_lo, 0, v8
	v_cndmask_b32_e32 v5, 0x7f800001, v2, vcc_lo
; %bb.7028:                             ;   in Loop: Header=BB4_5820 Depth=3
	s_or_b32 exec_lo, exec_lo, s43
.LBB4_7029:                             ;   in Loop: Header=BB4_5820 Depth=3
	s_delay_alu instid0(SALU_CYCLE_1)
	s_or_b32 exec_lo, exec_lo, s42
.LBB4_7030:                             ;   in Loop: Header=BB4_5820 Depth=3
	s_delay_alu instid0(SALU_CYCLE_1) | instskip(SKIP_2) | instid1(VALU_DEP_1)
	s_or_b32 exec_lo, exec_lo, s13
	v_lshrrev_b32_e32 v2, 16, v11
	s_mov_b32 s13, exec_lo
	v_and_b32_e32 v8, 0xff, v2
	s_delay_alu instid0(VALU_DEP_1)
	v_cmpx_ne_u16_e32 0, v8
	s_cbranch_execz .LBB4_7040
; %bb.7031:                             ;   in Loop: Header=BB4_5820 Depth=3
	v_bfrev_b32_e32 v4, 1
	s_mov_b32 s42, exec_lo
	v_cmpx_ne_u16_e32 0x80, v8
	s_cbranch_execz .LBB4_7039
; %bb.7032:                             ;   in Loop: Header=BB4_5820 Depth=3
	v_and_b32_e32 v4, 0x7c0000, v11
	v_bfe_u32 v8, v11, 16, 2
	s_delay_alu instid0(VALU_DEP_2) | instskip(SKIP_1) | instid1(SALU_CYCLE_1)
	v_cmp_ne_u32_e32 vcc_lo, 0x7c0000, v4
                                        ; implicit-def: $vgpr4
	s_and_saveexec_b32 s43, vcc_lo
	s_xor_b32 s43, exec_lo, s43
	s_cbranch_execz .LBB4_7036
; %bb.7033:                             ;   in Loop: Header=BB4_5820 Depth=3
	v_bfe_u32 v4, v11, 18, 5
	s_mov_b32 s72, exec_lo
	s_delay_alu instid0(VALU_DEP_1)
	v_cmpx_eq_u32_e32 0, v4
; %bb.7034:                             ;   in Loop: Header=BB4_5820 Depth=3
	v_clz_i32_u32_e32 v4, v8
	s_delay_alu instid0(VALU_DEP_1) | instskip(NEXT) | instid1(VALU_DEP_1)
	v_min_u32_e32 v4, 32, v4
	v_subrev_nc_u32_e32 v8, 29, v4
	v_sub_nc_u32_e32 v4, 30, v4
	s_delay_alu instid0(VALU_DEP_2) | instskip(NEXT) | instid1(VALU_DEP_1)
	v_lshlrev_b64_e32 v[8:9], v8, v[2:3]
	v_and_b32_e32 v8, 3, v8
; %bb.7035:                             ;   in Loop: Header=BB4_5820 Depth=3
	s_or_b32 exec_lo, exec_lo, s72
	v_lshlrev_b32_e32 v2, 24, v2
	s_delay_alu instid0(VALU_DEP_1) | instskip(NEXT) | instid1(VALU_DEP_1)
	v_and_b32_e32 v2, 0x80000000, v2
	v_lshl_add_u32 v2, v4, 23, v2
	s_delay_alu instid0(VALU_DEP_1) | instskip(NEXT) | instid1(VALU_DEP_1)
	v_lshl_or_b32 v2, v8, 21, v2
                                        ; implicit-def: $vgpr8
	v_add_nc_u32_e32 v4, 0x38000000, v2
                                        ; implicit-def: $vgpr2
.LBB4_7036:                             ;   in Loop: Header=BB4_5820 Depth=3
	s_and_not1_saveexec_b32 s43, s43
; %bb.7037:                             ;   in Loop: Header=BB4_5820 Depth=3
	v_bfe_i32 v2, v2, 0, 8
	s_delay_alu instid0(VALU_DEP_1) | instskip(SKIP_2) | instid1(VALU_DEP_2)
	v_cmp_lt_i16_e32 vcc_lo, -1, v2
	v_cndmask_b32_e32 v2, 0xff800000, v112, vcc_lo
	v_cmp_eq_u32_e32 vcc_lo, 0, v8
	v_cndmask_b32_e32 v4, 0x7f800001, v2, vcc_lo
; %bb.7038:                             ;   in Loop: Header=BB4_5820 Depth=3
	s_or_b32 exec_lo, exec_lo, s43
.LBB4_7039:                             ;   in Loop: Header=BB4_5820 Depth=3
	s_delay_alu instid0(SALU_CYCLE_1)
	s_or_b32 exec_lo, exec_lo, s42
.LBB4_7040:                             ;   in Loop: Header=BB4_5820 Depth=3
	s_delay_alu instid0(SALU_CYCLE_1) | instskip(NEXT) | instid1(VALU_DEP_1)
	s_or_b32 exec_lo, exec_lo, s13
	v_dual_mul_f32 v4, v5, v4 :: v_dual_mov_b32 v9, v3
                                        ; implicit-def: $vgpr46
	s_mov_b32 s13, exec_lo
	s_delay_alu instid0(VALU_DEP_1) | instskip(SKIP_2) | instid1(VALU_DEP_3)
	v_and_b32_e32 v8, 0x7f800000, v4
	v_and_b32_e32 v2, 0x7fffff, v4
	v_lshrrev_b32_e32 v5, 24, v4
	v_cmpx_ne_u64_e32 0x7f800000, v[8:9]
	s_xor_b32 s42, exec_lo, s13
	s_cbranch_execz .LBB4_7054
; %bb.7041:                             ;   in Loop: Header=BB4_5820 Depth=3
	v_and_b32_e32 v8, 0x7fffffff, v4
	v_mov_b32_e32 v9, v3
	v_and_b32_e32 v47, 0x80, v5
                                        ; implicit-def: $vgpr46
	s_mov_b32 s13, exec_lo
	s_delay_alu instid0(VALU_DEP_2)
	v_cmpx_gt_u64_e32 0x47600001, v[8:9]
	s_xor_b32 s43, exec_lo, s13
	s_cbranch_execz .LBB4_7051
; %bb.7042:                             ;   in Loop: Header=BB4_5820 Depth=3
	v_mov_b32_e32 v46, 0
	s_mov_b32 s72, exec_lo
	v_cmpx_ne_u32_e32 0, v4
	s_cbranch_execz .LBB4_7050
; %bb.7043:                             ;   in Loop: Header=BB4_5820 Depth=3
	v_bfe_u32 v46, v4, 23, 8
	v_or_b32_e32 v5, 0x800000, v2
	s_delay_alu instid0(VALU_DEP_2) | instskip(SKIP_2) | instid1(VALU_DEP_2)
	v_cmp_gt_u32_e64 s13, 0x72, v46
	v_sub_nc_u32_e32 v4, 0x71, v46
	v_cmp_eq_u32_e32 vcc_lo, 0, v46
	v_cndmask_b32_e64 v4, 0, v4, s13
	s_delay_alu instid0(VALU_DEP_1) | instskip(SKIP_1) | instid1(VALU_DEP_2)
	v_cndmask_b32_e64 v56, v4, 0x70, vcc_lo
	v_dual_cndmask_b32 v4, v5, v2 :: v_dual_mov_b32 v5, v3
	v_add_nc_u32_e32 v2, 21, v56
	s_delay_alu instid0(VALU_DEP_1) | instskip(SKIP_1) | instid1(VALU_DEP_1)
	v_lshlrev_b64_e64 v[8:9], v2, -1
	v_add_nc_u32_e32 v2, 20, v56
	v_lshlrev_b64_e64 v[72:73], v2, 1
	s_delay_alu instid0(VALU_DEP_3) | instskip(SKIP_2) | instid1(VALU_DEP_1)
	v_bfi_b32 v8, v8, 0, v4
	v_lshrrev_b64 v[4:5], v56, v[4:5]
	v_bfi_b32 v9, v9, 0, 0
	v_cmp_eq_u64_e64 s13, v[8:9], v[72:73]
	s_delay_alu instid0(VALU_DEP_3)
	v_mov_b64_e32 v[8:9], v[4:5]
	s_and_saveexec_b32 s73, s13
; %bb.7044:                             ;   in Loop: Header=BB4_5820 Depth=3
	v_bfe_u32 v8, v4, 21, 1
	v_mov_b32_e32 v9, v3
	s_delay_alu instid0(VALU_DEP_1) | instskip(NEXT) | instid1(VALU_DEP_1)
	v_add_nc_u64_e32 v[8:9], v[4:5], v[8:9]
	v_add_nc_u64_e32 v[8:9], -1, v[8:9]
; %bb.7045:                             ;   in Loop: Header=BB4_5820 Depth=3
	s_or_b32 exec_lo, exec_lo, s73
	v_add_nc_u32_e32 v2, 0xffffff81, v46
	v_lshrrev_b32_e32 v5, 23, v4
	s_mov_b32 s13, exec_lo
	s_delay_alu instid0(VALU_DEP_2) | instskip(NEXT) | instid1(VALU_DEP_1)
	v_cndmask_b32_e64 v2, v2, 0xffffff82, vcc_lo
	v_add3_u32 v46, v56, v2, v5
	v_and_b32_e32 v2, 0x1fffff, v8
                                        ; implicit-def: $vgpr8
	s_delay_alu instid0(VALU_DEP_1) | instskip(NEXT) | instid1(VALU_DEP_1)
	v_dual_add_nc_u32 v9, 14, v46 :: v_dual_add_nc_u32 v2, v2, v4
                                        ; implicit-def: $vgpr4_vgpr5
	v_cmpx_ne_u32_e32 0, v9
	s_xor_b32 s13, exec_lo, s13
; %bb.7046:                             ;   in Loop: Header=BB4_5820 Depth=3
	s_delay_alu instid0(VALU_DEP_2) | instskip(SKIP_1) | instid1(VALU_DEP_1)
	v_cmp_lt_u64_e32 vcc_lo, 0xffffff, v[2:3]
	v_add_nc_u32_e32 v4, 15, v46
	v_cndmask_b32_e32 v8, v9, v4, vcc_lo
	v_cndmask_b32_e64 v4, 0, 1, vcc_lo
	s_delay_alu instid0(VALU_DEP_1)
	v_lshrrev_b64 v[4:5], v4, v[2:3]
; %bb.7047:                             ;   in Loop: Header=BB4_5820 Depth=3
	s_and_not1_saveexec_b32 s13, s13
; %bb.7048:                             ;   in Loop: Header=BB4_5820 Depth=3
	v_mov_b64_e32 v[4:5], v[2:3]
	v_bfe_u32 v8, v2, 23, 1
; %bb.7049:                             ;   in Loop: Header=BB4_5820 Depth=3
	s_or_b32 exec_lo, exec_lo, s13
	s_delay_alu instid0(VALU_DEP_2) | instskip(NEXT) | instid1(VALU_DEP_2)
	v_lshrrev_b64 v[4:5], 21, v[4:5]
	v_cmp_gt_i32_e32 vcc_lo, 32, v8
	v_min_i32_e32 v2, 31, v8
	v_cmp_eq_u32_e64 s13, 0, v8
	s_delay_alu instid0(VALU_DEP_2) | instskip(SKIP_1) | instid1(VALU_DEP_2)
	v_dual_cndmask_b32 v5, 0, v5 :: v_dual_lshlrev_b32 v2, 2, v2
	v_cndmask_b32_e32 v4, 3, v4, vcc_lo
	v_and_b32_e32 v2, 0xfc, v2
	s_delay_alu instid0(VALU_DEP_2) | instskip(NEXT) | instid1(VALU_DEP_2)
	v_cmp_eq_u64_e32 vcc_lo, 0, v[4:5]
	v_and_or_b32 v2, v4, 3, v2
	s_and_b32 s13, s13, vcc_lo
	s_delay_alu instid0(VALU_DEP_1) | instid1(SALU_CYCLE_1)
	v_cndmask_b32_e64 v2, v2, 0, s13
	s_delay_alu instid0(VALU_DEP_1)
	v_or_b32_e32 v46, v2, v47
.LBB4_7050:                             ;   in Loop: Header=BB4_5820 Depth=3
	s_or_b32 exec_lo, exec_lo, s72
                                        ; implicit-def: $vgpr47
.LBB4_7051:                             ;   in Loop: Header=BB4_5820 Depth=3
	s_and_not1_saveexec_b32 s13, s43
; %bb.7052:                             ;   in Loop: Header=BB4_5820 Depth=3
	v_or_b32_e32 v46, 0x7b, v47
; %bb.7053:                             ;   in Loop: Header=BB4_5820 Depth=3
	s_or_b32 exec_lo, exec_lo, s13
                                        ; implicit-def: $vgpr4
                                        ; implicit-def: $vgpr5
.LBB4_7054:                             ;   in Loop: Header=BB4_5820 Depth=3
	s_and_not1_saveexec_b32 s13, s42
	s_cbranch_execz .LBB4_7060
; %bb.7055:                             ;   in Loop: Header=BB4_5820 Depth=3
	s_mov_b32 s42, exec_lo
                                        ; implicit-def: $vgpr46
	v_cmpx_ne_u64_e32 0, v[2:3]
	s_xor_b32 s42, exec_lo, s42
; %bb.7056:                             ;   in Loop: Header=BB4_5820 Depth=3
	v_or_b32_e32 v46, 0x7f, v5
                                        ; implicit-def: $vgpr4
; %bb.7057:                             ;   in Loop: Header=BB4_5820 Depth=3
	s_and_not1_saveexec_b32 s42, s42
; %bb.7058:                             ;   in Loop: Header=BB4_5820 Depth=3
	v_cmp_lt_i32_e32 vcc_lo, -1, v4
	v_cndmask_b32_e32 v46, 0xfc, v113, vcc_lo
; %bb.7059:                             ;   in Loop: Header=BB4_5820 Depth=3
	s_or_b32 exec_lo, exec_lo, s42
.LBB4_7060:                             ;   in Loop: Header=BB4_5820 Depth=3
	s_delay_alu instid0(SALU_CYCLE_1)
	s_or_b32 exec_lo, exec_lo, s13
	v_dual_mov_b32 v4, 0 :: v_dual_mov_b32 v5, 0
	s_mov_b32 s13, exec_lo
	v_cmpx_lt_u64_e64 s[22:23], v[14:15]
	s_cbranch_execz .LBB4_7070
; %bb.7061:                             ;   in Loop: Header=BB4_5820 Depth=3
	v_lshrrev_b32_e32 v2, 24, v15
	v_bfrev_b32_e32 v5, 1
	s_mov_b32 s42, exec_lo
	s_delay_alu instid0(VALU_DEP_2)
	v_cmpx_ne_u32_e32 0x80, v2
	s_cbranch_execz .LBB4_7069
; %bb.7062:                             ;   in Loop: Header=BB4_5820 Depth=3
	v_and_b32_e32 v5, 0x7c000000, v15
	v_bfe_u32 v8, v15, 24, 2
	s_delay_alu instid0(VALU_DEP_2) | instskip(SKIP_1) | instid1(SALU_CYCLE_1)
	v_cmp_ne_u32_e32 vcc_lo, 0x7c000000, v5
                                        ; implicit-def: $vgpr5
	s_and_saveexec_b32 s43, vcc_lo
	s_xor_b32 s43, exec_lo, s43
	s_cbranch_execz .LBB4_7066
; %bb.7063:                             ;   in Loop: Header=BB4_5820 Depth=3
	v_bfe_u32 v5, v15, 26, 5
	s_mov_b32 s72, exec_lo
	s_delay_alu instid0(VALU_DEP_1)
	v_cmpx_eq_u32_e32 0, v5
; %bb.7064:                             ;   in Loop: Header=BB4_5820 Depth=3
	v_clz_i32_u32_e32 v5, v8
	s_delay_alu instid0(VALU_DEP_1) | instskip(NEXT) | instid1(VALU_DEP_1)
	v_min_u32_e32 v5, 32, v5
	v_subrev_nc_u32_e32 v8, 29, v5
	s_delay_alu instid0(VALU_DEP_1) | instskip(NEXT) | instid1(VALU_DEP_1)
	v_lshlrev_b64_e32 v[8:9], v8, v[2:3]
	v_dual_sub_nc_u32 v5, 30, v5 :: v_dual_bitop2_b32 v8, 3, v8 bitop3:0x40
; %bb.7065:                             ;   in Loop: Header=BB4_5820 Depth=3
	s_or_b32 exec_lo, exec_lo, s72
	v_and_b32_e32 v2, 0x80000000, v15
                                        ; implicit-def: $vgpr14_vgpr15
	s_delay_alu instid0(VALU_DEP_1) | instskip(NEXT) | instid1(VALU_DEP_1)
	v_lshl_add_u32 v2, v5, 23, v2
	v_lshl_or_b32 v2, v8, 21, v2
                                        ; implicit-def: $vgpr8
	s_delay_alu instid0(VALU_DEP_1)
	v_add_nc_u32_e32 v5, 0x38000000, v2
.LBB4_7066:                             ;   in Loop: Header=BB4_5820 Depth=3
	s_and_not1_saveexec_b32 s43, s43
; %bb.7067:                             ;   in Loop: Header=BB4_5820 Depth=3
	v_cmp_lt_i64_e32 vcc_lo, -1, v[14:15]
	v_cndmask_b32_e32 v2, 0xff800000, v112, vcc_lo
	v_cmp_eq_u32_e32 vcc_lo, 0, v8
	s_delay_alu instid0(VALU_DEP_2)
	v_cndmask_b32_e32 v5, 0x7f800001, v2, vcc_lo
; %bb.7068:                             ;   in Loop: Header=BB4_5820 Depth=3
	s_or_b32 exec_lo, exec_lo, s43
.LBB4_7069:                             ;   in Loop: Header=BB4_5820 Depth=3
	s_delay_alu instid0(SALU_CYCLE_1)
	s_or_b32 exec_lo, exec_lo, s42
.LBB4_7070:                             ;   in Loop: Header=BB4_5820 Depth=3
	s_delay_alu instid0(SALU_CYCLE_1) | instskip(NEXT) | instid1(SALU_CYCLE_1)
	s_or_b32 exec_lo, exec_lo, s13
	s_mov_b32 s13, exec_lo
	v_cmpx_lt_u64_e64 s[22:23], v[10:11]
	s_cbranch_execz .LBB4_7080
; %bb.7071:                             ;   in Loop: Header=BB4_5820 Depth=3
	v_lshrrev_b32_e32 v2, 24, v11
	v_bfrev_b32_e32 v4, 1
	s_mov_b32 s42, exec_lo
	s_delay_alu instid0(VALU_DEP_2)
	v_cmpx_ne_u32_e32 0x80, v2
	s_cbranch_execz .LBB4_7079
; %bb.7072:                             ;   in Loop: Header=BB4_5820 Depth=3
	v_and_b32_e32 v4, 0x7c000000, v11
	v_bfe_u32 v8, v11, 24, 2
	s_delay_alu instid0(VALU_DEP_2) | instskip(SKIP_1) | instid1(SALU_CYCLE_1)
	v_cmp_ne_u32_e32 vcc_lo, 0x7c000000, v4
                                        ; implicit-def: $vgpr4
	s_and_saveexec_b32 s43, vcc_lo
	s_xor_b32 s43, exec_lo, s43
	s_cbranch_execz .LBB4_7076
; %bb.7073:                             ;   in Loop: Header=BB4_5820 Depth=3
	v_bfe_u32 v4, v11, 26, 5
	s_mov_b32 s72, exec_lo
	s_delay_alu instid0(VALU_DEP_1)
	v_cmpx_eq_u32_e32 0, v4
; %bb.7074:                             ;   in Loop: Header=BB4_5820 Depth=3
	v_clz_i32_u32_e32 v4, v8
	s_delay_alu instid0(VALU_DEP_1) | instskip(NEXT) | instid1(VALU_DEP_1)
	v_min_u32_e32 v4, 32, v4
	v_subrev_nc_u32_e32 v8, 29, v4
	v_sub_nc_u32_e32 v4, 30, v4
	s_delay_alu instid0(VALU_DEP_2) | instskip(NEXT) | instid1(VALU_DEP_1)
	v_lshlrev_b64_e32 v[8:9], v8, v[2:3]
	v_and_b32_e32 v8, 3, v8
; %bb.7075:                             ;   in Loop: Header=BB4_5820 Depth=3
	s_or_b32 exec_lo, exec_lo, s72
	v_and_b32_e32 v2, 0x80000000, v11
                                        ; implicit-def: $vgpr10_vgpr11
	s_delay_alu instid0(VALU_DEP_1) | instskip(NEXT) | instid1(VALU_DEP_1)
	v_lshl_add_u32 v2, v4, 23, v2
	v_lshl_or_b32 v2, v8, 21, v2
                                        ; implicit-def: $vgpr8
	s_delay_alu instid0(VALU_DEP_1)
	v_add_nc_u32_e32 v4, 0x38000000, v2
.LBB4_7076:                             ;   in Loop: Header=BB4_5820 Depth=3
	s_and_not1_saveexec_b32 s43, s43
; %bb.7077:                             ;   in Loop: Header=BB4_5820 Depth=3
	v_cmp_lt_i64_e32 vcc_lo, -1, v[10:11]
	v_cndmask_b32_e32 v2, 0xff800000, v112, vcc_lo
	v_cmp_eq_u32_e32 vcc_lo, 0, v8
	s_delay_alu instid0(VALU_DEP_2)
	v_cndmask_b32_e32 v4, 0x7f800001, v2, vcc_lo
; %bb.7078:                             ;   in Loop: Header=BB4_5820 Depth=3
	s_or_b32 exec_lo, exec_lo, s43
.LBB4_7079:                             ;   in Loop: Header=BB4_5820 Depth=3
	s_delay_alu instid0(SALU_CYCLE_1)
	s_or_b32 exec_lo, exec_lo, s42
.LBB4_7080:                             ;   in Loop: Header=BB4_5820 Depth=3
	s_delay_alu instid0(SALU_CYCLE_1) | instskip(NEXT) | instid1(VALU_DEP_1)
	s_or_b32 exec_lo, exec_lo, s13
	v_dual_mul_f32 v5, v5, v4 :: v_dual_mov_b32 v9, v3
                                        ; implicit-def: $vgpr4
	s_delay_alu instid0(VALU_DEP_1) | instskip(SKIP_1) | instid1(VALU_DEP_2)
	v_and_b32_e32 v8, 0x7f800000, v5
	v_and_b32_e32 v2, 0x7fffff, v5
	v_cmp_ne_u64_e32 vcc_lo, 0x7f800000, v[8:9]
	v_lshrrev_b32_e32 v8, 24, v5
	s_and_saveexec_b32 s13, vcc_lo
	s_delay_alu instid0(SALU_CYCLE_1)
	s_xor_b32 s42, exec_lo, s13
	s_cbranch_execz .LBB4_7094
; %bb.7081:                             ;   in Loop: Header=BB4_5820 Depth=3
	v_and_b32_e32 v10, 0x7fffffff, v5
	v_mov_b32_e32 v11, v3
                                        ; implicit-def: $vgpr4
	s_delay_alu instid0(VALU_DEP_1) | instskip(SKIP_2) | instid1(SALU_CYCLE_1)
	v_cmp_gt_u64_e32 vcc_lo, 0x47600001, v[10:11]
	v_and_b32_e32 v10, 0x80, v8
	s_and_saveexec_b32 s13, vcc_lo
	s_xor_b32 s43, exec_lo, s13
	s_cbranch_execz .LBB4_7091
; %bb.7082:                             ;   in Loop: Header=BB4_5820 Depth=3
	v_mov_b32_e32 v4, 0
	s_mov_b32 s72, exec_lo
	v_cmpx_ne_u32_e32 0, v5
	s_cbranch_execz .LBB4_7090
; %bb.7083:                             ;   in Loop: Header=BB4_5820 Depth=3
	v_bfe_u32 v11, v5, 23, 8
	v_or_b32_e32 v5, 0x800000, v2
	s_delay_alu instid0(VALU_DEP_2) | instskip(SKIP_2) | instid1(VALU_DEP_2)
	v_cmp_gt_u32_e64 s13, 0x72, v11
	v_sub_nc_u32_e32 v4, 0x71, v11
	v_cmp_eq_u32_e32 vcc_lo, 0, v11
	v_cndmask_b32_e64 v4, 0, v4, s13
	s_delay_alu instid0(VALU_DEP_1) | instskip(SKIP_1) | instid1(VALU_DEP_2)
	v_cndmask_b32_e64 v14, v4, 0x70, vcc_lo
	v_dual_cndmask_b32 v4, v5, v2 :: v_dual_mov_b32 v5, v3
	v_add_nc_u32_e32 v2, 21, v14
	s_delay_alu instid0(VALU_DEP_1) | instskip(SKIP_1) | instid1(VALU_DEP_1)
	v_lshlrev_b64_e64 v[8:9], v2, -1
	v_add_nc_u32_e32 v2, 20, v14
	v_lshlrev_b64_e64 v[56:57], v2, 1
	s_delay_alu instid0(VALU_DEP_3) | instskip(SKIP_2) | instid1(VALU_DEP_1)
	v_bfi_b32 v8, v8, 0, v4
	v_lshrrev_b64 v[4:5], v14, v[4:5]
	v_bfi_b32 v9, v9, 0, 0
	v_cmp_eq_u64_e64 s13, v[8:9], v[56:57]
	s_delay_alu instid0(VALU_DEP_3)
	v_mov_b64_e32 v[8:9], v[4:5]
	s_and_saveexec_b32 s73, s13
; %bb.7084:                             ;   in Loop: Header=BB4_5820 Depth=3
	v_bfe_u32 v8, v4, 21, 1
	v_mov_b32_e32 v9, v3
	s_delay_alu instid0(VALU_DEP_1) | instskip(NEXT) | instid1(VALU_DEP_1)
	v_add_nc_u64_e32 v[8:9], v[4:5], v[8:9]
	v_add_nc_u64_e32 v[8:9], -1, v[8:9]
; %bb.7085:                             ;   in Loop: Header=BB4_5820 Depth=3
	s_or_b32 exec_lo, exec_lo, s73
	v_add_nc_u32_e32 v2, 0xffffff81, v11
	v_lshrrev_b32_e32 v5, 23, v4
	s_mov_b32 s13, exec_lo
	s_delay_alu instid0(VALU_DEP_2) | instskip(NEXT) | instid1(VALU_DEP_1)
	v_cndmask_b32_e64 v2, v2, 0xffffff82, vcc_lo
	v_add3_u32 v9, v14, v2, v5
	v_and_b32_e32 v2, 0x1fffff, v8
                                        ; implicit-def: $vgpr8
	s_delay_alu instid0(VALU_DEP_1) | instskip(NEXT) | instid1(VALU_DEP_1)
	v_dual_add_nc_u32 v11, 14, v9 :: v_dual_add_nc_u32 v2, v2, v4
                                        ; implicit-def: $vgpr4_vgpr5
	v_cmpx_ne_u32_e32 0, v11
	s_xor_b32 s13, exec_lo, s13
; %bb.7086:                             ;   in Loop: Header=BB4_5820 Depth=3
	s_delay_alu instid0(VALU_DEP_2) | instskip(SKIP_1) | instid1(VALU_DEP_1)
	v_cmp_lt_u64_e32 vcc_lo, 0xffffff, v[2:3]
	v_add_nc_u32_e32 v4, 15, v9
	v_cndmask_b32_e32 v8, v11, v4, vcc_lo
	v_cndmask_b32_e64 v4, 0, 1, vcc_lo
	s_delay_alu instid0(VALU_DEP_1)
	v_lshrrev_b64 v[4:5], v4, v[2:3]
; %bb.7087:                             ;   in Loop: Header=BB4_5820 Depth=3
	s_and_not1_saveexec_b32 s13, s13
; %bb.7088:                             ;   in Loop: Header=BB4_5820 Depth=3
	v_mov_b64_e32 v[4:5], v[2:3]
	v_bfe_u32 v8, v2, 23, 1
; %bb.7089:                             ;   in Loop: Header=BB4_5820 Depth=3
	s_or_b32 exec_lo, exec_lo, s13
	s_delay_alu instid0(VALU_DEP_2) | instskip(NEXT) | instid1(VALU_DEP_2)
	v_lshrrev_b64 v[4:5], 21, v[4:5]
	v_cmp_gt_i32_e32 vcc_lo, 32, v8
	v_min_i32_e32 v2, 31, v8
	v_cmp_eq_u32_e64 s13, 0, v8
	s_delay_alu instid0(VALU_DEP_2) | instskip(SKIP_1) | instid1(VALU_DEP_2)
	v_dual_cndmask_b32 v5, 0, v5 :: v_dual_lshlrev_b32 v2, 2, v2
	v_cndmask_b32_e32 v4, 3, v4, vcc_lo
	v_and_b32_e32 v2, 0xfc, v2
	s_delay_alu instid0(VALU_DEP_2) | instskip(NEXT) | instid1(VALU_DEP_2)
	v_cmp_eq_u64_e32 vcc_lo, 0, v[4:5]
	v_and_or_b32 v2, v4, 3, v2
	s_and_b32 s13, s13, vcc_lo
	s_delay_alu instid0(VALU_DEP_1) | instid1(SALU_CYCLE_1)
	v_cndmask_b32_e64 v2, v2, 0, s13
	s_delay_alu instid0(VALU_DEP_1)
	v_or_b32_e32 v4, v2, v10
.LBB4_7090:                             ;   in Loop: Header=BB4_5820 Depth=3
	s_or_b32 exec_lo, exec_lo, s72
                                        ; implicit-def: $vgpr10
.LBB4_7091:                             ;   in Loop: Header=BB4_5820 Depth=3
	s_and_not1_saveexec_b32 s13, s43
; %bb.7092:                             ;   in Loop: Header=BB4_5820 Depth=3
	v_or_b32_e32 v4, 0x7b, v10
; %bb.7093:                             ;   in Loop: Header=BB4_5820 Depth=3
	s_or_b32 exec_lo, exec_lo, s13
                                        ; implicit-def: $vgpr5
                                        ; implicit-def: $vgpr8
.LBB4_7094:                             ;   in Loop: Header=BB4_5820 Depth=3
	s_and_not1_saveexec_b32 s13, s42
	s_cbranch_execz .LBB4_5819
; %bb.7095:                             ;   in Loop: Header=BB4_5820 Depth=3
	s_mov_b32 s42, exec_lo
                                        ; implicit-def: $vgpr4
	v_cmpx_ne_u64_e32 0, v[2:3]
	s_xor_b32 s42, exec_lo, s42
; %bb.7096:                             ;   in Loop: Header=BB4_5820 Depth=3
	v_or_b32_e32 v4, 0x7f, v8
                                        ; implicit-def: $vgpr5
; %bb.7097:                             ;   in Loop: Header=BB4_5820 Depth=3
	s_and_not1_saveexec_b32 s42, s42
	s_cbranch_execz .LBB4_5818
; %bb.7098:                             ;   in Loop: Header=BB4_5820 Depth=3
	v_cmp_lt_i32_e32 vcc_lo, -1, v5
	v_cndmask_b32_e32 v4, 0xfc, v113, vcc_lo
	s_branch .LBB4_5818
.LBB4_7099:                             ;   in Loop: Header=BB4_3099 Depth=2
	s_or_b32 exec_lo, exec_lo, s15
	v_mov_b64_e32 v[60:61], 0
	v_add_nc_u64_e32 v[62:63], 0x200, v[86:87]
	v_mov_b64_e32 v[56:57], v[74:75]
.LBB4_7100:                             ;   in Loop: Header=BB4_3099 Depth=2
	s_or_b32 exec_lo, exec_lo, s14
	v_dual_lshlrev_b32 v27, 10, v27 :: v_dual_mov_b32 v41, 0
	s_mov_b32 s13, 0
	s_mov_b32 s15, exec_lo
                                        ; implicit-def: $vgpr43
                                        ; implicit-def: $vgpr122
                                        ; implicit-def: $vgpr2
	s_delay_alu instid0(VALU_DEP_1)
	v_cmpx_ne_u32_e64 v88, v27
	s_cbranch_execz .LBB4_7684
; %bb.7101:                             ;   in Loop: Header=BB4_3099 Depth=2
	scratch_load_b32 v4, off, s33 offset:196 ; 4-byte Folded Reload
	v_dual_lshlrev_b32 v2, 5, v26 :: v_dual_sub_nc_u32 v5, v88, v27
	s_mov_b32 s42, exec_lo
	s_delay_alu instid0(VALU_DEP_1) | instskip(SKIP_1) | instid1(VALU_DEP_1)
	v_ashrrev_i32_e32 v8, 31, v5
	s_wait_loadcnt 0x0
	v_dual_lshrrev_b32 v8, 23, v8 :: v_dual_sub_nc_u32 v2, v4, v2
	s_delay_alu instid0(VALU_DEP_1) | instskip(NEXT) | instid1(VALU_DEP_1)
	v_ashrrev_i32_e32 v4, 31, v2
	v_lshrrev_b32_e32 v4, 27, v4
	s_delay_alu instid0(VALU_DEP_1) | instskip(NEXT) | instid1(VALU_DEP_1)
	v_add_nc_u32_e32 v4, v2, v4
	v_and_b32_e32 v9, 0xffffffe0, v4
	s_delay_alu instid0(VALU_DEP_1) | instskip(NEXT) | instid1(VALU_DEP_1)
	v_dual_sub_nc_u32 v28, v2, v9 :: v_dual_ashrrev_i32 v4, 5, v4
	v_lshlrev_b32_e32 v2, 4, v28
	s_delay_alu instid0(VALU_DEP_1) | instskip(NEXT) | instid1(VALU_DEP_1)
	v_lshl_add_u32 v2, v4, 9, v2
	v_dual_add_nc_u32 v8, v5, v8 :: v_dual_sub_nc_u32 v31, v5, v2
	s_delay_alu instid0(VALU_DEP_1) | instskip(NEXT) | instid1(VALU_DEP_1)
	v_and_b32_e32 v26, 0xfffffe00, v8
	v_dual_ashrrev_i32 v8, 9, v8 :: v_dual_sub_nc_u32 v29, v5, v26
	s_delay_alu instid0(VALU_DEP_1) | instskip(NEXT) | instid1(VALU_DEP_2)
	v_cmp_lt_i32_e32 vcc_lo, 15, v29
	v_add_co_ci_u32_e64 v8, null, 0, v8, vcc_lo
	s_delay_alu instid0(VALU_DEP_1)
	v_sub_nc_u32_e32 v30, v8, v4
	s_wait_xcnt 0x0
	v_cmpx_lt_i32_e32 15, v31
	s_cbranch_execz .LBB4_7681
; %bb.7102:                             ;   in Loop: Header=BB4_3099 Depth=2
	s_trap 2
	ds_load_b64 v[4:5], v0
	v_add_nc_u32_e32 v8, v2, v27
	s_mov_b32 s43, 0
	s_delay_alu instid0(VALU_DEP_1) | instskip(NEXT) | instid1(VALU_DEP_1)
	v_ashrrev_i32_e32 v9, 31, v8
	v_add_nc_u64_e32 v[16:17], v[8:9], v[56:57]
	s_wait_dscnt 0x0
	v_add_nc_u64_e32 v[18:19], v[4:5], v[8:9]
	scratch_load_b64 v[4:5], off, s33 offset:224 ; 8-byte Folded Reload
	s_wait_loadcnt 0x0
	v_add_nc_u64_e32 v[20:21], v[8:9], v[4:5]
	s_branch .LBB4_7105
.LBB4_7103:                             ;   in Loop: Header=BB4_7105 Depth=3
	s_or_b32 exec_lo, exec_lo, s72
.LBB4_7104:                             ;   in Loop: Header=BB4_7105 Depth=3
	s_delay_alu instid0(SALU_CYCLE_1)
	s_or_b32 exec_lo, exec_lo, s14
	v_lshl_or_b32 v2, v25, 8, v24
	v_dual_lshlrev_b32 v5, 16, v22 :: v_dual_lshlrev_b32 v8, 24, v23
	v_lshl_or_b32 v10, v67, 8, v66
	v_dual_lshlrev_b32 v11, 16, v84 :: v_dual_lshlrev_b32 v14, 24, v85
	;; [unrolled: 2-line block ×3, first 2 shown]
	v_dual_lshlrev_b32 v4, 24, v4 :: v_dual_sub_nc_u32 v31, v31, v70
	v_lshlrev_b32_e32 v24, 16, v116
	v_lshl_or_b32 v12, v13, 8, v12
	v_or3_b32 v9, v2, v5, v8
	v_or3_b32 v8, v10, v11, v14
	v_or3_b32 v10, v15, v22, v23
	v_add_nc_u64_e32 v[16:17], v[16:17], v[70:71]
	v_or3_b32 v11, v12, v24, v4
	v_add_nc_u64_e32 v[18:19], v[18:19], v[70:71]
	v_cmp_gt_i32_e64 s13, 16, v31
	v_sub_nc_u32_e32 v30, v30, v52
	global_store_b128 v[20:21], v[8:11], off th:TH_STORE_NT
	s_wait_xcnt 0x0
	v_add_nc_u64_e32 v[20:21], v[20:21], v[70:71]
	s_or_b32 s43, s13, s43
	s_delay_alu instid0(SALU_CYCLE_1)
	s_and_not1_b32 exec_lo, exec_lo, s43
	s_cbranch_execz .LBB4_7680
.LBB4_7105:                             ;   Parent Loop BB4_47 Depth=1
                                        ;     Parent Loop BB4_3099 Depth=2
                                        ; =>    This Inner Loop Header: Depth=3
	global_load_b128 v[12:15], v[16:17], off th:TH_LOAD_NT
	global_load_b128 v[8:11], v[18:19], off th:TH_LOAD_NT
	s_wait_loadcnt 0x1
	v_and_b32_e32 v2, 0xff, v12
	s_delay_alu instid0(VALU_DEP_1)
	v_cmp_ne_u16_e64 s13, 0, v2
	v_mov_b32_e32 v2, 0
	s_wait_xcnt 0x0
	s_and_saveexec_b32 s14, s13
	s_cbranch_execz .LBB4_7115
; %bb.7106:                             ;   in Loop: Header=BB4_7105 Depth=3
	v_bfe_i32 v5, v12, 0, 8
	v_bfrev_b32_e32 v2, 1
	s_mov_b32 s72, exec_lo
	s_delay_alu instid0(VALU_DEP_2)
	v_cmpx_ne_u16_e32 0xff80, v5
	s_cbranch_execz .LBB4_7114
; %bb.7107:                             ;   in Loop: Header=BB4_7105 Depth=3
	v_and_b32_e32 v2, 0x7c, v12
	v_and_b32_e32 v4, 3, v12
	s_delay_alu instid0(VALU_DEP_2) | instskip(SKIP_1) | instid1(SALU_CYCLE_1)
	v_cmp_ne_u32_e64 s13, 0x7c, v2
                                        ; implicit-def: $vgpr2
	s_and_saveexec_b32 s73, s13
	s_xor_b32 s73, exec_lo, s73
	s_cbranch_execz .LBB4_7111
; %bb.7108:                             ;   in Loop: Header=BB4_7105 Depth=3
	v_bfe_u32 v2, v12, 2, 5
	s_mov_b32 s74, exec_lo
	s_delay_alu instid0(VALU_DEP_1)
	v_cmpx_eq_u32_e32 0, v2
; %bb.7109:                             ;   in Loop: Header=BB4_7105 Depth=3
	v_clz_i32_u32_e32 v2, v4
	s_delay_alu instid0(VALU_DEP_1) | instskip(NEXT) | instid1(VALU_DEP_1)
	v_min_u32_e32 v2, 32, v2
	v_subrev_nc_u32_e32 v4, 29, v2
	s_delay_alu instid0(VALU_DEP_1) | instskip(NEXT) | instid1(VALU_DEP_1)
	v_lshlrev_b64_e32 v[4:5], v4, v[12:13]
	v_dual_sub_nc_u32 v2, 30, v2 :: v_dual_bitop2_b32 v4, 3, v4 bitop3:0x40
; %bb.7110:                             ;   in Loop: Header=BB4_7105 Depth=3
	s_or_b32 exec_lo, exec_lo, s74
	v_lshlrev_b32_e32 v5, 24, v12
	s_delay_alu instid0(VALU_DEP_1) | instskip(NEXT) | instid1(VALU_DEP_1)
	v_and_b32_e32 v5, 0x80000000, v5
	v_lshl_add_u32 v2, v2, 23, v5
                                        ; implicit-def: $vgpr5
	s_delay_alu instid0(VALU_DEP_1) | instskip(NEXT) | instid1(VALU_DEP_1)
	v_lshl_or_b32 v2, v4, 21, v2
                                        ; implicit-def: $vgpr4
	v_add_nc_u32_e32 v2, 0x38000000, v2
.LBB4_7111:                             ;   in Loop: Header=BB4_7105 Depth=3
	s_and_not1_saveexec_b32 s73, s73
; %bb.7112:                             ;   in Loop: Header=BB4_7105 Depth=3
	v_cmp_lt_i16_e64 s13, -1, v5
	s_delay_alu instid0(VALU_DEP_1) | instskip(SKIP_1) | instid1(VALU_DEP_1)
	v_cndmask_b32_e64 v2, 0xff800000, v112, s13
	v_cmp_eq_u32_e64 s13, 0, v4
	v_cndmask_b32_e64 v2, 0x7f800001, v2, s13
; %bb.7113:                             ;   in Loop: Header=BB4_7105 Depth=3
	s_or_b32 exec_lo, exec_lo, s73
.LBB4_7114:                             ;   in Loop: Header=BB4_7105 Depth=3
	s_delay_alu instid0(SALU_CYCLE_1)
	s_or_b32 exec_lo, exec_lo, s72
.LBB4_7115:                             ;   in Loop: Header=BB4_7105 Depth=3
	s_delay_alu instid0(SALU_CYCLE_1) | instskip(SKIP_4) | instid1(VALU_DEP_1)
	s_or_b32 exec_lo, exec_lo, s14
	s_wait_loadcnt 0x0
	v_and_b32_e32 v5, 0xff, v8
	s_mov_b32 s72, 0
	s_mov_b32 s14, exec_lo
	v_cmpx_lt_i16_e32 0x7f, v5
	s_xor_b32 s14, exec_lo, s14
	s_cbranch_execz .LBB4_7656
; %bb.7116:                             ;   in Loop: Header=BB4_7105 Depth=3
	s_mov_b32 s72, -1
	s_mov_b32 s73, exec_lo
	v_cmpx_eq_u16_e32 0x80, v5
; %bb.7117:                             ;   in Loop: Header=BB4_7105 Depth=3
	s_xor_b32 s72, exec_lo, -1
; %bb.7118:                             ;   in Loop: Header=BB4_7105 Depth=3
	s_or_b32 exec_lo, exec_lo, s73
	s_delay_alu instid0(SALU_CYCLE_1)
	s_and_b32 s72, s72, exec_lo
                                        ; implicit-def: $vgpr5
	s_or_saveexec_b32 s14, s14
	v_bfrev_b32_e32 v4, 1
	s_xor_b32 exec_lo, exec_lo, s14
	s_cbranch_execnz .LBB4_7657
.LBB4_7119:                             ;   in Loop: Header=BB4_7105 Depth=3
	s_or_b32 exec_lo, exec_lo, s14
	s_and_saveexec_b32 s14, s72
	s_cbranch_execz .LBB4_7121
.LBB4_7120:                             ;   in Loop: Header=BB4_7105 Depth=3
	v_and_b32_e32 v22, 3, v8
	v_bfe_u32 v24, v8, 2, 5
	s_delay_alu instid0(VALU_DEP_2) | instskip(NEXT) | instid1(VALU_DEP_2)
	v_clz_i32_u32_e32 v4, v22
	v_cmp_eq_u32_e64 s13, 0, v24
	s_delay_alu instid0(VALU_DEP_2) | instskip(NEXT) | instid1(VALU_DEP_1)
	v_min_u32_e32 v23, 32, v4
	v_subrev_nc_u32_e32 v4, 29, v23
	s_delay_alu instid0(VALU_DEP_1) | instskip(SKIP_1) | instid1(VALU_DEP_1)
	v_lshlrev_b64_e32 v[4:5], v4, v[8:9]
	v_dual_lshlrev_b32 v5, 24, v8 :: v_dual_sub_nc_u32 v23, 30, v23
	v_and_b32_e32 v5, 0x80000000, v5
	s_delay_alu instid0(VALU_DEP_2) | instskip(SKIP_1) | instid1(VALU_DEP_2)
	v_dual_cndmask_b32 v23, v24, v23, s13 :: v_dual_bitop2_b32 v4, 3, v4 bitop3:0x40
	v_bfe_i32 v24, v8, 0, 8
	v_cndmask_b32_e64 v4, v22, v4, s13
	s_delay_alu instid0(VALU_DEP_3) | instskip(NEXT) | instid1(VALU_DEP_3)
	v_lshl_add_u32 v5, v23, 23, v5
	v_cmp_lt_i16_e64 s13, -1, v24
	s_delay_alu instid0(VALU_DEP_2) | instskip(NEXT) | instid1(VALU_DEP_2)
	v_lshl_or_b32 v4, v4, 21, v5
	v_cndmask_b32_e64 v23, 0xff800000, v112, s13
	v_and_b32_e32 v5, 0x7c, v8
	v_cmp_eq_u32_e64 s13, 0, v22
	s_delay_alu instid0(VALU_DEP_4) | instskip(NEXT) | instid1(VALU_DEP_2)
	v_add_nc_u32_e32 v4, 0x38000000, v4
	v_cndmask_b32_e64 v22, 0x7f800001, v23, s13
	s_delay_alu instid0(VALU_DEP_4) | instskip(NEXT) | instid1(VALU_DEP_1)
	v_cmp_eq_u32_e64 s13, 0x7c, v5
	v_cndmask_b32_e64 v4, v4, v22, s13
.LBB4_7121:                             ;   in Loop: Header=BB4_7105 Depth=3
	s_or_b32 exec_lo, exec_lo, s14
	s_delay_alu instid0(VALU_DEP_1) | instskip(SKIP_1) | instid1(VALU_DEP_1)
	v_dual_mul_f32 v4, v2, v4 :: v_dual_mov_b32 v23, v3
                                        ; implicit-def: $vgpr66
	s_mov_b32 s14, exec_lo
	v_and_b32_e32 v22, 0x7f800000, v4
	v_and_b32_e32 v2, 0x7fffff, v4
	v_lshrrev_b32_e32 v5, 24, v4
	s_delay_alu instid0(VALU_DEP_3)
	v_cmpx_ne_u64_e32 0x7f800000, v[22:23]
	s_xor_b32 s72, exec_lo, s14
	s_cbranch_execz .LBB4_7135
; %bb.7122:                             ;   in Loop: Header=BB4_7105 Depth=3
	v_and_b32_e32 v22, 0x7fffffff, v4
	v_mov_b32_e32 v23, v3
	v_and_b32_e32 v24, 0x80, v5
                                        ; implicit-def: $vgpr66
	s_mov_b32 s14, exec_lo
	s_delay_alu instid0(VALU_DEP_2)
	v_cmpx_gt_u64_e32 0x47600001, v[22:23]
	s_xor_b32 s73, exec_lo, s14
	s_cbranch_execz .LBB4_7132
; %bb.7123:                             ;   in Loop: Header=BB4_7105 Depth=3
	v_mov_b32_e32 v66, 0
	s_mov_b32 s74, exec_lo
	v_cmpx_ne_u32_e32 0, v4
	s_cbranch_execz .LBB4_7131
; %bb.7124:                             ;   in Loop: Header=BB4_7105 Depth=3
	v_bfe_u32 v25, v4, 23, 8
	v_or_b32_e32 v22, 0x800000, v2
	s_mov_b32 s75, exec_lo
	s_delay_alu instid0(VALU_DEP_2) | instskip(SKIP_1) | instid1(VALU_DEP_1)
	v_dual_mov_b32 v23, v3 :: v_dual_sub_nc_u32 v4, 0x71, v25
	v_cmp_gt_u32_e64 s13, 0x72, v25
	v_cndmask_b32_e64 v4, 0, v4, s13
	v_cmp_eq_u32_e64 s13, 0, v25
	s_delay_alu instid0(VALU_DEP_1) | instskip(SKIP_1) | instid1(VALU_DEP_2)
	v_cndmask_b32_e64 v66, v4, 0x70, s13
	v_cndmask_b32_e64 v22, v22, v2, s13
	v_dual_add_nc_u32 v4, 21, v66 :: v_dual_add_nc_u32 v67, 20, v66
	s_delay_alu instid0(VALU_DEP_1) | instskip(NEXT) | instid1(VALU_DEP_2)
	v_lshlrev_b64_e64 v[4:5], v4, -1
	v_lshlrev_b64_e64 v[84:85], v67, 1
	s_delay_alu instid0(VALU_DEP_2) | instskip(NEXT) | instid1(VALU_DEP_3)
	v_bfi_b32 v101, v5, 0, 0
	v_bfi_b32 v100, v4, 0, v22
	v_lshrrev_b64 v[4:5], v66, v[22:23]
	s_delay_alu instid0(VALU_DEP_1) | instskip(NEXT) | instid1(VALU_DEP_3)
	v_mov_b64_e32 v[22:23], v[4:5]
	v_cmpx_eq_u64_e64 v[100:101], v[84:85]
; %bb.7125:                             ;   in Loop: Header=BB4_7105 Depth=3
	v_bfe_u32 v22, v4, 21, 1
	v_mov_b32_e32 v23, v3
	s_delay_alu instid0(VALU_DEP_1) | instskip(NEXT) | instid1(VALU_DEP_1)
	v_add_nc_u64_e32 v[22:23], v[4:5], v[22:23]
	v_add_nc_u64_e32 v[22:23], -1, v[22:23]
; %bb.7126:                             ;   in Loop: Header=BB4_7105 Depth=3
	s_or_b32 exec_lo, exec_lo, s75
	v_add_nc_u32_e32 v2, 0xffffff81, v25
	v_lshrrev_b32_e32 v5, 23, v4
	s_mov_b32 s14, exec_lo
	s_delay_alu instid0(VALU_DEP_2) | instskip(NEXT) | instid1(VALU_DEP_1)
	v_cndmask_b32_e64 v2, v2, 0xffffff82, s13
	v_add3_u32 v23, v66, v2, v5
	v_and_b32_e32 v2, 0x1fffff, v22
                                        ; implicit-def: $vgpr22
	s_delay_alu instid0(VALU_DEP_1) | instskip(NEXT) | instid1(VALU_DEP_1)
	v_dual_add_nc_u32 v25, 14, v23 :: v_dual_add_nc_u32 v2, v2, v4
                                        ; implicit-def: $vgpr4_vgpr5
	v_cmpx_ne_u32_e32 0, v25
	s_xor_b32 s14, exec_lo, s14
; %bb.7127:                             ;   in Loop: Header=BB4_7105 Depth=3
	s_delay_alu instid0(VALU_DEP_2) | instskip(SKIP_1) | instid1(VALU_DEP_1)
	v_cmp_lt_u64_e64 s13, 0xffffff, v[2:3]
	v_add_nc_u32_e32 v4, 15, v23
	v_cndmask_b32_e64 v22, v25, v4, s13
	v_cndmask_b32_e64 v4, 0, 1, s13
	s_delay_alu instid0(VALU_DEP_1)
	v_lshrrev_b64 v[4:5], v4, v[2:3]
; %bb.7128:                             ;   in Loop: Header=BB4_7105 Depth=3
	s_and_not1_saveexec_b32 s13, s14
; %bb.7129:                             ;   in Loop: Header=BB4_7105 Depth=3
	v_mov_b64_e32 v[4:5], v[2:3]
	v_bfe_u32 v22, v2, 23, 1
; %bb.7130:                             ;   in Loop: Header=BB4_7105 Depth=3
	s_or_b32 exec_lo, exec_lo, s13
	s_delay_alu instid0(VALU_DEP_2) | instskip(NEXT) | instid1(VALU_DEP_2)
	v_lshrrev_b64 v[4:5], 21, v[4:5]
	v_cmp_gt_i32_e64 s13, 32, v22
	v_min_i32_e32 v2, 31, v22
	v_cmp_eq_u32_e64 s14, 0, v22
	s_delay_alu instid0(VALU_DEP_2) | instskip(SKIP_1) | instid1(VALU_DEP_2)
	v_dual_cndmask_b32 v5, 0, v5, s13 :: v_dual_lshlrev_b32 v2, 2, v2
	v_cndmask_b32_e64 v4, 3, v4, s13
	v_and_b32_e32 v2, 0xfc, v2
	s_delay_alu instid0(VALU_DEP_2) | instskip(NEXT) | instid1(VALU_DEP_2)
	v_cmp_eq_u64_e64 s13, 0, v[4:5]
	v_and_or_b32 v2, v4, 3, v2
	s_and_b32 s13, s14, s13
	s_delay_alu instid0(VALU_DEP_1) | instid1(SALU_CYCLE_1)
	v_cndmask_b32_e64 v2, v2, 0, s13
	s_delay_alu instid0(VALU_DEP_1)
	v_or_b32_e32 v66, v2, v24
.LBB4_7131:                             ;   in Loop: Header=BB4_7105 Depth=3
	s_or_b32 exec_lo, exec_lo, s74
                                        ; implicit-def: $vgpr24
.LBB4_7132:                             ;   in Loop: Header=BB4_7105 Depth=3
	s_and_not1_saveexec_b32 s13, s73
; %bb.7133:                             ;   in Loop: Header=BB4_7105 Depth=3
	v_or_b32_e32 v66, 0x7b, v24
; %bb.7134:                             ;   in Loop: Header=BB4_7105 Depth=3
	s_or_b32 exec_lo, exec_lo, s13
                                        ; implicit-def: $vgpr4
                                        ; implicit-def: $vgpr5
.LBB4_7135:                             ;   in Loop: Header=BB4_7105 Depth=3
	s_and_not1_saveexec_b32 s14, s72
	s_cbranch_execz .LBB4_7141
; %bb.7136:                             ;   in Loop: Header=BB4_7105 Depth=3
	v_cmp_ne_u64_e64 s13, 0, v[2:3]
                                        ; implicit-def: $vgpr66
	s_and_saveexec_b32 s72, s13
	s_delay_alu instid0(SALU_CYCLE_1)
	s_xor_b32 s13, exec_lo, s72
; %bb.7137:                             ;   in Loop: Header=BB4_7105 Depth=3
	v_or_b32_e32 v66, 0x7f, v5
                                        ; implicit-def: $vgpr4
; %bb.7138:                             ;   in Loop: Header=BB4_7105 Depth=3
	s_and_not1_saveexec_b32 s72, s13
; %bb.7139:                             ;   in Loop: Header=BB4_7105 Depth=3
	v_cmp_lt_i32_e64 s13, -1, v4
	s_delay_alu instid0(VALU_DEP_1)
	v_cndmask_b32_e64 v66, 0xfc, v113, s13
; %bb.7140:                             ;   in Loop: Header=BB4_7105 Depth=3
	s_or_b32 exec_lo, exec_lo, s72
.LBB4_7141:                             ;   in Loop: Header=BB4_7105 Depth=3
	s_delay_alu instid0(SALU_CYCLE_1) | instskip(SKIP_3) | instid1(VALU_DEP_2)
	s_or_b32 exec_lo, exec_lo, s14
	v_lshrrev_b16 v4, 8, v12
	v_mov_b32_e32 v2, 0
	s_mov_b32 s14, exec_lo
	v_cmpx_ne_u16_e32 0, v4
	s_cbranch_execz .LBB4_7151
; %bb.7142:                             ;   in Loop: Header=BB4_7105 Depth=3
	v_bfrev_b32_e32 v2, 1
	s_mov_b32 s72, exec_lo
	v_cmpx_ne_u16_e32 0x80, v4
	s_cbranch_execz .LBB4_7150
; %bb.7143:                             ;   in Loop: Header=BB4_7105 Depth=3
	v_and_b32_e32 v22, 0xffff, v4
	s_delay_alu instid0(VALU_DEP_1) | instskip(SKIP_1) | instid1(VALU_DEP_2)
	v_and_b32_e32 v2, 0x7c, v22
	v_and_b32_e32 v5, 3, v22
	v_cmp_ne_u32_e64 s13, 0x7c, v2
                                        ; implicit-def: $vgpr2
	s_and_saveexec_b32 s73, s13
	s_delay_alu instid0(SALU_CYCLE_1)
	s_xor_b32 s73, exec_lo, s73
	s_cbranch_execz .LBB4_7147
; %bb.7144:                             ;   in Loop: Header=BB4_7105 Depth=3
	v_bfe_u32 v2, v22, 2, 5
	s_mov_b32 s74, exec_lo
	s_delay_alu instid0(VALU_DEP_1)
	v_cmpx_eq_u32_e32 0, v2
	s_cbranch_execz .LBB4_7146
; %bb.7145:                             ;   in Loop: Header=BB4_7105 Depth=3
	v_clz_i32_u32_e32 v2, v5
	s_delay_alu instid0(VALU_DEP_1) | instskip(SKIP_1) | instid1(VALU_DEP_2)
	v_min_u32_e32 v2, 32, v2
	v_mov_b32_e32 v5, v3
	v_subrev_nc_u32_e32 v22, 29, v2
	v_sub_nc_u32_e32 v2, 30, v2
	s_delay_alu instid0(VALU_DEP_2) | instskip(NEXT) | instid1(VALU_DEP_1)
	v_lshlrev_b64_e32 v[4:5], v22, v[4:5]
	v_and_b32_e32 v5, 3, v4
.LBB4_7146:                             ;   in Loop: Header=BB4_7105 Depth=3
	s_or_b32 exec_lo, exec_lo, s74
	v_lshlrev_b32_e32 v4, 16, v12
	s_delay_alu instid0(VALU_DEP_1) | instskip(NEXT) | instid1(VALU_DEP_1)
	v_and_b32_e32 v4, 0x80000000, v4
	v_lshl_add_u32 v2, v2, 23, v4
	s_delay_alu instid0(VALU_DEP_1) | instskip(NEXT) | instid1(VALU_DEP_1)
	v_lshl_or_b32 v2, v5, 21, v2
                                        ; implicit-def: $vgpr5
	v_add_nc_u32_e32 v2, 0x38000000, v2
.LBB4_7147:                             ;   in Loop: Header=BB4_7105 Depth=3
	s_and_not1_saveexec_b32 s73, s73
; %bb.7148:                             ;   in Loop: Header=BB4_7105 Depth=3
	v_cmp_lt_i16_e64 s13, -1, v12
	s_delay_alu instid0(VALU_DEP_1) | instskip(SKIP_1) | instid1(VALU_DEP_1)
	v_cndmask_b32_e64 v2, 0xff800000, v112, s13
	v_cmp_eq_u32_e64 s13, 0, v5
	v_cndmask_b32_e64 v2, 0x7f800001, v2, s13
; %bb.7149:                             ;   in Loop: Header=BB4_7105 Depth=3
	s_or_b32 exec_lo, exec_lo, s73
.LBB4_7150:                             ;   in Loop: Header=BB4_7105 Depth=3
	s_delay_alu instid0(SALU_CYCLE_1)
	s_or_b32 exec_lo, exec_lo, s72
.LBB4_7151:                             ;   in Loop: Header=BB4_7105 Depth=3
	s_delay_alu instid0(SALU_CYCLE_1) | instskip(SKIP_3) | instid1(VALU_DEP_1)
	s_or_b32 exec_lo, exec_lo, s14
	v_lshrrev_b16 v4, 8, v8
	s_mov_b32 s72, 0
	s_mov_b32 s14, exec_lo
	v_cmpx_lt_i16_e32 0x7f, v4
	s_xor_b32 s14, exec_lo, s14
	s_cbranch_execz .LBB4_7658
; %bb.7152:                             ;   in Loop: Header=BB4_7105 Depth=3
	s_mov_b32 s72, -1
	s_mov_b32 s73, exec_lo
	v_cmpx_eq_u16_e32 0x80, v4
; %bb.7153:                             ;   in Loop: Header=BB4_7105 Depth=3
	s_xor_b32 s72, exec_lo, -1
; %bb.7154:                             ;   in Loop: Header=BB4_7105 Depth=3
	s_or_b32 exec_lo, exec_lo, s73
	s_delay_alu instid0(SALU_CYCLE_1)
	s_and_b32 s72, s72, exec_lo
	s_or_saveexec_b32 s14, s14
	v_bfrev_b32_e32 v5, 1
	s_xor_b32 exec_lo, exec_lo, s14
	s_cbranch_execnz .LBB4_7659
.LBB4_7155:                             ;   in Loop: Header=BB4_7105 Depth=3
	s_or_b32 exec_lo, exec_lo, s14
	s_and_saveexec_b32 s14, s72
	s_cbranch_execz .LBB4_7157
.LBB4_7156:                             ;   in Loop: Header=BB4_7105 Depth=3
	v_and_b32_e32 v24, 0xffff, v4
	s_delay_alu instid0(VALU_DEP_1) | instskip(NEXT) | instid1(VALU_DEP_1)
	v_and_b32_e32 v25, 3, v24
	v_clz_i32_u32_e32 v5, v25
	s_delay_alu instid0(VALU_DEP_1) | instskip(SKIP_1) | instid1(VALU_DEP_2)
	v_min_u32_e32 v67, 32, v5
	v_mov_b32_e32 v5, v3
	v_subrev_nc_u32_e32 v22, 29, v67
	s_delay_alu instid0(VALU_DEP_1) | instskip(SKIP_2) | instid1(VALU_DEP_2)
	v_lshlrev_b64_e32 v[22:23], v22, v[4:5]
	v_bfe_u32 v5, v24, 2, 5
	v_dual_lshlrev_b32 v4, 24, v4 :: v_dual_sub_nc_u32 v23, 30, v67
	v_cmp_eq_u32_e64 s13, 0, v5
	s_delay_alu instid0(VALU_DEP_2) | instskip(NEXT) | instid1(VALU_DEP_2)
	v_and_b32_e32 v4, 0x80000000, v4
	v_dual_cndmask_b32 v5, v5, v23, s13 :: v_dual_bitop2_b32 v22, 3, v22 bitop3:0x40
	s_delay_alu instid0(VALU_DEP_1) | instskip(SKIP_1) | instid1(VALU_DEP_3)
	v_cndmask_b32_e64 v22, v25, v22, s13
	v_cmp_lt_i16_e64 s13, -1, v8
	v_lshl_add_u32 v4, v5, 23, v4
	s_delay_alu instid0(VALU_DEP_2) | instskip(SKIP_1) | instid1(VALU_DEP_3)
	v_cndmask_b32_e64 v5, 0xff800000, v112, s13
	v_cmp_eq_u32_e64 s13, 0, v25
	v_lshl_or_b32 v4, v22, 21, v4
	v_and_b32_e32 v22, 0x7c, v24
	s_delay_alu instid0(VALU_DEP_3) | instskip(NEXT) | instid1(VALU_DEP_3)
	v_cndmask_b32_e64 v5, 0x7f800001, v5, s13
	v_add_nc_u32_e32 v4, 0x38000000, v4
	s_delay_alu instid0(VALU_DEP_3) | instskip(NEXT) | instid1(VALU_DEP_1)
	v_cmp_eq_u32_e64 s13, 0x7c, v22
	v_cndmask_b32_e64 v5, v4, v5, s13
.LBB4_7157:                             ;   in Loop: Header=BB4_7105 Depth=3
	s_or_b32 exec_lo, exec_lo, s14
	s_delay_alu instid0(VALU_DEP_1) | instskip(SKIP_1) | instid1(VALU_DEP_1)
	v_dual_mul_f32 v4, v2, v5 :: v_dual_mov_b32 v23, v3
                                        ; implicit-def: $vgpr67
	s_mov_b32 s14, exec_lo
	v_and_b32_e32 v22, 0x7f800000, v4
	v_and_b32_e32 v2, 0x7fffff, v4
	v_lshrrev_b32_e32 v5, 24, v4
	s_delay_alu instid0(VALU_DEP_3)
	v_cmpx_ne_u64_e32 0x7f800000, v[22:23]
	s_xor_b32 s72, exec_lo, s14
	s_cbranch_execz .LBB4_7171
; %bb.7158:                             ;   in Loop: Header=BB4_7105 Depth=3
	v_and_b32_e32 v22, 0x7fffffff, v4
	v_mov_b32_e32 v23, v3
	v_and_b32_e32 v24, 0x80, v5
                                        ; implicit-def: $vgpr67
	s_mov_b32 s14, exec_lo
	s_delay_alu instid0(VALU_DEP_2)
	v_cmpx_gt_u64_e32 0x47600001, v[22:23]
	s_xor_b32 s73, exec_lo, s14
	s_cbranch_execz .LBB4_7168
; %bb.7159:                             ;   in Loop: Header=BB4_7105 Depth=3
	v_mov_b32_e32 v67, 0
	s_mov_b32 s74, exec_lo
	v_cmpx_ne_u32_e32 0, v4
	s_cbranch_execz .LBB4_7167
; %bb.7160:                             ;   in Loop: Header=BB4_7105 Depth=3
	v_bfe_u32 v25, v4, 23, 8
	v_or_b32_e32 v22, 0x800000, v2
	s_mov_b32 s75, exec_lo
	s_delay_alu instid0(VALU_DEP_2) | instskip(SKIP_1) | instid1(VALU_DEP_1)
	v_dual_mov_b32 v23, v3 :: v_dual_sub_nc_u32 v4, 0x71, v25
	v_cmp_gt_u32_e64 s13, 0x72, v25
	v_cndmask_b32_e64 v4, 0, v4, s13
	v_cmp_eq_u32_e64 s13, 0, v25
	s_delay_alu instid0(VALU_DEP_1) | instskip(NEXT) | instid1(VALU_DEP_1)
	v_cndmask_b32_e64 v67, v4, 0x70, s13
	v_dual_cndmask_b32 v22, v22, v2, s13 :: v_dual_add_nc_u32 v4, 21, v67
	v_add_nc_u32_e32 v84, 20, v67
	s_delay_alu instid0(VALU_DEP_2) | instskip(NEXT) | instid1(VALU_DEP_2)
	v_lshlrev_b64_e64 v[4:5], v4, -1
	v_lshlrev_b64_e64 v[84:85], v84, 1
	s_delay_alu instid0(VALU_DEP_2) | instskip(NEXT) | instid1(VALU_DEP_3)
	v_bfi_b32 v101, v5, 0, 0
	v_bfi_b32 v100, v4, 0, v22
	v_lshrrev_b64 v[4:5], v67, v[22:23]
	s_delay_alu instid0(VALU_DEP_1) | instskip(NEXT) | instid1(VALU_DEP_3)
	v_mov_b64_e32 v[22:23], v[4:5]
	v_cmpx_eq_u64_e64 v[100:101], v[84:85]
; %bb.7161:                             ;   in Loop: Header=BB4_7105 Depth=3
	v_bfe_u32 v22, v4, 21, 1
	v_mov_b32_e32 v23, v3
	s_delay_alu instid0(VALU_DEP_1) | instskip(NEXT) | instid1(VALU_DEP_1)
	v_add_nc_u64_e32 v[22:23], v[4:5], v[22:23]
	v_add_nc_u64_e32 v[22:23], -1, v[22:23]
; %bb.7162:                             ;   in Loop: Header=BB4_7105 Depth=3
	s_or_b32 exec_lo, exec_lo, s75
	v_add_nc_u32_e32 v2, 0xffffff81, v25
	v_lshrrev_b32_e32 v5, 23, v4
	s_mov_b32 s14, exec_lo
	s_delay_alu instid0(VALU_DEP_2) | instskip(NEXT) | instid1(VALU_DEP_1)
	v_cndmask_b32_e64 v2, v2, 0xffffff82, s13
	v_add3_u32 v23, v67, v2, v5
	v_and_b32_e32 v2, 0x1fffff, v22
                                        ; implicit-def: $vgpr22
	s_delay_alu instid0(VALU_DEP_1) | instskip(NEXT) | instid1(VALU_DEP_1)
	v_dual_add_nc_u32 v25, 14, v23 :: v_dual_add_nc_u32 v2, v2, v4
                                        ; implicit-def: $vgpr4_vgpr5
	v_cmpx_ne_u32_e32 0, v25
	s_xor_b32 s14, exec_lo, s14
; %bb.7163:                             ;   in Loop: Header=BB4_7105 Depth=3
	s_delay_alu instid0(VALU_DEP_2) | instskip(SKIP_1) | instid1(VALU_DEP_1)
	v_cmp_lt_u64_e64 s13, 0xffffff, v[2:3]
	v_add_nc_u32_e32 v4, 15, v23
	v_cndmask_b32_e64 v22, v25, v4, s13
	v_cndmask_b32_e64 v4, 0, 1, s13
	s_delay_alu instid0(VALU_DEP_1)
	v_lshrrev_b64 v[4:5], v4, v[2:3]
; %bb.7164:                             ;   in Loop: Header=BB4_7105 Depth=3
	s_and_not1_saveexec_b32 s13, s14
; %bb.7165:                             ;   in Loop: Header=BB4_7105 Depth=3
	v_mov_b64_e32 v[4:5], v[2:3]
	v_bfe_u32 v22, v2, 23, 1
; %bb.7166:                             ;   in Loop: Header=BB4_7105 Depth=3
	s_or_b32 exec_lo, exec_lo, s13
	s_delay_alu instid0(VALU_DEP_2) | instskip(NEXT) | instid1(VALU_DEP_2)
	v_lshrrev_b64 v[4:5], 21, v[4:5]
	v_cmp_gt_i32_e64 s13, 32, v22
	v_min_i32_e32 v2, 31, v22
	v_cmp_eq_u32_e64 s14, 0, v22
	s_delay_alu instid0(VALU_DEP_2) | instskip(SKIP_1) | instid1(VALU_DEP_2)
	v_dual_cndmask_b32 v5, 0, v5, s13 :: v_dual_lshlrev_b32 v2, 2, v2
	v_cndmask_b32_e64 v4, 3, v4, s13
	v_and_b32_e32 v2, 0xfc, v2
	s_delay_alu instid0(VALU_DEP_2) | instskip(NEXT) | instid1(VALU_DEP_2)
	v_cmp_eq_u64_e64 s13, 0, v[4:5]
	v_and_or_b32 v2, v4, 3, v2
	s_and_b32 s13, s14, s13
	s_delay_alu instid0(VALU_DEP_1) | instid1(SALU_CYCLE_1)
	v_cndmask_b32_e64 v2, v2, 0, s13
	s_delay_alu instid0(VALU_DEP_1)
	v_or_b32_e32 v67, v2, v24
.LBB4_7167:                             ;   in Loop: Header=BB4_7105 Depth=3
	s_or_b32 exec_lo, exec_lo, s74
                                        ; implicit-def: $vgpr24
.LBB4_7168:                             ;   in Loop: Header=BB4_7105 Depth=3
	s_and_not1_saveexec_b32 s13, s73
; %bb.7169:                             ;   in Loop: Header=BB4_7105 Depth=3
	v_or_b32_e32 v67, 0x7b, v24
; %bb.7170:                             ;   in Loop: Header=BB4_7105 Depth=3
	s_or_b32 exec_lo, exec_lo, s13
                                        ; implicit-def: $vgpr4
                                        ; implicit-def: $vgpr5
.LBB4_7171:                             ;   in Loop: Header=BB4_7105 Depth=3
	s_and_not1_saveexec_b32 s14, s72
	s_cbranch_execz .LBB4_7177
; %bb.7172:                             ;   in Loop: Header=BB4_7105 Depth=3
	v_cmp_ne_u64_e64 s13, 0, v[2:3]
                                        ; implicit-def: $vgpr67
	s_and_saveexec_b32 s72, s13
	s_delay_alu instid0(SALU_CYCLE_1)
	s_xor_b32 s13, exec_lo, s72
; %bb.7173:                             ;   in Loop: Header=BB4_7105 Depth=3
	v_or_b32_e32 v67, 0x7f, v5
                                        ; implicit-def: $vgpr4
; %bb.7174:                             ;   in Loop: Header=BB4_7105 Depth=3
	s_and_not1_saveexec_b32 s72, s13
; %bb.7175:                             ;   in Loop: Header=BB4_7105 Depth=3
	v_cmp_lt_i32_e64 s13, -1, v4
	s_delay_alu instid0(VALU_DEP_1)
	v_cndmask_b32_e64 v67, 0xfc, v113, s13
; %bb.7176:                             ;   in Loop: Header=BB4_7105 Depth=3
	s_or_b32 exec_lo, exec_lo, s72
.LBB4_7177:                             ;   in Loop: Header=BB4_7105 Depth=3
	s_delay_alu instid0(SALU_CYCLE_1) | instskip(SKIP_2) | instid1(VALU_DEP_1)
	s_or_b32 exec_lo, exec_lo, s14
	v_dual_lshrrev_b32 v2, 16, v12 :: v_dual_mov_b32 v4, 0
	s_mov_b32 s14, exec_lo
	v_and_b32_e32 v5, 0xff, v2
	s_delay_alu instid0(VALU_DEP_1)
	v_cmpx_ne_u16_e32 0, v5
	s_cbranch_execz .LBB4_7187
; %bb.7178:                             ;   in Loop: Header=BB4_7105 Depth=3
	v_bfrev_b32_e32 v4, 1
	s_mov_b32 s72, exec_lo
	v_cmpx_ne_u16_e32 0x80, v5
	s_cbranch_execz .LBB4_7186
; %bb.7179:                             ;   in Loop: Header=BB4_7105 Depth=3
	v_and_b32_e32 v4, 0x7c0000, v12
	v_bfe_u32 v5, v12, 16, 2
	s_delay_alu instid0(VALU_DEP_2) | instskip(SKIP_1) | instid1(SALU_CYCLE_1)
	v_cmp_ne_u32_e64 s13, 0x7c0000, v4
                                        ; implicit-def: $vgpr4
	s_and_saveexec_b32 s73, s13
	s_xor_b32 s73, exec_lo, s73
	s_cbranch_execz .LBB4_7183
; %bb.7180:                             ;   in Loop: Header=BB4_7105 Depth=3
	v_bfe_u32 v4, v12, 18, 5
	s_mov_b32 s74, exec_lo
	s_delay_alu instid0(VALU_DEP_1)
	v_cmpx_eq_u32_e32 0, v4
; %bb.7181:                             ;   in Loop: Header=BB4_7105 Depth=3
	v_clz_i32_u32_e32 v4, v5
	s_delay_alu instid0(VALU_DEP_1) | instskip(NEXT) | instid1(VALU_DEP_1)
	v_min_u32_e32 v4, 32, v4
	v_subrev_nc_u32_e32 v5, 29, v4
	s_delay_alu instid0(VALU_DEP_1) | instskip(NEXT) | instid1(VALU_DEP_1)
	v_lshlrev_b64_e32 v[22:23], v5, v[2:3]
	v_dual_sub_nc_u32 v4, 30, v4 :: v_dual_bitop2_b32 v5, 3, v22 bitop3:0x40
; %bb.7182:                             ;   in Loop: Header=BB4_7105 Depth=3
	s_or_b32 exec_lo, exec_lo, s74
	v_lshlrev_b32_e32 v2, 24, v2
	s_delay_alu instid0(VALU_DEP_1) | instskip(NEXT) | instid1(VALU_DEP_1)
	v_and_b32_e32 v2, 0x80000000, v2
	v_lshl_add_u32 v2, v4, 23, v2
	s_delay_alu instid0(VALU_DEP_1) | instskip(NEXT) | instid1(VALU_DEP_1)
	v_lshl_or_b32 v2, v5, 21, v2
                                        ; implicit-def: $vgpr5
	v_add_nc_u32_e32 v4, 0x38000000, v2
                                        ; implicit-def: $vgpr2
.LBB4_7183:                             ;   in Loop: Header=BB4_7105 Depth=3
	s_and_not1_saveexec_b32 s73, s73
; %bb.7184:                             ;   in Loop: Header=BB4_7105 Depth=3
	v_bfe_i32 v2, v2, 0, 8
	s_delay_alu instid0(VALU_DEP_1) | instskip(NEXT) | instid1(VALU_DEP_1)
	v_cmp_lt_i16_e64 s13, -1, v2
	v_cndmask_b32_e64 v2, 0xff800000, v112, s13
	v_cmp_eq_u32_e64 s13, 0, v5
	s_delay_alu instid0(VALU_DEP_1)
	v_cndmask_b32_e64 v4, 0x7f800001, v2, s13
; %bb.7185:                             ;   in Loop: Header=BB4_7105 Depth=3
	s_or_b32 exec_lo, exec_lo, s73
.LBB4_7186:                             ;   in Loop: Header=BB4_7105 Depth=3
	s_delay_alu instid0(SALU_CYCLE_1)
	s_or_b32 exec_lo, exec_lo, s72
.LBB4_7187:                             ;   in Loop: Header=BB4_7105 Depth=3
	s_delay_alu instid0(SALU_CYCLE_1) | instskip(SKIP_3) | instid1(VALU_DEP_1)
	s_or_b32 exec_lo, exec_lo, s14
	v_lshrrev_b32_e32 v2, 16, v8
	s_mov_b32 s72, 0
	s_mov_b32 s14, exec_lo
	v_and_b32_e32 v22, 0xff, v2
	s_delay_alu instid0(VALU_DEP_1)
	v_cmpx_lt_i16_e32 0x7f, v22
	s_xor_b32 s14, exec_lo, s14
	s_cbranch_execz .LBB4_7660
; %bb.7188:                             ;   in Loop: Header=BB4_7105 Depth=3
	s_mov_b32 s72, -1
	s_mov_b32 s73, exec_lo
	v_cmpx_eq_u16_e32 0x80, v22
; %bb.7189:                             ;   in Loop: Header=BB4_7105 Depth=3
	s_xor_b32 s72, exec_lo, -1
; %bb.7190:                             ;   in Loop: Header=BB4_7105 Depth=3
	s_or_b32 exec_lo, exec_lo, s73
	s_delay_alu instid0(SALU_CYCLE_1)
	s_and_b32 s72, s72, exec_lo
                                        ; implicit-def: $vgpr22
	s_or_saveexec_b32 s14, s14
	v_bfrev_b32_e32 v5, 1
	s_xor_b32 exec_lo, exec_lo, s14
	s_cbranch_execnz .LBB4_7661
.LBB4_7191:                             ;   in Loop: Header=BB4_7105 Depth=3
	s_or_b32 exec_lo, exec_lo, s14
	s_and_saveexec_b32 s14, s72
	s_cbranch_execz .LBB4_7193
.LBB4_7192:                             ;   in Loop: Header=BB4_7105 Depth=3
	v_and_b32_e32 v5, 3, v2
	v_bfe_u32 v25, v8, 18, 5
	s_delay_alu instid0(VALU_DEP_2) | instskip(NEXT) | instid1(VALU_DEP_2)
	v_clz_i32_u32_e32 v22, v5
	v_cmp_eq_u32_e64 s13, 0, v25
	s_delay_alu instid0(VALU_DEP_2) | instskip(NEXT) | instid1(VALU_DEP_1)
	v_min_u32_e32 v24, 32, v22
	v_subrev_nc_u32_e32 v22, 29, v24
	s_delay_alu instid0(VALU_DEP_1) | instskip(SKIP_2) | instid1(VALU_DEP_2)
	v_lshlrev_b64_e32 v[22:23], v22, v[2:3]
	v_dual_lshlrev_b32 v23, 24, v2 :: v_dual_sub_nc_u32 v24, 30, v24
	v_bfe_i32 v2, v2, 0, 8
	v_and_b32_e32 v23, 0x80000000, v23
	s_delay_alu instid0(VALU_DEP_3) | instskip(NEXT) | instid1(VALU_DEP_1)
	v_dual_cndmask_b32 v24, v25, v24, s13 :: v_dual_bitop2_b32 v22, 3, v22 bitop3:0x40
	v_cndmask_b32_e64 v22, v5, v22, s13
	s_delay_alu instid0(VALU_DEP_2) | instskip(SKIP_1) | instid1(VALU_DEP_2)
	v_lshl_add_u32 v23, v24, 23, v23
	v_cmp_lt_i16_e64 s13, -1, v2
	v_lshl_or_b32 v22, v22, 21, v23
	s_delay_alu instid0(VALU_DEP_2) | instskip(SKIP_2) | instid1(VALU_DEP_4)
	v_cndmask_b32_e64 v2, 0xff800000, v112, s13
	v_and_b32_e32 v23, 0x7c0000, v8
	v_cmp_eq_u32_e64 s13, 0, v5
	v_add_nc_u32_e32 v5, 0x38000000, v22
	s_delay_alu instid0(VALU_DEP_2) | instskip(NEXT) | instid1(VALU_DEP_4)
	v_cndmask_b32_e64 v2, 0x7f800001, v2, s13
	v_cmp_eq_u32_e64 s13, 0x7c0000, v23
	s_delay_alu instid0(VALU_DEP_1)
	v_cndmask_b32_e64 v5, v5, v2, s13
.LBB4_7193:                             ;   in Loop: Header=BB4_7105 Depth=3
	s_or_b32 exec_lo, exec_lo, s14
	s_delay_alu instid0(VALU_DEP_1) | instskip(SKIP_1) | instid1(VALU_DEP_1)
	v_dual_mul_f32 v4, v4, v5 :: v_dual_mov_b32 v23, v3
                                        ; implicit-def: $vgpr84
	s_mov_b32 s14, exec_lo
	v_and_b32_e32 v22, 0x7f800000, v4
	v_and_b32_e32 v2, 0x7fffff, v4
	v_lshrrev_b32_e32 v5, 24, v4
	s_delay_alu instid0(VALU_DEP_3)
	v_cmpx_ne_u64_e32 0x7f800000, v[22:23]
	s_xor_b32 s72, exec_lo, s14
	s_cbranch_execz .LBB4_7207
; %bb.7194:                             ;   in Loop: Header=BB4_7105 Depth=3
	v_and_b32_e32 v22, 0x7fffffff, v4
	v_mov_b32_e32 v23, v3
	v_and_b32_e32 v24, 0x80, v5
                                        ; implicit-def: $vgpr84
	s_mov_b32 s14, exec_lo
	s_delay_alu instid0(VALU_DEP_2)
	v_cmpx_gt_u64_e32 0x47600001, v[22:23]
	s_xor_b32 s73, exec_lo, s14
	s_cbranch_execz .LBB4_7204
; %bb.7195:                             ;   in Loop: Header=BB4_7105 Depth=3
	v_mov_b32_e32 v84, 0
	s_mov_b32 s74, exec_lo
	v_cmpx_ne_u32_e32 0, v4
	s_cbranch_execz .LBB4_7203
; %bb.7196:                             ;   in Loop: Header=BB4_7105 Depth=3
	v_bfe_u32 v25, v4, 23, 8
	v_or_b32_e32 v22, 0x800000, v2
	s_mov_b32 s75, exec_lo
	s_delay_alu instid0(VALU_DEP_2) | instskip(SKIP_1) | instid1(VALU_DEP_1)
	v_dual_mov_b32 v23, v3 :: v_dual_sub_nc_u32 v4, 0x71, v25
	v_cmp_gt_u32_e64 s13, 0x72, v25
	v_cndmask_b32_e64 v4, 0, v4, s13
	v_cmp_eq_u32_e64 s13, 0, v25
	s_delay_alu instid0(VALU_DEP_1) | instskip(NEXT) | instid1(VALU_DEP_3)
	v_cndmask_b32_e64 v22, v22, v2, s13
	v_cndmask_b32_e64 v84, v4, 0x70, s13
	s_delay_alu instid0(VALU_DEP_1) | instskip(NEXT) | instid1(VALU_DEP_1)
	v_dual_add_nc_u32 v4, 21, v84 :: v_dual_add_nc_u32 v85, 20, v84
	v_lshlrev_b64_e64 v[4:5], v4, -1
	s_delay_alu instid0(VALU_DEP_2) | instskip(NEXT) | instid1(VALU_DEP_2)
	v_lshlrev_b64_e64 v[100:101], v85, 1
	v_bfi_b32 v103, v5, 0, 0
	s_delay_alu instid0(VALU_DEP_3) | instskip(SKIP_1) | instid1(VALU_DEP_1)
	v_bfi_b32 v102, v4, 0, v22
	v_lshrrev_b64 v[4:5], v84, v[22:23]
	v_mov_b64_e32 v[22:23], v[4:5]
	s_delay_alu instid0(VALU_DEP_3)
	v_cmpx_eq_u64_e64 v[102:103], v[100:101]
; %bb.7197:                             ;   in Loop: Header=BB4_7105 Depth=3
	v_bfe_u32 v22, v4, 21, 1
	v_mov_b32_e32 v23, v3
	s_delay_alu instid0(VALU_DEP_1) | instskip(NEXT) | instid1(VALU_DEP_1)
	v_add_nc_u64_e32 v[22:23], v[4:5], v[22:23]
	v_add_nc_u64_e32 v[22:23], -1, v[22:23]
; %bb.7198:                             ;   in Loop: Header=BB4_7105 Depth=3
	s_or_b32 exec_lo, exec_lo, s75
	v_add_nc_u32_e32 v2, 0xffffff81, v25
	v_lshrrev_b32_e32 v5, 23, v4
	s_mov_b32 s14, exec_lo
	s_delay_alu instid0(VALU_DEP_2) | instskip(NEXT) | instid1(VALU_DEP_1)
	v_cndmask_b32_e64 v2, v2, 0xffffff82, s13
	v_add3_u32 v23, v84, v2, v5
	v_and_b32_e32 v2, 0x1fffff, v22
                                        ; implicit-def: $vgpr22
	s_delay_alu instid0(VALU_DEP_1) | instskip(NEXT) | instid1(VALU_DEP_1)
	v_dual_add_nc_u32 v25, 14, v23 :: v_dual_add_nc_u32 v2, v2, v4
                                        ; implicit-def: $vgpr4_vgpr5
	v_cmpx_ne_u32_e32 0, v25
	s_xor_b32 s14, exec_lo, s14
; %bb.7199:                             ;   in Loop: Header=BB4_7105 Depth=3
	s_delay_alu instid0(VALU_DEP_2) | instskip(SKIP_1) | instid1(VALU_DEP_1)
	v_cmp_lt_u64_e64 s13, 0xffffff, v[2:3]
	v_add_nc_u32_e32 v4, 15, v23
	v_cndmask_b32_e64 v22, v25, v4, s13
	v_cndmask_b32_e64 v4, 0, 1, s13
	s_delay_alu instid0(VALU_DEP_1)
	v_lshrrev_b64 v[4:5], v4, v[2:3]
; %bb.7200:                             ;   in Loop: Header=BB4_7105 Depth=3
	s_and_not1_saveexec_b32 s13, s14
; %bb.7201:                             ;   in Loop: Header=BB4_7105 Depth=3
	v_mov_b64_e32 v[4:5], v[2:3]
	v_bfe_u32 v22, v2, 23, 1
; %bb.7202:                             ;   in Loop: Header=BB4_7105 Depth=3
	s_or_b32 exec_lo, exec_lo, s13
	s_delay_alu instid0(VALU_DEP_2) | instskip(NEXT) | instid1(VALU_DEP_2)
	v_lshrrev_b64 v[4:5], 21, v[4:5]
	v_cmp_gt_i32_e64 s13, 32, v22
	v_min_i32_e32 v2, 31, v22
	v_cmp_eq_u32_e64 s14, 0, v22
	s_delay_alu instid0(VALU_DEP_2) | instskip(SKIP_1) | instid1(VALU_DEP_2)
	v_dual_cndmask_b32 v5, 0, v5, s13 :: v_dual_lshlrev_b32 v2, 2, v2
	v_cndmask_b32_e64 v4, 3, v4, s13
	v_and_b32_e32 v2, 0xfc, v2
	s_delay_alu instid0(VALU_DEP_2) | instskip(NEXT) | instid1(VALU_DEP_2)
	v_cmp_eq_u64_e64 s13, 0, v[4:5]
	v_and_or_b32 v2, v4, 3, v2
	s_and_b32 s13, s14, s13
	s_delay_alu instid0(VALU_DEP_1) | instid1(SALU_CYCLE_1)
	v_cndmask_b32_e64 v2, v2, 0, s13
	s_delay_alu instid0(VALU_DEP_1)
	v_or_b32_e32 v84, v2, v24
.LBB4_7203:                             ;   in Loop: Header=BB4_7105 Depth=3
	s_or_b32 exec_lo, exec_lo, s74
                                        ; implicit-def: $vgpr24
.LBB4_7204:                             ;   in Loop: Header=BB4_7105 Depth=3
	s_and_not1_saveexec_b32 s13, s73
; %bb.7205:                             ;   in Loop: Header=BB4_7105 Depth=3
	v_or_b32_e32 v84, 0x7b, v24
; %bb.7206:                             ;   in Loop: Header=BB4_7105 Depth=3
	s_or_b32 exec_lo, exec_lo, s13
                                        ; implicit-def: $vgpr4
                                        ; implicit-def: $vgpr5
.LBB4_7207:                             ;   in Loop: Header=BB4_7105 Depth=3
	s_and_not1_saveexec_b32 s14, s72
	s_cbranch_execz .LBB4_7213
; %bb.7208:                             ;   in Loop: Header=BB4_7105 Depth=3
	v_cmp_ne_u64_e64 s13, 0, v[2:3]
                                        ; implicit-def: $vgpr84
	s_and_saveexec_b32 s72, s13
	s_delay_alu instid0(SALU_CYCLE_1)
	s_xor_b32 s13, exec_lo, s72
; %bb.7209:                             ;   in Loop: Header=BB4_7105 Depth=3
	v_or_b32_e32 v84, 0x7f, v5
                                        ; implicit-def: $vgpr4
; %bb.7210:                             ;   in Loop: Header=BB4_7105 Depth=3
	s_and_not1_saveexec_b32 s72, s13
; %bb.7211:                             ;   in Loop: Header=BB4_7105 Depth=3
	v_cmp_lt_i32_e64 s13, -1, v4
	s_delay_alu instid0(VALU_DEP_1)
	v_cndmask_b32_e64 v84, 0xfc, v113, s13
; %bb.7212:                             ;   in Loop: Header=BB4_7105 Depth=3
	s_or_b32 exec_lo, exec_lo, s72
.LBB4_7213:                             ;   in Loop: Header=BB4_7105 Depth=3
	s_delay_alu instid0(SALU_CYCLE_1)
	s_or_b32 exec_lo, exec_lo, s14
	v_mov_b32_e32 v4, 0
	s_mov_b32 s14, exec_lo
	v_cmpx_lt_u32_e32 0xffffff, v12
	s_cbranch_execz .LBB4_7223
; %bb.7214:                             ;   in Loop: Header=BB4_7105 Depth=3
	v_lshrrev_b32_e32 v2, 24, v12
	v_bfrev_b32_e32 v4, 1
	s_mov_b32 s72, exec_lo
	s_delay_alu instid0(VALU_DEP_2)
	v_cmpx_ne_u32_e32 0x80, v2
	s_cbranch_execz .LBB4_7222
; %bb.7215:                             ;   in Loop: Header=BB4_7105 Depth=3
	v_and_b32_e32 v4, 0x7c000000, v12
	v_bfe_u32 v5, v12, 24, 2
	s_delay_alu instid0(VALU_DEP_2) | instskip(SKIP_1) | instid1(SALU_CYCLE_1)
	v_cmp_ne_u32_e64 s13, 0x7c000000, v4
                                        ; implicit-def: $vgpr4
	s_and_saveexec_b32 s73, s13
	s_xor_b32 s73, exec_lo, s73
	s_cbranch_execz .LBB4_7219
; %bb.7216:                             ;   in Loop: Header=BB4_7105 Depth=3
	v_bfe_u32 v4, v12, 26, 5
	s_mov_b32 s74, exec_lo
	s_delay_alu instid0(VALU_DEP_1)
	v_cmpx_eq_u32_e32 0, v4
; %bb.7217:                             ;   in Loop: Header=BB4_7105 Depth=3
	v_clz_i32_u32_e32 v4, v5
	s_delay_alu instid0(VALU_DEP_1) | instskip(NEXT) | instid1(VALU_DEP_1)
	v_min_u32_e32 v4, 32, v4
	v_subrev_nc_u32_e32 v5, 29, v4
	s_delay_alu instid0(VALU_DEP_1) | instskip(NEXT) | instid1(VALU_DEP_1)
	v_lshlrev_b64_e32 v[22:23], v5, v[2:3]
	v_dual_sub_nc_u32 v4, 30, v4 :: v_dual_bitop2_b32 v5, 3, v22 bitop3:0x40
; %bb.7218:                             ;   in Loop: Header=BB4_7105 Depth=3
	s_or_b32 exec_lo, exec_lo, s74
	v_and_b32_e32 v2, 0x80000000, v12
	s_delay_alu instid0(VALU_DEP_1) | instskip(NEXT) | instid1(VALU_DEP_1)
	v_lshl_add_u32 v2, v4, 23, v2
	v_lshl_or_b32 v2, v5, 21, v2
                                        ; implicit-def: $vgpr5
	s_delay_alu instid0(VALU_DEP_1)
	v_add_nc_u32_e32 v4, 0x38000000, v2
.LBB4_7219:                             ;   in Loop: Header=BB4_7105 Depth=3
	s_and_not1_saveexec_b32 s73, s73
; %bb.7220:                             ;   in Loop: Header=BB4_7105 Depth=3
	v_cmp_lt_i32_e64 s13, -1, v12
	s_delay_alu instid0(VALU_DEP_1) | instskip(SKIP_1) | instid1(VALU_DEP_1)
	v_cndmask_b32_e64 v2, 0xff800000, v112, s13
	v_cmp_eq_u32_e64 s13, 0, v5
	v_cndmask_b32_e64 v4, 0x7f800001, v2, s13
; %bb.7221:                             ;   in Loop: Header=BB4_7105 Depth=3
	s_or_b32 exec_lo, exec_lo, s73
.LBB4_7222:                             ;   in Loop: Header=BB4_7105 Depth=3
	s_delay_alu instid0(SALU_CYCLE_1)
	s_or_b32 exec_lo, exec_lo, s72
.LBB4_7223:                             ;   in Loop: Header=BB4_7105 Depth=3
	s_delay_alu instid0(SALU_CYCLE_1) | instskip(SKIP_3) | instid1(VALU_DEP_2)
	s_or_b32 exec_lo, exec_lo, s14
	v_bfe_u32 v5, v8, 24, 2
	v_bfe_u32 v25, v8, 26, 5
                                        ; implicit-def: $vgpr85
	s_mov_b32 s14, exec_lo
	v_clz_i32_u32_e32 v2, v5
	s_delay_alu instid0(VALU_DEP_2) | instskip(NEXT) | instid1(VALU_DEP_2)
	v_cmp_eq_u32_e64 s13, 0, v25
	v_min_u32_e32 v24, 32, v2
	v_lshrrev_b32_e32 v2, 24, v8
	s_delay_alu instid0(VALU_DEP_2) | instskip(NEXT) | instid1(VALU_DEP_1)
	v_subrev_nc_u32_e32 v22, 29, v24
	v_lshlrev_b64_e32 v[22:23], v22, v[2:3]
	v_sub_nc_u32_e32 v23, 30, v24
	v_and_b32_e32 v24, 0x80000000, v8
	s_delay_alu instid0(VALU_DEP_2) | instskip(NEXT) | instid1(VALU_DEP_1)
	v_dual_cndmask_b32 v23, v25, v23, s13 :: v_dual_bitop2_b32 v22, 3, v22 bitop3:0x40
	v_cndmask_b32_e64 v22, v5, v22, s13
	s_delay_alu instid0(VALU_DEP_2) | instskip(SKIP_1) | instid1(VALU_DEP_2)
	v_lshl_add_u32 v23, v23, 23, v24
	v_cmp_lt_i32_e64 s13, -1, v8
	v_lshl_or_b32 v22, v22, 21, v23
	s_delay_alu instid0(VALU_DEP_2) | instskip(SKIP_2) | instid1(VALU_DEP_4)
	v_cndmask_b32_e64 v24, 0xff800000, v112, s13
	v_and_b32_e32 v23, 0x7c000000, v8
	v_cmp_eq_u32_e64 s13, 0, v5
	v_add_nc_u32_e32 v22, 0x38000000, v22
	s_delay_alu instid0(VALU_DEP_2) | instskip(NEXT) | instid1(VALU_DEP_4)
	v_cndmask_b32_e64 v5, 0x7f800001, v24, s13
	v_cmp_eq_u32_e64 s13, 0x7c000000, v23
	s_delay_alu instid0(VALU_DEP_1) | instskip(SKIP_1) | instid1(VALU_DEP_1)
	v_dual_mov_b32 v23, v3 :: v_dual_cndmask_b32 v5, v22, v5, s13
	v_cmp_ne_u32_e64 s13, 0x80, v2
	v_cndmask_b32_e64 v2, 0x80000000, v5, s13
	v_cmp_lt_u32_e64 s13, 0xffffff, v8
	s_delay_alu instid0(VALU_DEP_1) | instskip(NEXT) | instid1(VALU_DEP_1)
	v_cndmask_b32_e64 v2, 0, v2, s13
	v_mul_f32_e32 v4, v2, v4
	s_delay_alu instid0(VALU_DEP_1) | instskip(SKIP_2) | instid1(VALU_DEP_3)
	v_and_b32_e32 v22, 0x7f800000, v4
	v_and_b32_e32 v2, 0x7fffff, v4
	v_lshrrev_b32_e32 v5, 24, v4
	v_cmpx_ne_u64_e32 0x7f800000, v[22:23]
	s_xor_b32 s72, exec_lo, s14
	s_cbranch_execz .LBB4_7237
; %bb.7224:                             ;   in Loop: Header=BB4_7105 Depth=3
	v_and_b32_e32 v22, 0x7fffffff, v4
	v_mov_b32_e32 v23, v3
	v_and_b32_e32 v24, 0x80, v5
                                        ; implicit-def: $vgpr85
	s_mov_b32 s14, exec_lo
	s_delay_alu instid0(VALU_DEP_2)
	v_cmpx_gt_u64_e32 0x47600001, v[22:23]
	s_xor_b32 s73, exec_lo, s14
	s_cbranch_execz .LBB4_7234
; %bb.7225:                             ;   in Loop: Header=BB4_7105 Depth=3
	v_mov_b32_e32 v85, 0
	s_mov_b32 s74, exec_lo
	v_cmpx_ne_u32_e32 0, v4
	s_cbranch_execz .LBB4_7233
; %bb.7226:                             ;   in Loop: Header=BB4_7105 Depth=3
	v_bfe_u32 v25, v4, 23, 8
	v_or_b32_e32 v22, 0x800000, v2
	s_mov_b32 s75, exec_lo
	s_delay_alu instid0(VALU_DEP_2) | instskip(SKIP_1) | instid1(VALU_DEP_1)
	v_dual_mov_b32 v23, v3 :: v_dual_sub_nc_u32 v4, 0x71, v25
	v_cmp_gt_u32_e64 s13, 0x72, v25
	v_cndmask_b32_e64 v4, 0, v4, s13
	v_cmp_eq_u32_e64 s13, 0, v25
	s_delay_alu instid0(VALU_DEP_1) | instskip(NEXT) | instid1(VALU_DEP_1)
	v_cndmask_b32_e64 v85, v4, 0x70, s13
	v_dual_cndmask_b32 v22, v22, v2, s13 :: v_dual_add_nc_u32 v4, 21, v85
	v_add_nc_u32_e32 v100, 20, v85
	s_delay_alu instid0(VALU_DEP_2) | instskip(NEXT) | instid1(VALU_DEP_2)
	v_lshlrev_b64_e64 v[4:5], v4, -1
	v_lshlrev_b64_e64 v[100:101], v100, 1
	s_delay_alu instid0(VALU_DEP_2) | instskip(NEXT) | instid1(VALU_DEP_3)
	v_bfi_b32 v103, v5, 0, 0
	v_bfi_b32 v102, v4, 0, v22
	v_lshrrev_b64 v[4:5], v85, v[22:23]
	s_delay_alu instid0(VALU_DEP_1) | instskip(NEXT) | instid1(VALU_DEP_3)
	v_mov_b64_e32 v[22:23], v[4:5]
	v_cmpx_eq_u64_e64 v[102:103], v[100:101]
; %bb.7227:                             ;   in Loop: Header=BB4_7105 Depth=3
	v_bfe_u32 v22, v4, 21, 1
	v_mov_b32_e32 v23, v3
	s_delay_alu instid0(VALU_DEP_1) | instskip(NEXT) | instid1(VALU_DEP_1)
	v_add_nc_u64_e32 v[22:23], v[4:5], v[22:23]
	v_add_nc_u64_e32 v[22:23], -1, v[22:23]
; %bb.7228:                             ;   in Loop: Header=BB4_7105 Depth=3
	s_or_b32 exec_lo, exec_lo, s75
	v_add_nc_u32_e32 v2, 0xffffff81, v25
	v_lshrrev_b32_e32 v5, 23, v4
	s_mov_b32 s14, exec_lo
	s_delay_alu instid0(VALU_DEP_2) | instskip(NEXT) | instid1(VALU_DEP_1)
	v_cndmask_b32_e64 v2, v2, 0xffffff82, s13
	v_add3_u32 v23, v85, v2, v5
	v_and_b32_e32 v2, 0x1fffff, v22
                                        ; implicit-def: $vgpr22
	s_delay_alu instid0(VALU_DEP_1) | instskip(NEXT) | instid1(VALU_DEP_1)
	v_dual_add_nc_u32 v25, 14, v23 :: v_dual_add_nc_u32 v2, v2, v4
                                        ; implicit-def: $vgpr4_vgpr5
	v_cmpx_ne_u32_e32 0, v25
	s_xor_b32 s14, exec_lo, s14
; %bb.7229:                             ;   in Loop: Header=BB4_7105 Depth=3
	s_delay_alu instid0(VALU_DEP_2) | instskip(SKIP_1) | instid1(VALU_DEP_1)
	v_cmp_lt_u64_e64 s13, 0xffffff, v[2:3]
	v_add_nc_u32_e32 v4, 15, v23
	v_cndmask_b32_e64 v22, v25, v4, s13
	v_cndmask_b32_e64 v4, 0, 1, s13
	s_delay_alu instid0(VALU_DEP_1)
	v_lshrrev_b64 v[4:5], v4, v[2:3]
; %bb.7230:                             ;   in Loop: Header=BB4_7105 Depth=3
	s_and_not1_saveexec_b32 s13, s14
; %bb.7231:                             ;   in Loop: Header=BB4_7105 Depth=3
	v_mov_b64_e32 v[4:5], v[2:3]
	v_bfe_u32 v22, v2, 23, 1
; %bb.7232:                             ;   in Loop: Header=BB4_7105 Depth=3
	s_or_b32 exec_lo, exec_lo, s13
	s_delay_alu instid0(VALU_DEP_2) | instskip(NEXT) | instid1(VALU_DEP_2)
	v_lshrrev_b64 v[4:5], 21, v[4:5]
	v_cmp_gt_i32_e64 s13, 32, v22
	v_min_i32_e32 v2, 31, v22
	v_cmp_eq_u32_e64 s14, 0, v22
	s_delay_alu instid0(VALU_DEP_2) | instskip(SKIP_1) | instid1(VALU_DEP_2)
	v_dual_cndmask_b32 v5, 0, v5, s13 :: v_dual_lshlrev_b32 v2, 2, v2
	v_cndmask_b32_e64 v4, 3, v4, s13
	v_and_b32_e32 v2, 0xfc, v2
	s_delay_alu instid0(VALU_DEP_2) | instskip(NEXT) | instid1(VALU_DEP_2)
	v_cmp_eq_u64_e64 s13, 0, v[4:5]
	v_and_or_b32 v2, v4, 3, v2
	s_and_b32 s13, s14, s13
	s_delay_alu instid0(VALU_DEP_1) | instid1(SALU_CYCLE_1)
	v_cndmask_b32_e64 v2, v2, 0, s13
	s_delay_alu instid0(VALU_DEP_1)
	v_or_b32_e32 v85, v2, v24
.LBB4_7233:                             ;   in Loop: Header=BB4_7105 Depth=3
	s_or_b32 exec_lo, exec_lo, s74
                                        ; implicit-def: $vgpr24
.LBB4_7234:                             ;   in Loop: Header=BB4_7105 Depth=3
	s_and_not1_saveexec_b32 s13, s73
; %bb.7235:                             ;   in Loop: Header=BB4_7105 Depth=3
	v_or_b32_e32 v85, 0x7b, v24
; %bb.7236:                             ;   in Loop: Header=BB4_7105 Depth=3
	s_or_b32 exec_lo, exec_lo, s13
                                        ; implicit-def: $vgpr4
                                        ; implicit-def: $vgpr5
.LBB4_7237:                             ;   in Loop: Header=BB4_7105 Depth=3
	s_and_not1_saveexec_b32 s14, s72
	s_cbranch_execz .LBB4_7243
; %bb.7238:                             ;   in Loop: Header=BB4_7105 Depth=3
	v_cmp_ne_u64_e64 s13, 0, v[2:3]
                                        ; implicit-def: $vgpr85
	s_and_saveexec_b32 s72, s13
	s_delay_alu instid0(SALU_CYCLE_1)
	s_xor_b32 s13, exec_lo, s72
; %bb.7239:                             ;   in Loop: Header=BB4_7105 Depth=3
	v_or_b32_e32 v85, 0x7f, v5
                                        ; implicit-def: $vgpr4
; %bb.7240:                             ;   in Loop: Header=BB4_7105 Depth=3
	s_and_not1_saveexec_b32 s72, s13
; %bb.7241:                             ;   in Loop: Header=BB4_7105 Depth=3
	v_cmp_lt_i32_e64 s13, -1, v4
	s_delay_alu instid0(VALU_DEP_1)
	v_cndmask_b32_e64 v85, 0xfc, v113, s13
; %bb.7242:                             ;   in Loop: Header=BB4_7105 Depth=3
	s_or_b32 exec_lo, exec_lo, s72
.LBB4_7243:                             ;   in Loop: Header=BB4_7105 Depth=3
	s_delay_alu instid0(SALU_CYCLE_1) | instskip(SKIP_3) | instid1(VALU_DEP_2)
	s_or_b32 exec_lo, exec_lo, s14
	v_and_b32_e32 v4, 0xff, v13
	v_dual_mov_b32 v2, v13 :: v_dual_mov_b32 v22, 0
	s_mov_b32 s14, exec_lo
	v_cmpx_ne_u16_e32 0, v4
	s_cbranch_execz .LBB4_7253
; %bb.7244:                             ;   in Loop: Header=BB4_7105 Depth=3
	v_bfrev_b32_e32 v22, 1
	s_mov_b32 s72, exec_lo
	v_cmpx_ne_u16_e32 0x80, v4
	s_cbranch_execz .LBB4_7252
; %bb.7245:                             ;   in Loop: Header=BB4_7105 Depth=3
	v_and_b32_e32 v5, 0x7c, v13
	v_and_b32_e32 v4, 3, v13
	s_mov_b32 s73, exec_lo
                                        ; implicit-def: $vgpr22
	s_delay_alu instid0(VALU_DEP_2)
	v_cmpx_ne_u32_e32 0x7c, v5
	s_xor_b32 s73, exec_lo, s73
	s_cbranch_execz .LBB4_7249
; %bb.7246:                             ;   in Loop: Header=BB4_7105 Depth=3
	v_bfe_u32 v5, v13, 2, 5
	s_mov_b32 s74, exec_lo
	s_delay_alu instid0(VALU_DEP_1)
	v_cmpx_eq_u32_e32 0, v5
; %bb.7247:                             ;   in Loop: Header=BB4_7105 Depth=3
	v_clz_i32_u32_e32 v4, v4
	s_delay_alu instid0(VALU_DEP_1) | instskip(NEXT) | instid1(VALU_DEP_1)
	v_min_u32_e32 v22, 32, v4
	v_subrev_nc_u32_e32 v4, 29, v22
	s_delay_alu instid0(VALU_DEP_1) | instskip(NEXT) | instid1(VALU_DEP_1)
	v_lshlrev_b64_e32 v[4:5], v4, v[2:3]
	v_dual_sub_nc_u32 v5, 30, v22 :: v_dual_bitop2_b32 v4, 3, v4 bitop3:0x40
; %bb.7248:                             ;   in Loop: Header=BB4_7105 Depth=3
	s_or_b32 exec_lo, exec_lo, s74
	v_lshlrev_b32_e32 v22, 24, v13
	s_delay_alu instid0(VALU_DEP_1) | instskip(NEXT) | instid1(VALU_DEP_1)
	v_and_b32_e32 v22, 0x80000000, v22
	v_lshl_add_u32 v5, v5, 23, v22
	s_delay_alu instid0(VALU_DEP_1) | instskip(NEXT) | instid1(VALU_DEP_1)
	v_lshl_or_b32 v4, v4, 21, v5
	v_add_nc_u32_e32 v22, 0x38000000, v4
                                        ; implicit-def: $vgpr4
.LBB4_7249:                             ;   in Loop: Header=BB4_7105 Depth=3
	s_and_not1_saveexec_b32 s73, s73
; %bb.7250:                             ;   in Loop: Header=BB4_7105 Depth=3
	v_bfe_i32 v5, v13, 0, 8
	s_delay_alu instid0(VALU_DEP_1) | instskip(NEXT) | instid1(VALU_DEP_1)
	v_cmp_lt_i16_e64 s13, -1, v5
	v_cndmask_b32_e64 v5, 0xff800000, v112, s13
	v_cmp_eq_u32_e64 s13, 0, v4
	s_delay_alu instid0(VALU_DEP_1)
	v_cndmask_b32_e64 v22, 0x7f800001, v5, s13
; %bb.7251:                             ;   in Loop: Header=BB4_7105 Depth=3
	s_or_b32 exec_lo, exec_lo, s73
.LBB4_7252:                             ;   in Loop: Header=BB4_7105 Depth=3
	s_delay_alu instid0(SALU_CYCLE_1)
	s_or_b32 exec_lo, exec_lo, s72
.LBB4_7253:                             ;   in Loop: Header=BB4_7105 Depth=3
	s_delay_alu instid0(SALU_CYCLE_1) | instskip(SKIP_4) | instid1(VALU_DEP_2)
	s_or_b32 exec_lo, exec_lo, s14
	v_and_b32_e32 v5, 0xff, v9
	v_mov_b32_e32 v4, v9
	s_mov_b32 s72, 0
	s_mov_b32 s14, exec_lo
	v_cmpx_lt_i16_e32 0x7f, v5
	s_xor_b32 s14, exec_lo, s14
	s_cbranch_execz .LBB4_7662
; %bb.7254:                             ;   in Loop: Header=BB4_7105 Depth=3
	s_mov_b32 s72, -1
	s_mov_b32 s73, exec_lo
	v_cmpx_eq_u16_e32 0x80, v5
; %bb.7255:                             ;   in Loop: Header=BB4_7105 Depth=3
	s_xor_b32 s72, exec_lo, -1
; %bb.7256:                             ;   in Loop: Header=BB4_7105 Depth=3
	s_or_b32 exec_lo, exec_lo, s73
	s_delay_alu instid0(SALU_CYCLE_1)
	s_and_b32 s72, s72, exec_lo
                                        ; implicit-def: $vgpr5
	s_or_saveexec_b32 s14, s14
	v_bfrev_b32_e32 v23, 1
	s_xor_b32 exec_lo, exec_lo, s14
	s_cbranch_execnz .LBB4_7663
.LBB4_7257:                             ;   in Loop: Header=BB4_7105 Depth=3
	s_or_b32 exec_lo, exec_lo, s14
	v_mov_b32_e32 v5, v3
	s_and_saveexec_b32 s14, s72
	s_cbranch_execz .LBB4_7259
.LBB4_7258:                             ;   in Loop: Header=BB4_7105 Depth=3
	v_and_b32_e32 v23, 3, v9
	s_delay_alu instid0(VALU_DEP_1) | instskip(NEXT) | instid1(VALU_DEP_1)
	v_clz_i32_u32_e32 v24, v23
	v_min_u32_e32 v100, 32, v24
	s_delay_alu instid0(VALU_DEP_1) | instskip(SKIP_1) | instid1(VALU_DEP_2)
	v_subrev_nc_u32_e32 v24, 29, v100
	v_sub_nc_u32_e32 v100, 30, v100
	v_lshlrev_b64_e32 v[24:25], v24, v[4:5]
	v_bfe_u32 v25, v9, 2, 5
	v_lshlrev_b32_e32 v5, 24, v9
	s_delay_alu instid0(VALU_DEP_2) | instskip(NEXT) | instid1(VALU_DEP_2)
	v_cmp_eq_u32_e64 s13, 0, v25
	v_and_b32_e32 v5, 0x80000000, v5
	v_and_b32_e32 v24, 3, v24
	s_delay_alu instid0(VALU_DEP_3) | instskip(SKIP_1) | instid1(VALU_DEP_3)
	v_cndmask_b32_e64 v25, v25, v100, s13
	v_bfe_i32 v100, v9, 0, 8
	v_cndmask_b32_e64 v24, v23, v24, s13
	s_delay_alu instid0(VALU_DEP_3) | instskip(NEXT) | instid1(VALU_DEP_3)
	v_lshl_add_u32 v5, v25, 23, v5
	v_cmp_lt_i16_e64 s13, -1, v100
	s_delay_alu instid0(VALU_DEP_2) | instskip(NEXT) | instid1(VALU_DEP_2)
	v_lshl_or_b32 v5, v24, 21, v5
	v_cndmask_b32_e64 v25, 0xff800000, v112, s13
	v_and_b32_e32 v24, 0x7c, v9
	v_cmp_eq_u32_e64 s13, 0, v23
	s_delay_alu instid0(VALU_DEP_4) | instskip(NEXT) | instid1(VALU_DEP_2)
	v_add_nc_u32_e32 v5, 0x38000000, v5
	v_cndmask_b32_e64 v23, 0x7f800001, v25, s13
	s_delay_alu instid0(VALU_DEP_4) | instskip(NEXT) | instid1(VALU_DEP_1)
	v_cmp_eq_u32_e64 s13, 0x7c, v24
	v_cndmask_b32_e64 v23, v5, v23, s13
.LBB4_7259:                             ;   in Loop: Header=BB4_7105 Depth=3
	s_or_b32 exec_lo, exec_lo, s14
	s_delay_alu instid0(VALU_DEP_1) | instskip(SKIP_2) | instid1(VALU_DEP_2)
	v_dual_mul_f32 v25, v22, v23 :: v_dual_mov_b32 v101, v3
	v_mov_b32_e32 v23, v3
                                        ; implicit-def: $vgpr24
	s_mov_b32 s14, exec_lo
	v_and_b32_e32 v100, 0x7f800000, v25
	v_and_b32_e32 v22, 0x7fffff, v25
	v_lshrrev_b32_e32 v5, 24, v25
	s_delay_alu instid0(VALU_DEP_3)
	v_cmpx_ne_u64_e32 0x7f800000, v[100:101]
	s_xor_b32 s72, exec_lo, s14
	s_cbranch_execz .LBB4_7273
; %bb.7260:                             ;   in Loop: Header=BB4_7105 Depth=3
	v_and_b32_e32 v100, 0x7fffffff, v25
	v_mov_b32_e32 v101, v3
	v_and_b32_e32 v5, 0x80, v5
                                        ; implicit-def: $vgpr24
	s_mov_b32 s14, exec_lo
	s_delay_alu instid0(VALU_DEP_2)
	v_cmpx_gt_u64_e32 0x47600001, v[100:101]
	s_xor_b32 s73, exec_lo, s14
	s_cbranch_execz .LBB4_7270
; %bb.7261:                             ;   in Loop: Header=BB4_7105 Depth=3
	v_mov_b32_e32 v24, 0
	s_mov_b32 s74, exec_lo
	v_cmpx_ne_u32_e32 0, v25
	s_cbranch_execz .LBB4_7269
; %bb.7262:                             ;   in Loop: Header=BB4_7105 Depth=3
	v_bfe_u32 v100, v25, 23, 8
	v_or_b32_e32 v102, 0x800000, v22
	s_delay_alu instid0(VALU_DEP_2) | instskip(SKIP_1) | instid1(VALU_DEP_1)
	v_sub_nc_u32_e32 v24, 0x71, v100
	v_cmp_gt_u32_e64 s13, 0x72, v100
	v_cndmask_b32_e64 v24, 0, v24, s13
	v_cmp_eq_u32_e64 s13, 0, v100
	s_delay_alu instid0(VALU_DEP_1) | instskip(NEXT) | instid1(VALU_DEP_1)
	v_cndmask_b32_e64 v101, v24, 0x70, s13
	v_dual_cndmask_b32 v22, v102, v22, s13 :: v_dual_add_nc_u32 v24, 21, v101
	v_add_nc_u32_e32 v103, 20, v101
	s_delay_alu instid0(VALU_DEP_2) | instskip(NEXT) | instid1(VALU_DEP_2)
	v_lshlrev_b64_e64 v[24:25], v24, -1
	v_lshlrev_b64_e64 v[102:103], v103, 1
	s_delay_alu instid0(VALU_DEP_2) | instskip(SKIP_1) | instid1(VALU_DEP_4)
	v_bfi_b32 v24, v24, 0, v22
	v_lshrrev_b64 v[22:23], v101, v[22:23]
	v_bfi_b32 v25, v25, 0, 0
	s_delay_alu instid0(VALU_DEP_1) | instskip(NEXT) | instid1(VALU_DEP_3)
	v_cmp_eq_u64_e64 s14, v[24:25], v[102:103]
	v_mov_b64_e32 v[24:25], v[22:23]
	s_and_saveexec_b32 s75, s14
; %bb.7263:                             ;   in Loop: Header=BB4_7105 Depth=3
	v_bfe_u32 v24, v22, 21, 1
	v_mov_b32_e32 v25, v3
	s_delay_alu instid0(VALU_DEP_1) | instskip(NEXT) | instid1(VALU_DEP_1)
	v_add_nc_u64_e32 v[24:25], v[22:23], v[24:25]
	v_add_nc_u64_e32 v[24:25], -1, v[24:25]
; %bb.7264:                             ;   in Loop: Header=BB4_7105 Depth=3
	s_or_b32 exec_lo, exec_lo, s75
	v_add_nc_u32_e32 v23, 0xffffff81, v100
	v_lshrrev_b32_e32 v25, 23, v22
	s_mov_b32 s14, exec_lo
	s_delay_alu instid0(VALU_DEP_2) | instskip(NEXT) | instid1(VALU_DEP_1)
	v_cndmask_b32_e64 v23, v23, 0xffffff82, s13
	v_add3_u32 v25, v101, v23, v25
	v_and_b32_e32 v23, 0x1fffff, v24
                                        ; implicit-def: $vgpr24
	s_delay_alu instid0(VALU_DEP_1) | instskip(SKIP_1) | instid1(VALU_DEP_2)
	v_dual_add_nc_u32 v100, 14, v25 :: v_dual_add_nc_u32 v22, v23, v22
	v_mov_b32_e32 v23, v3
	v_cmpx_ne_u32_e32 0, v100
	s_xor_b32 s14, exec_lo, s14
; %bb.7265:                             ;   in Loop: Header=BB4_7105 Depth=3
	s_delay_alu instid0(VALU_DEP_2) | instskip(SKIP_1) | instid1(VALU_DEP_2)
	v_cmp_lt_u64_e64 s13, 0xffffff, v[22:23]
	v_add_nc_u32_e32 v24, 15, v25
	v_cndmask_b32_e64 v25, 0, 1, s13
	s_delay_alu instid0(VALU_DEP_2) | instskip(NEXT) | instid1(VALU_DEP_2)
	v_cndmask_b32_e64 v24, v100, v24, s13
	v_lshrrev_b64 v[22:23], v25, v[22:23]
; %bb.7266:                             ;   in Loop: Header=BB4_7105 Depth=3
	s_and_not1_saveexec_b32 s13, s14
; %bb.7267:                             ;   in Loop: Header=BB4_7105 Depth=3
	s_delay_alu instid0(VALU_DEP_1)
	v_bfe_u32 v24, v22, 23, 1
; %bb.7268:                             ;   in Loop: Header=BB4_7105 Depth=3
	s_or_b32 exec_lo, exec_lo, s13
	s_delay_alu instid0(VALU_DEP_2) | instskip(NEXT) | instid1(VALU_DEP_2)
	v_lshrrev_b64 v[22:23], 21, v[22:23]
	v_cmp_gt_i32_e64 s13, 32, v24
	v_min_i32_e32 v25, 31, v24
	v_cmp_eq_u32_e64 s14, 0, v24
	s_delay_alu instid0(VALU_DEP_2) | instskip(SKIP_1) | instid1(VALU_DEP_2)
	v_dual_cndmask_b32 v23, 0, v23, s13 :: v_dual_lshlrev_b32 v25, 2, v25
	v_cndmask_b32_e64 v22, 3, v22, s13
	v_and_b32_e32 v25, 0xfc, v25
	s_delay_alu instid0(VALU_DEP_2) | instskip(NEXT) | instid1(VALU_DEP_2)
	v_cmp_eq_u64_e64 s13, 0, v[22:23]
	v_and_or_b32 v22, v22, 3, v25
	s_and_b32 s13, s14, s13
	s_delay_alu instid0(VALU_DEP_1) | instid1(SALU_CYCLE_1)
	v_cndmask_b32_e64 v22, v22, 0, s13
	s_delay_alu instid0(VALU_DEP_1)
	v_or_b32_e32 v24, v22, v5
.LBB4_7269:                             ;   in Loop: Header=BB4_7105 Depth=3
	s_or_b32 exec_lo, exec_lo, s74
                                        ; implicit-def: $vgpr5
.LBB4_7270:                             ;   in Loop: Header=BB4_7105 Depth=3
	s_and_not1_saveexec_b32 s13, s73
; %bb.7271:                             ;   in Loop: Header=BB4_7105 Depth=3
	v_or_b32_e32 v24, 0x7b, v5
; %bb.7272:                             ;   in Loop: Header=BB4_7105 Depth=3
	s_or_b32 exec_lo, exec_lo, s13
                                        ; implicit-def: $vgpr25
                                        ; implicit-def: $vgpr22_vgpr23
                                        ; implicit-def: $vgpr5
.LBB4_7273:                             ;   in Loop: Header=BB4_7105 Depth=3
	s_and_not1_saveexec_b32 s14, s72
	s_cbranch_execz .LBB4_7279
; %bb.7274:                             ;   in Loop: Header=BB4_7105 Depth=3
	v_cmp_ne_u64_e64 s13, 0, v[22:23]
                                        ; implicit-def: $vgpr24
	s_and_saveexec_b32 s72, s13
	s_delay_alu instid0(SALU_CYCLE_1)
	s_xor_b32 s13, exec_lo, s72
; %bb.7275:                             ;   in Loop: Header=BB4_7105 Depth=3
	v_or_b32_e32 v24, 0x7f, v5
                                        ; implicit-def: $vgpr25
; %bb.7276:                             ;   in Loop: Header=BB4_7105 Depth=3
	s_and_not1_saveexec_b32 s72, s13
; %bb.7277:                             ;   in Loop: Header=BB4_7105 Depth=3
	v_cmp_lt_i32_e64 s13, -1, v25
	s_delay_alu instid0(VALU_DEP_1)
	v_cndmask_b32_e64 v24, 0xfc, v113, s13
; %bb.7278:                             ;   in Loop: Header=BB4_7105 Depth=3
	s_or_b32 exec_lo, exec_lo, s72
.LBB4_7279:                             ;   in Loop: Header=BB4_7105 Depth=3
	s_delay_alu instid0(SALU_CYCLE_1) | instskip(SKIP_3) | instid1(VALU_DEP_2)
	s_or_b32 exec_lo, exec_lo, s14
	v_lshrrev_b16 v22, 8, v2
	v_mov_b32_e32 v5, 0
	s_mov_b32 s14, exec_lo
	v_cmpx_ne_u16_e32 0, v22
	s_cbranch_execz .LBB4_7289
; %bb.7280:                             ;   in Loop: Header=BB4_7105 Depth=3
	v_bfrev_b32_e32 v5, 1
	s_mov_b32 s72, exec_lo
	v_cmpx_ne_u16_e32 0x80, v22
	s_cbranch_execz .LBB4_7288
; %bb.7281:                             ;   in Loop: Header=BB4_7105 Depth=3
	v_and_b32_e32 v25, 0xffff, v22
	s_delay_alu instid0(VALU_DEP_1) | instskip(SKIP_1) | instid1(VALU_DEP_2)
	v_and_b32_e32 v5, 0x7c, v25
	v_and_b32_e32 v23, 3, v25
	v_cmp_ne_u32_e64 s13, 0x7c, v5
                                        ; implicit-def: $vgpr5
	s_and_saveexec_b32 s73, s13
	s_delay_alu instid0(SALU_CYCLE_1)
	s_xor_b32 s73, exec_lo, s73
	s_cbranch_execz .LBB4_7285
; %bb.7282:                             ;   in Loop: Header=BB4_7105 Depth=3
	v_bfe_u32 v5, v25, 2, 5
	s_mov_b32 s74, exec_lo
	s_delay_alu instid0(VALU_DEP_1)
	v_cmpx_eq_u32_e32 0, v5
	s_cbranch_execz .LBB4_7284
; %bb.7283:                             ;   in Loop: Header=BB4_7105 Depth=3
	v_clz_i32_u32_e32 v5, v23
	s_delay_alu instid0(VALU_DEP_1) | instskip(SKIP_1) | instid1(VALU_DEP_2)
	v_min_u32_e32 v5, 32, v5
	v_mov_b32_e32 v23, v3
	v_subrev_nc_u32_e32 v25, 29, v5
	v_sub_nc_u32_e32 v5, 30, v5
	s_delay_alu instid0(VALU_DEP_2) | instskip(NEXT) | instid1(VALU_DEP_1)
	v_lshlrev_b64_e32 v[22:23], v25, v[22:23]
	v_and_b32_e32 v23, 3, v22
.LBB4_7284:                             ;   in Loop: Header=BB4_7105 Depth=3
	s_or_b32 exec_lo, exec_lo, s74
	v_lshlrev_b32_e32 v2, 16, v2
	s_delay_alu instid0(VALU_DEP_1) | instskip(NEXT) | instid1(VALU_DEP_1)
	v_and_b32_e32 v2, 0x80000000, v2
	v_lshl_add_u32 v2, v5, 23, v2
	s_delay_alu instid0(VALU_DEP_1) | instskip(NEXT) | instid1(VALU_DEP_1)
	v_lshl_or_b32 v2, v23, 21, v2
                                        ; implicit-def: $vgpr23
	v_add_nc_u32_e32 v5, 0x38000000, v2
.LBB4_7285:                             ;   in Loop: Header=BB4_7105 Depth=3
	s_and_not1_saveexec_b32 s73, s73
; %bb.7286:                             ;   in Loop: Header=BB4_7105 Depth=3
	v_cmp_lt_i16_e64 s13, -1, v2
	s_delay_alu instid0(VALU_DEP_1) | instskip(SKIP_1) | instid1(VALU_DEP_1)
	v_cndmask_b32_e64 v2, 0xff800000, v112, s13
	v_cmp_eq_u32_e64 s13, 0, v23
	v_cndmask_b32_e64 v5, 0x7f800001, v2, s13
; %bb.7287:                             ;   in Loop: Header=BB4_7105 Depth=3
	s_or_b32 exec_lo, exec_lo, s73
.LBB4_7288:                             ;   in Loop: Header=BB4_7105 Depth=3
	s_delay_alu instid0(SALU_CYCLE_1)
	s_or_b32 exec_lo, exec_lo, s72
.LBB4_7289:                             ;   in Loop: Header=BB4_7105 Depth=3
	s_delay_alu instid0(SALU_CYCLE_1) | instskip(SKIP_3) | instid1(VALU_DEP_1)
	s_or_b32 exec_lo, exec_lo, s14
	v_lshrrev_b16 v22, 8, v4
	s_mov_b32 s72, 0
	s_mov_b32 s14, exec_lo
	v_cmpx_lt_i16_e32 0x7f, v22
	s_xor_b32 s14, exec_lo, s14
	s_cbranch_execz .LBB4_7664
; %bb.7290:                             ;   in Loop: Header=BB4_7105 Depth=3
	s_mov_b32 s72, -1
	s_mov_b32 s73, exec_lo
	v_cmpx_eq_u16_e32 0x80, v22
; %bb.7291:                             ;   in Loop: Header=BB4_7105 Depth=3
	s_xor_b32 s72, exec_lo, -1
; %bb.7292:                             ;   in Loop: Header=BB4_7105 Depth=3
	s_or_b32 exec_lo, exec_lo, s73
	s_delay_alu instid0(SALU_CYCLE_1)
	s_and_b32 s72, s72, exec_lo
	s_or_saveexec_b32 s14, s14
	v_bfrev_b32_e32 v2, 1
	s_xor_b32 exec_lo, exec_lo, s14
	s_cbranch_execnz .LBB4_7665
.LBB4_7293:                             ;   in Loop: Header=BB4_7105 Depth=3
	s_or_b32 exec_lo, exec_lo, s14
	s_and_saveexec_b32 s14, s72
	s_cbranch_execz .LBB4_7295
.LBB4_7294:                             ;   in Loop: Header=BB4_7105 Depth=3
	v_and_b32_e32 v2, 0xffff, v22
	s_delay_alu instid0(VALU_DEP_1) | instskip(NEXT) | instid1(VALU_DEP_1)
	v_and_b32_e32 v25, 3, v2
	v_clz_i32_u32_e32 v23, v25
	s_delay_alu instid0(VALU_DEP_1) | instskip(SKIP_1) | instid1(VALU_DEP_2)
	v_min_u32_e32 v102, 32, v23
	v_mov_b32_e32 v23, v3
	v_subrev_nc_u32_e32 v100, 29, v102
	s_delay_alu instid0(VALU_DEP_1) | instskip(SKIP_3) | instid1(VALU_DEP_3)
	v_lshlrev_b64_e32 v[100:101], v100, v[22:23]
	v_bfe_u32 v23, v2, 2, 5
	v_lshlrev_b32_e32 v22, 24, v22
	v_and_b32_e32 v2, 0x7c, v2
	v_cmp_eq_u32_e64 s13, 0, v23
	v_dual_sub_nc_u32 v101, 30, v102 :: v_dual_bitop2_b32 v100, 3, v100 bitop3:0x40
	s_delay_alu instid0(VALU_DEP_4) | instskip(NEXT) | instid1(VALU_DEP_2)
	v_and_b32_e32 v22, 0x80000000, v22
	v_dual_cndmask_b32 v100, v25, v100, s13 :: v_dual_cndmask_b32 v23, v23, v101, s13
	v_cmp_lt_i16_e64 s13, -1, v4
	s_delay_alu instid0(VALU_DEP_2) | instskip(NEXT) | instid1(VALU_DEP_2)
	v_lshl_add_u32 v22, v23, 23, v22
	v_cndmask_b32_e64 v4, 0xff800000, v112, s13
	v_cmp_eq_u32_e64 s13, 0, v25
	s_delay_alu instid0(VALU_DEP_3) | instskip(NEXT) | instid1(VALU_DEP_2)
	v_lshl_or_b32 v22, v100, 21, v22
	v_cndmask_b32_e64 v4, 0x7f800001, v4, s13
	v_cmp_eq_u32_e64 s13, 0x7c, v2
	s_delay_alu instid0(VALU_DEP_3) | instskip(NEXT) | instid1(VALU_DEP_1)
	v_add_nc_u32_e32 v22, 0x38000000, v22
	v_cndmask_b32_e64 v2, v22, v4, s13
.LBB4_7295:                             ;   in Loop: Header=BB4_7105 Depth=3
	s_or_b32 exec_lo, exec_lo, s14
	s_delay_alu instid0(VALU_DEP_1) | instskip(SKIP_1) | instid1(VALU_DEP_1)
	v_dual_mul_f32 v4, v5, v2 :: v_dual_mov_b32 v23, v3
                                        ; implicit-def: $vgpr25
	s_mov_b32 s14, exec_lo
	v_and_b32_e32 v22, 0x7f800000, v4
	v_and_b32_e32 v2, 0x7fffff, v4
	v_lshrrev_b32_e32 v5, 24, v4
	s_delay_alu instid0(VALU_DEP_3)
	v_cmpx_ne_u64_e32 0x7f800000, v[22:23]
	s_xor_b32 s72, exec_lo, s14
	s_cbranch_execz .LBB4_7309
; %bb.7296:                             ;   in Loop: Header=BB4_7105 Depth=3
	v_and_b32_e32 v22, 0x7fffffff, v4
	v_mov_b32_e32 v23, v3
	v_and_b32_e32 v100, 0x80, v5
                                        ; implicit-def: $vgpr25
	s_mov_b32 s14, exec_lo
	s_delay_alu instid0(VALU_DEP_2)
	v_cmpx_gt_u64_e32 0x47600001, v[22:23]
	s_xor_b32 s73, exec_lo, s14
	s_cbranch_execz .LBB4_7306
; %bb.7297:                             ;   in Loop: Header=BB4_7105 Depth=3
	v_mov_b32_e32 v25, 0
	s_mov_b32 s74, exec_lo
	v_cmpx_ne_u32_e32 0, v4
	s_cbranch_execz .LBB4_7305
; %bb.7298:                             ;   in Loop: Header=BB4_7105 Depth=3
	v_bfe_u32 v25, v4, 23, 8
	v_or_b32_e32 v22, 0x800000, v2
	s_mov_b32 s75, exec_lo
	s_delay_alu instid0(VALU_DEP_2) | instskip(SKIP_1) | instid1(VALU_DEP_1)
	v_dual_mov_b32 v23, v3 :: v_dual_sub_nc_u32 v4, 0x71, v25
	v_cmp_gt_u32_e64 s13, 0x72, v25
	v_cndmask_b32_e64 v4, 0, v4, s13
	v_cmp_eq_u32_e64 s13, 0, v25
	s_delay_alu instid0(VALU_DEP_1) | instskip(NEXT) | instid1(VALU_DEP_1)
	v_cndmask_b32_e64 v101, v4, 0x70, s13
	v_dual_cndmask_b32 v22, v22, v2, s13 :: v_dual_add_nc_u32 v4, 21, v101
	v_add_nc_u32_e32 v102, 20, v101
	s_delay_alu instid0(VALU_DEP_2) | instskip(NEXT) | instid1(VALU_DEP_2)
	v_lshlrev_b64_e64 v[4:5], v4, -1
	v_lshlrev_b64_e64 v[102:103], v102, 1
	s_delay_alu instid0(VALU_DEP_2) | instskip(NEXT) | instid1(VALU_DEP_3)
	v_bfi_b32 v117, v5, 0, 0
	v_bfi_b32 v116, v4, 0, v22
	v_lshrrev_b64 v[4:5], v101, v[22:23]
	s_delay_alu instid0(VALU_DEP_1) | instskip(NEXT) | instid1(VALU_DEP_3)
	v_mov_b64_e32 v[22:23], v[4:5]
	v_cmpx_eq_u64_e64 v[116:117], v[102:103]
; %bb.7299:                             ;   in Loop: Header=BB4_7105 Depth=3
	v_bfe_u32 v22, v4, 21, 1
	v_mov_b32_e32 v23, v3
	s_delay_alu instid0(VALU_DEP_1) | instskip(NEXT) | instid1(VALU_DEP_1)
	v_add_nc_u64_e32 v[22:23], v[4:5], v[22:23]
	v_add_nc_u64_e32 v[22:23], -1, v[22:23]
; %bb.7300:                             ;   in Loop: Header=BB4_7105 Depth=3
	s_or_b32 exec_lo, exec_lo, s75
	v_add_nc_u32_e32 v2, 0xffffff81, v25
	v_lshrrev_b32_e32 v5, 23, v4
	s_mov_b32 s14, exec_lo
	s_delay_alu instid0(VALU_DEP_2) | instskip(NEXT) | instid1(VALU_DEP_1)
	v_cndmask_b32_e64 v2, v2, 0xffffff82, s13
	v_add3_u32 v23, v101, v2, v5
	v_and_b32_e32 v2, 0x1fffff, v22
                                        ; implicit-def: $vgpr22
	s_delay_alu instid0(VALU_DEP_1) | instskip(NEXT) | instid1(VALU_DEP_1)
	v_dual_add_nc_u32 v25, 14, v23 :: v_dual_add_nc_u32 v2, v2, v4
                                        ; implicit-def: $vgpr4_vgpr5
	v_cmpx_ne_u32_e32 0, v25
	s_xor_b32 s14, exec_lo, s14
; %bb.7301:                             ;   in Loop: Header=BB4_7105 Depth=3
	s_delay_alu instid0(VALU_DEP_2) | instskip(SKIP_1) | instid1(VALU_DEP_1)
	v_cmp_lt_u64_e64 s13, 0xffffff, v[2:3]
	v_add_nc_u32_e32 v4, 15, v23
	v_cndmask_b32_e64 v22, v25, v4, s13
	v_cndmask_b32_e64 v4, 0, 1, s13
	s_delay_alu instid0(VALU_DEP_1)
	v_lshrrev_b64 v[4:5], v4, v[2:3]
; %bb.7302:                             ;   in Loop: Header=BB4_7105 Depth=3
	s_and_not1_saveexec_b32 s13, s14
; %bb.7303:                             ;   in Loop: Header=BB4_7105 Depth=3
	v_mov_b64_e32 v[4:5], v[2:3]
	v_bfe_u32 v22, v2, 23, 1
; %bb.7304:                             ;   in Loop: Header=BB4_7105 Depth=3
	s_or_b32 exec_lo, exec_lo, s13
	s_delay_alu instid0(VALU_DEP_2) | instskip(NEXT) | instid1(VALU_DEP_2)
	v_lshrrev_b64 v[4:5], 21, v[4:5]
	v_cmp_gt_i32_e64 s13, 32, v22
	v_min_i32_e32 v2, 31, v22
	v_cmp_eq_u32_e64 s14, 0, v22
	s_delay_alu instid0(VALU_DEP_2) | instskip(SKIP_1) | instid1(VALU_DEP_2)
	v_dual_cndmask_b32 v5, 0, v5, s13 :: v_dual_lshlrev_b32 v2, 2, v2
	v_cndmask_b32_e64 v4, 3, v4, s13
	v_and_b32_e32 v2, 0xfc, v2
	s_delay_alu instid0(VALU_DEP_2) | instskip(NEXT) | instid1(VALU_DEP_2)
	v_cmp_eq_u64_e64 s13, 0, v[4:5]
	v_and_or_b32 v2, v4, 3, v2
	s_and_b32 s13, s14, s13
	s_delay_alu instid0(VALU_DEP_1) | instid1(SALU_CYCLE_1)
	v_cndmask_b32_e64 v2, v2, 0, s13
	s_delay_alu instid0(VALU_DEP_1)
	v_or_b32_e32 v25, v2, v100
.LBB4_7305:                             ;   in Loop: Header=BB4_7105 Depth=3
	s_or_b32 exec_lo, exec_lo, s74
                                        ; implicit-def: $vgpr100
.LBB4_7306:                             ;   in Loop: Header=BB4_7105 Depth=3
	s_and_not1_saveexec_b32 s13, s73
; %bb.7307:                             ;   in Loop: Header=BB4_7105 Depth=3
	v_or_b32_e32 v25, 0x7b, v100
; %bb.7308:                             ;   in Loop: Header=BB4_7105 Depth=3
	s_or_b32 exec_lo, exec_lo, s13
                                        ; implicit-def: $vgpr4
                                        ; implicit-def: $vgpr5
.LBB4_7309:                             ;   in Loop: Header=BB4_7105 Depth=3
	s_and_not1_saveexec_b32 s14, s72
	s_cbranch_execz .LBB4_7315
; %bb.7310:                             ;   in Loop: Header=BB4_7105 Depth=3
	v_cmp_ne_u64_e64 s13, 0, v[2:3]
                                        ; implicit-def: $vgpr25
	s_and_saveexec_b32 s72, s13
	s_delay_alu instid0(SALU_CYCLE_1)
	s_xor_b32 s13, exec_lo, s72
; %bb.7311:                             ;   in Loop: Header=BB4_7105 Depth=3
	v_or_b32_e32 v25, 0x7f, v5
                                        ; implicit-def: $vgpr4
; %bb.7312:                             ;   in Loop: Header=BB4_7105 Depth=3
	s_and_not1_saveexec_b32 s72, s13
; %bb.7313:                             ;   in Loop: Header=BB4_7105 Depth=3
	v_cmp_lt_i32_e64 s13, -1, v4
	s_delay_alu instid0(VALU_DEP_1)
	v_cndmask_b32_e64 v25, 0xfc, v113, s13
; %bb.7314:                             ;   in Loop: Header=BB4_7105 Depth=3
	s_or_b32 exec_lo, exec_lo, s72
.LBB4_7315:                             ;   in Loop: Header=BB4_7105 Depth=3
	s_delay_alu instid0(SALU_CYCLE_1) | instskip(SKIP_2) | instid1(VALU_DEP_1)
	s_or_b32 exec_lo, exec_lo, s14
	v_dual_lshrrev_b32 v2, 16, v13 :: v_dual_mov_b32 v4, 0
	s_mov_b32 s14, exec_lo
	v_and_b32_e32 v5, 0xff, v2
	s_delay_alu instid0(VALU_DEP_1)
	v_cmpx_ne_u16_e32 0, v5
	s_cbranch_execz .LBB4_7325
; %bb.7316:                             ;   in Loop: Header=BB4_7105 Depth=3
	v_bfrev_b32_e32 v4, 1
	s_mov_b32 s72, exec_lo
	v_cmpx_ne_u16_e32 0x80, v5
	s_cbranch_execz .LBB4_7324
; %bb.7317:                             ;   in Loop: Header=BB4_7105 Depth=3
	v_and_b32_e32 v4, 0x7c0000, v13
	v_bfe_u32 v5, v13, 16, 2
	s_delay_alu instid0(VALU_DEP_2) | instskip(SKIP_1) | instid1(SALU_CYCLE_1)
	v_cmp_ne_u32_e64 s13, 0x7c0000, v4
                                        ; implicit-def: $vgpr4
	s_and_saveexec_b32 s73, s13
	s_xor_b32 s73, exec_lo, s73
	s_cbranch_execz .LBB4_7321
; %bb.7318:                             ;   in Loop: Header=BB4_7105 Depth=3
	v_bfe_u32 v4, v13, 18, 5
	s_mov_b32 s74, exec_lo
	s_delay_alu instid0(VALU_DEP_1)
	v_cmpx_eq_u32_e32 0, v4
; %bb.7319:                             ;   in Loop: Header=BB4_7105 Depth=3
	v_clz_i32_u32_e32 v4, v5
	s_delay_alu instid0(VALU_DEP_1) | instskip(NEXT) | instid1(VALU_DEP_1)
	v_min_u32_e32 v4, 32, v4
	v_subrev_nc_u32_e32 v5, 29, v4
	s_delay_alu instid0(VALU_DEP_1) | instskip(NEXT) | instid1(VALU_DEP_1)
	v_lshlrev_b64_e32 v[22:23], v5, v[2:3]
	v_dual_sub_nc_u32 v4, 30, v4 :: v_dual_bitop2_b32 v5, 3, v22 bitop3:0x40
; %bb.7320:                             ;   in Loop: Header=BB4_7105 Depth=3
	s_or_b32 exec_lo, exec_lo, s74
	v_lshlrev_b32_e32 v2, 24, v2
	s_delay_alu instid0(VALU_DEP_1) | instskip(NEXT) | instid1(VALU_DEP_1)
	v_and_b32_e32 v2, 0x80000000, v2
	v_lshl_add_u32 v2, v4, 23, v2
	s_delay_alu instid0(VALU_DEP_1) | instskip(NEXT) | instid1(VALU_DEP_1)
	v_lshl_or_b32 v2, v5, 21, v2
                                        ; implicit-def: $vgpr5
	v_add_nc_u32_e32 v4, 0x38000000, v2
                                        ; implicit-def: $vgpr2
.LBB4_7321:                             ;   in Loop: Header=BB4_7105 Depth=3
	s_and_not1_saveexec_b32 s73, s73
; %bb.7322:                             ;   in Loop: Header=BB4_7105 Depth=3
	v_bfe_i32 v2, v2, 0, 8
	s_delay_alu instid0(VALU_DEP_1) | instskip(NEXT) | instid1(VALU_DEP_1)
	v_cmp_lt_i16_e64 s13, -1, v2
	v_cndmask_b32_e64 v2, 0xff800000, v112, s13
	v_cmp_eq_u32_e64 s13, 0, v5
	s_delay_alu instid0(VALU_DEP_1)
	v_cndmask_b32_e64 v4, 0x7f800001, v2, s13
; %bb.7323:                             ;   in Loop: Header=BB4_7105 Depth=3
	s_or_b32 exec_lo, exec_lo, s73
.LBB4_7324:                             ;   in Loop: Header=BB4_7105 Depth=3
	s_delay_alu instid0(SALU_CYCLE_1)
	s_or_b32 exec_lo, exec_lo, s72
.LBB4_7325:                             ;   in Loop: Header=BB4_7105 Depth=3
	s_delay_alu instid0(SALU_CYCLE_1) | instskip(SKIP_3) | instid1(VALU_DEP_1)
	s_or_b32 exec_lo, exec_lo, s14
	v_lshrrev_b32_e32 v2, 16, v9
	s_mov_b32 s72, 0
	s_mov_b32 s14, exec_lo
	v_and_b32_e32 v22, 0xff, v2
	s_delay_alu instid0(VALU_DEP_1)
	v_cmpx_lt_i16_e32 0x7f, v22
	s_xor_b32 s14, exec_lo, s14
	s_cbranch_execz .LBB4_7666
; %bb.7326:                             ;   in Loop: Header=BB4_7105 Depth=3
	s_mov_b32 s72, -1
	s_mov_b32 s73, exec_lo
	v_cmpx_eq_u16_e32 0x80, v22
; %bb.7327:                             ;   in Loop: Header=BB4_7105 Depth=3
	s_xor_b32 s72, exec_lo, -1
; %bb.7328:                             ;   in Loop: Header=BB4_7105 Depth=3
	s_or_b32 exec_lo, exec_lo, s73
	s_delay_alu instid0(SALU_CYCLE_1)
	s_and_b32 s72, s72, exec_lo
                                        ; implicit-def: $vgpr22
	s_or_saveexec_b32 s14, s14
	v_bfrev_b32_e32 v5, 1
	s_xor_b32 exec_lo, exec_lo, s14
	s_cbranch_execnz .LBB4_7667
.LBB4_7329:                             ;   in Loop: Header=BB4_7105 Depth=3
	s_or_b32 exec_lo, exec_lo, s14
	s_and_saveexec_b32 s14, s72
	s_cbranch_execz .LBB4_7331
.LBB4_7330:                             ;   in Loop: Header=BB4_7105 Depth=3
	v_and_b32_e32 v5, 3, v2
	v_bfe_u32 v101, v9, 18, 5
	s_delay_alu instid0(VALU_DEP_2) | instskip(NEXT) | instid1(VALU_DEP_2)
	v_clz_i32_u32_e32 v22, v5
	v_cmp_eq_u32_e64 s13, 0, v101
	s_delay_alu instid0(VALU_DEP_2) | instskip(NEXT) | instid1(VALU_DEP_1)
	v_min_u32_e32 v100, 32, v22
	v_subrev_nc_u32_e32 v22, 29, v100
	s_delay_alu instid0(VALU_DEP_1) | instskip(SKIP_2) | instid1(VALU_DEP_2)
	v_lshlrev_b64_e32 v[22:23], v22, v[2:3]
	v_dual_lshlrev_b32 v23, 24, v2 :: v_dual_sub_nc_u32 v100, 30, v100
	v_bfe_i32 v2, v2, 0, 8
	v_and_b32_e32 v23, 0x80000000, v23
	s_delay_alu instid0(VALU_DEP_3) | instskip(NEXT) | instid1(VALU_DEP_1)
	v_dual_cndmask_b32 v100, v101, v100, s13 :: v_dual_bitop2_b32 v22, 3, v22 bitop3:0x40
	v_cndmask_b32_e64 v22, v5, v22, s13
	s_delay_alu instid0(VALU_DEP_2) | instskip(SKIP_1) | instid1(VALU_DEP_2)
	v_lshl_add_u32 v23, v100, 23, v23
	v_cmp_lt_i16_e64 s13, -1, v2
	v_lshl_or_b32 v22, v22, 21, v23
	s_delay_alu instid0(VALU_DEP_2) | instskip(SKIP_2) | instid1(VALU_DEP_4)
	v_cndmask_b32_e64 v2, 0xff800000, v112, s13
	v_and_b32_e32 v23, 0x7c0000, v9
	v_cmp_eq_u32_e64 s13, 0, v5
	v_add_nc_u32_e32 v5, 0x38000000, v22
	s_delay_alu instid0(VALU_DEP_2) | instskip(NEXT) | instid1(VALU_DEP_4)
	v_cndmask_b32_e64 v2, 0x7f800001, v2, s13
	v_cmp_eq_u32_e64 s13, 0x7c0000, v23
	s_delay_alu instid0(VALU_DEP_1)
	v_cndmask_b32_e64 v5, v5, v2, s13
.LBB4_7331:                             ;   in Loop: Header=BB4_7105 Depth=3
	s_or_b32 exec_lo, exec_lo, s14
	s_delay_alu instid0(VALU_DEP_1) | instskip(NEXT) | instid1(VALU_DEP_1)
	v_dual_mul_f32 v4, v4, v5 :: v_dual_mov_b32 v23, v3
	v_and_b32_e32 v22, 0x7f800000, v4
	v_and_b32_e32 v2, 0x7fffff, v4
	v_lshrrev_b32_e32 v5, 24, v4
	s_delay_alu instid0(VALU_DEP_3) | instskip(SKIP_1) | instid1(SALU_CYCLE_1)
	v_cmp_ne_u64_e64 s13, 0x7f800000, v[22:23]
                                        ; implicit-def: $vgpr22
	s_and_saveexec_b32 s14, s13
	s_xor_b32 s72, exec_lo, s14
	s_cbranch_execz .LBB4_7345
; %bb.7332:                             ;   in Loop: Header=BB4_7105 Depth=3
	v_and_b32_e32 v22, 0x7fffffff, v4
	v_mov_b32_e32 v23, v3
	v_and_b32_e32 v100, 0x80, v5
	s_delay_alu instid0(VALU_DEP_2) | instskip(SKIP_1) | instid1(SALU_CYCLE_1)
	v_cmp_gt_u64_e64 s13, 0x47600001, v[22:23]
                                        ; implicit-def: $vgpr22
	s_and_saveexec_b32 s14, s13
	s_xor_b32 s73, exec_lo, s14
	s_cbranch_execz .LBB4_7342
; %bb.7333:                             ;   in Loop: Header=BB4_7105 Depth=3
	v_mov_b32_e32 v22, 0
	s_mov_b32 s74, exec_lo
	v_cmpx_ne_u32_e32 0, v4
	s_cbranch_execz .LBB4_7341
; %bb.7334:                             ;   in Loop: Header=BB4_7105 Depth=3
	v_bfe_u32 v101, v4, 23, 8
	v_or_b32_e32 v22, 0x800000, v2
	s_mov_b32 s75, exec_lo
	s_delay_alu instid0(VALU_DEP_2) | instskip(SKIP_1) | instid1(VALU_DEP_1)
	v_dual_mov_b32 v23, v3 :: v_dual_sub_nc_u32 v4, 0x71, v101
	v_cmp_gt_u32_e64 s13, 0x72, v101
	v_cndmask_b32_e64 v4, 0, v4, s13
	v_cmp_eq_u32_e64 s13, 0, v101
	s_delay_alu instid0(VALU_DEP_1) | instskip(SKIP_1) | instid1(VALU_DEP_2)
	v_cndmask_b32_e64 v102, v4, 0x70, s13
	v_cndmask_b32_e64 v22, v22, v2, s13
	v_dual_add_nc_u32 v4, 21, v102 :: v_dual_add_nc_u32 v103, 20, v102
	s_delay_alu instid0(VALU_DEP_1) | instskip(NEXT) | instid1(VALU_DEP_2)
	v_lshlrev_b64_e64 v[4:5], v4, -1
	v_lshlrev_b64_e64 v[116:117], v103, 1
	s_delay_alu instid0(VALU_DEP_2) | instskip(NEXT) | instid1(VALU_DEP_3)
	v_bfi_b32 v45, v5, 0, 0
	v_bfi_b32 v44, v4, 0, v22
	v_lshrrev_b64 v[4:5], v102, v[22:23]
	s_delay_alu instid0(VALU_DEP_1) | instskip(NEXT) | instid1(VALU_DEP_3)
	v_mov_b64_e32 v[22:23], v[4:5]
	v_cmpx_eq_u64_e64 v[44:45], v[116:117]
; %bb.7335:                             ;   in Loop: Header=BB4_7105 Depth=3
	v_bfe_u32 v22, v4, 21, 1
	v_mov_b32_e32 v23, v3
	s_delay_alu instid0(VALU_DEP_1) | instskip(NEXT) | instid1(VALU_DEP_1)
	v_add_nc_u64_e32 v[22:23], v[4:5], v[22:23]
	v_add_nc_u64_e32 v[22:23], -1, v[22:23]
; %bb.7336:                             ;   in Loop: Header=BB4_7105 Depth=3
	s_or_b32 exec_lo, exec_lo, s75
	v_add_nc_u32_e32 v2, 0xffffff81, v101
	v_lshrrev_b32_e32 v5, 23, v4
	s_mov_b32 s14, exec_lo
	s_delay_alu instid0(VALU_DEP_2) | instskip(NEXT) | instid1(VALU_DEP_1)
	v_cndmask_b32_e64 v2, v2, 0xffffff82, s13
	v_add3_u32 v23, v102, v2, v5
	v_and_b32_e32 v2, 0x1fffff, v22
                                        ; implicit-def: $vgpr22
	s_delay_alu instid0(VALU_DEP_1) | instskip(NEXT) | instid1(VALU_DEP_1)
	v_dual_add_nc_u32 v101, 14, v23 :: v_dual_add_nc_u32 v2, v2, v4
                                        ; implicit-def: $vgpr4_vgpr5
	v_cmpx_ne_u32_e32 0, v101
	s_xor_b32 s14, exec_lo, s14
; %bb.7337:                             ;   in Loop: Header=BB4_7105 Depth=3
	s_delay_alu instid0(VALU_DEP_2) | instskip(SKIP_1) | instid1(VALU_DEP_1)
	v_cmp_lt_u64_e64 s13, 0xffffff, v[2:3]
	v_add_nc_u32_e32 v4, 15, v23
	v_cndmask_b32_e64 v22, v101, v4, s13
	v_cndmask_b32_e64 v4, 0, 1, s13
	s_delay_alu instid0(VALU_DEP_1)
	v_lshrrev_b64 v[4:5], v4, v[2:3]
; %bb.7338:                             ;   in Loop: Header=BB4_7105 Depth=3
	s_and_not1_saveexec_b32 s13, s14
; %bb.7339:                             ;   in Loop: Header=BB4_7105 Depth=3
	v_mov_b64_e32 v[4:5], v[2:3]
	v_bfe_u32 v22, v2, 23, 1
; %bb.7340:                             ;   in Loop: Header=BB4_7105 Depth=3
	s_or_b32 exec_lo, exec_lo, s13
	s_delay_alu instid0(VALU_DEP_2) | instskip(NEXT) | instid1(VALU_DEP_2)
	v_lshrrev_b64 v[4:5], 21, v[4:5]
	v_cmp_gt_i32_e64 s13, 32, v22
	v_min_i32_e32 v2, 31, v22
	v_cmp_eq_u32_e64 s14, 0, v22
	s_delay_alu instid0(VALU_DEP_2) | instskip(SKIP_1) | instid1(VALU_DEP_2)
	v_dual_cndmask_b32 v5, 0, v5, s13 :: v_dual_lshlrev_b32 v2, 2, v2
	v_cndmask_b32_e64 v4, 3, v4, s13
	v_and_b32_e32 v2, 0xfc, v2
	s_delay_alu instid0(VALU_DEP_2) | instskip(NEXT) | instid1(VALU_DEP_2)
	v_cmp_eq_u64_e64 s13, 0, v[4:5]
	v_and_or_b32 v2, v4, 3, v2
	s_and_b32 s13, s14, s13
	s_delay_alu instid0(VALU_DEP_1) | instid1(SALU_CYCLE_1)
	v_cndmask_b32_e64 v2, v2, 0, s13
	s_delay_alu instid0(VALU_DEP_1)
	v_or_b32_e32 v22, v2, v100
.LBB4_7341:                             ;   in Loop: Header=BB4_7105 Depth=3
	s_or_b32 exec_lo, exec_lo, s74
                                        ; implicit-def: $vgpr100
.LBB4_7342:                             ;   in Loop: Header=BB4_7105 Depth=3
	s_and_not1_saveexec_b32 s13, s73
; %bb.7343:                             ;   in Loop: Header=BB4_7105 Depth=3
	v_or_b32_e32 v22, 0x7b, v100
; %bb.7344:                             ;   in Loop: Header=BB4_7105 Depth=3
	s_or_b32 exec_lo, exec_lo, s13
                                        ; implicit-def: $vgpr4
                                        ; implicit-def: $vgpr5
.LBB4_7345:                             ;   in Loop: Header=BB4_7105 Depth=3
	s_and_not1_saveexec_b32 s14, s72
	s_cbranch_execz .LBB4_7351
; %bb.7346:                             ;   in Loop: Header=BB4_7105 Depth=3
	v_cmp_ne_u64_e64 s13, 0, v[2:3]
                                        ; implicit-def: $vgpr22
	s_and_saveexec_b32 s72, s13
	s_delay_alu instid0(SALU_CYCLE_1)
	s_xor_b32 s13, exec_lo, s72
; %bb.7347:                             ;   in Loop: Header=BB4_7105 Depth=3
	v_or_b32_e32 v22, 0x7f, v5
                                        ; implicit-def: $vgpr4
; %bb.7348:                             ;   in Loop: Header=BB4_7105 Depth=3
	s_and_not1_saveexec_b32 s72, s13
; %bb.7349:                             ;   in Loop: Header=BB4_7105 Depth=3
	v_cmp_lt_i32_e64 s13, -1, v4
	s_delay_alu instid0(VALU_DEP_1)
	v_cndmask_b32_e64 v22, 0xfc, v113, s13
; %bb.7350:                             ;   in Loop: Header=BB4_7105 Depth=3
	s_or_b32 exec_lo, exec_lo, s72
.LBB4_7351:                             ;   in Loop: Header=BB4_7105 Depth=3
	s_delay_alu instid0(SALU_CYCLE_1)
	s_or_b32 exec_lo, exec_lo, s14
	v_mov_b32_e32 v4, 0
	s_mov_b32 s14, exec_lo
	v_cmpx_lt_u64_e64 s[22:23], v[12:13]
	s_cbranch_execz .LBB4_7361
; %bb.7352:                             ;   in Loop: Header=BB4_7105 Depth=3
	v_lshrrev_b32_e32 v2, 24, v13
	v_bfrev_b32_e32 v4, 1
	s_mov_b32 s72, exec_lo
	s_delay_alu instid0(VALU_DEP_2)
	v_cmpx_ne_u32_e32 0x80, v2
	s_cbranch_execz .LBB4_7360
; %bb.7353:                             ;   in Loop: Header=BB4_7105 Depth=3
	v_and_b32_e32 v4, 0x7c000000, v13
	v_bfe_u32 v5, v13, 24, 2
	s_delay_alu instid0(VALU_DEP_2) | instskip(SKIP_1) | instid1(SALU_CYCLE_1)
	v_cmp_ne_u32_e64 s13, 0x7c000000, v4
                                        ; implicit-def: $vgpr4
	s_and_saveexec_b32 s73, s13
	s_xor_b32 s73, exec_lo, s73
	s_cbranch_execz .LBB4_7357
; %bb.7354:                             ;   in Loop: Header=BB4_7105 Depth=3
	v_bfe_u32 v4, v13, 26, 5
	s_mov_b32 s74, exec_lo
	s_delay_alu instid0(VALU_DEP_1)
	v_cmpx_eq_u32_e32 0, v4
; %bb.7355:                             ;   in Loop: Header=BB4_7105 Depth=3
	v_clz_i32_u32_e32 v4, v5
	s_delay_alu instid0(VALU_DEP_1) | instskip(NEXT) | instid1(VALU_DEP_1)
	v_min_u32_e32 v4, 32, v4
	v_subrev_nc_u32_e32 v5, 29, v4
	v_sub_nc_u32_e32 v4, 30, v4
	s_delay_alu instid0(VALU_DEP_2) | instskip(NEXT) | instid1(VALU_DEP_1)
	v_lshlrev_b64_e32 v[100:101], v5, v[2:3]
	v_and_b32_e32 v5, 3, v100
; %bb.7356:                             ;   in Loop: Header=BB4_7105 Depth=3
	s_or_b32 exec_lo, exec_lo, s74
	v_and_b32_e32 v2, 0x80000000, v13
	s_delay_alu instid0(VALU_DEP_1) | instskip(NEXT) | instid1(VALU_DEP_1)
	v_lshl_add_u32 v2, v4, 23, v2
	v_lshl_or_b32 v2, v5, 21, v2
                                        ; implicit-def: $vgpr5
	s_delay_alu instid0(VALU_DEP_1)
	v_add_nc_u32_e32 v4, 0x38000000, v2
.LBB4_7357:                             ;   in Loop: Header=BB4_7105 Depth=3
	s_and_not1_saveexec_b32 s73, s73
; %bb.7358:                             ;   in Loop: Header=BB4_7105 Depth=3
	v_cmp_lt_i64_e64 s13, -1, v[12:13]
	s_delay_alu instid0(VALU_DEP_1) | instskip(SKIP_1) | instid1(VALU_DEP_1)
	v_cndmask_b32_e64 v2, 0xff800000, v112, s13
	v_cmp_eq_u32_e64 s13, 0, v5
	v_cndmask_b32_e64 v4, 0x7f800001, v2, s13
; %bb.7359:                             ;   in Loop: Header=BB4_7105 Depth=3
	s_or_b32 exec_lo, exec_lo, s73
.LBB4_7360:                             ;   in Loop: Header=BB4_7105 Depth=3
	s_delay_alu instid0(SALU_CYCLE_1)
	s_or_b32 exec_lo, exec_lo, s72
.LBB4_7361:                             ;   in Loop: Header=BB4_7105 Depth=3
	s_delay_alu instid0(SALU_CYCLE_1) | instskip(SKIP_3) | instid1(VALU_DEP_2)
	s_or_b32 exec_lo, exec_lo, s14
	v_bfe_u32 v5, v9, 24, 2
	v_bfe_u32 v100, v9, 26, 5
	s_mov_b32 s14, exec_lo
	v_clz_i32_u32_e32 v2, v5
	s_delay_alu instid0(VALU_DEP_2) | instskip(NEXT) | instid1(VALU_DEP_2)
	v_cmp_eq_u32_e64 s13, 0, v100
	v_min_u32_e32 v23, 32, v2
	v_lshrrev_b32_e32 v2, 24, v9
	s_delay_alu instid0(VALU_DEP_2) | instskip(NEXT) | instid1(VALU_DEP_1)
	v_subrev_nc_u32_e32 v12, 29, v23
	v_lshlrev_b64_e32 v[12:13], v12, v[2:3]
	v_sub_nc_u32_e32 v13, 30, v23
	v_and_b32_e32 v23, 0x80000000, v9
	s_delay_alu instid0(VALU_DEP_2) | instskip(NEXT) | instid1(VALU_DEP_1)
	v_dual_cndmask_b32 v13, v100, v13, s13 :: v_dual_bitop2_b32 v12, 3, v12 bitop3:0x40
	v_lshl_add_u32 v13, v13, 23, v23
	s_delay_alu instid0(VALU_DEP_2) | instskip(SKIP_1) | instid1(VALU_DEP_2)
	v_cndmask_b32_e64 v12, v5, v12, s13
	v_cmp_lt_i64_e64 s13, -1, v[8:9]
	v_lshl_or_b32 v12, v12, 21, v13
	v_and_b32_e32 v13, 0x7c000000, v9
	s_delay_alu instid0(VALU_DEP_3) | instskip(SKIP_1) | instid1(VALU_DEP_4)
	v_cndmask_b32_e64 v23, 0xff800000, v112, s13
	v_cmp_eq_u32_e64 s13, 0, v5
	v_add_nc_u32_e32 v12, 0x38000000, v12
	s_delay_alu instid0(VALU_DEP_2) | instskip(SKIP_1) | instid1(VALU_DEP_1)
	v_cndmask_b32_e64 v5, 0x7f800001, v23, s13
	v_cmp_eq_u32_e64 s13, 0x7c000000, v13
                                        ; implicit-def: $vgpr23
	v_cndmask_b32_e64 v5, v12, v5, s13
	v_cmp_ne_u32_e64 s13, 0x80, v2
	s_delay_alu instid0(VALU_DEP_1) | instskip(SKIP_1) | instid1(VALU_DEP_1)
	v_cndmask_b32_e64 v2, 0x80000000, v5, s13
	v_cmp_lt_u64_e64 s13, s[22:23], v[8:9]
	v_dual_mov_b32 v9, v3 :: v_dual_cndmask_b32 v2, 0, v2, s13
	s_delay_alu instid0(VALU_DEP_1) | instskip(NEXT) | instid1(VALU_DEP_1)
	v_mul_f32_e32 v4, v2, v4
	v_and_b32_e32 v8, 0x7f800000, v4
	v_and_b32_e32 v2, 0x7fffff, v4
	v_lshrrev_b32_e32 v5, 24, v4
	s_delay_alu instid0(VALU_DEP_3)
	v_cmpx_ne_u64_e32 0x7f800000, v[8:9]
	s_xor_b32 s72, exec_lo, s14
	s_cbranch_execz .LBB4_7375
; %bb.7362:                             ;   in Loop: Header=BB4_7105 Depth=3
	v_and_b32_e32 v8, 0x7fffffff, v4
	v_mov_b32_e32 v9, v3
	v_and_b32_e32 v12, 0x80, v5
                                        ; implicit-def: $vgpr23
	s_mov_b32 s14, exec_lo
	s_delay_alu instid0(VALU_DEP_2)
	v_cmpx_gt_u64_e32 0x47600001, v[8:9]
	s_xor_b32 s73, exec_lo, s14
	s_cbranch_execz .LBB4_7372
; %bb.7363:                             ;   in Loop: Header=BB4_7105 Depth=3
	v_mov_b32_e32 v23, 0
	s_mov_b32 s74, exec_lo
	v_cmpx_ne_u32_e32 0, v4
	s_cbranch_execz .LBB4_7371
; %bb.7364:                             ;   in Loop: Header=BB4_7105 Depth=3
	v_bfe_u32 v13, v4, 23, 8
	v_or_b32_e32 v8, 0x800000, v2
	s_mov_b32 s75, exec_lo
	s_delay_alu instid0(VALU_DEP_2) | instskip(SKIP_1) | instid1(VALU_DEP_1)
	v_dual_mov_b32 v9, v3 :: v_dual_sub_nc_u32 v4, 0x71, v13
	v_cmp_gt_u32_e64 s13, 0x72, v13
	v_cndmask_b32_e64 v4, 0, v4, s13
	v_cmp_eq_u32_e64 s13, 0, v13
	s_delay_alu instid0(VALU_DEP_1) | instskip(NEXT) | instid1(VALU_DEP_1)
	v_cndmask_b32_e64 v23, v4, 0x70, s13
	v_dual_cndmask_b32 v8, v8, v2, s13 :: v_dual_add_nc_u32 v4, 21, v23
	v_add_nc_u32_e32 v100, 20, v23
	s_delay_alu instid0(VALU_DEP_2) | instskip(NEXT) | instid1(VALU_DEP_2)
	v_lshlrev_b64_e64 v[4:5], v4, -1
	v_lshlrev_b64_e64 v[100:101], v100, 1
	s_delay_alu instid0(VALU_DEP_2) | instskip(NEXT) | instid1(VALU_DEP_3)
	v_bfi_b32 v103, v5, 0, 0
	v_bfi_b32 v102, v4, 0, v8
	v_lshrrev_b64 v[4:5], v23, v[8:9]
	s_delay_alu instid0(VALU_DEP_1) | instskip(NEXT) | instid1(VALU_DEP_3)
	v_mov_b64_e32 v[8:9], v[4:5]
	v_cmpx_eq_u64_e64 v[102:103], v[100:101]
; %bb.7365:                             ;   in Loop: Header=BB4_7105 Depth=3
	v_bfe_u32 v8, v4, 21, 1
	v_mov_b32_e32 v9, v3
	s_delay_alu instid0(VALU_DEP_1) | instskip(NEXT) | instid1(VALU_DEP_1)
	v_add_nc_u64_e32 v[8:9], v[4:5], v[8:9]
	v_add_nc_u64_e32 v[8:9], -1, v[8:9]
; %bb.7366:                             ;   in Loop: Header=BB4_7105 Depth=3
	s_or_b32 exec_lo, exec_lo, s75
	v_add_nc_u32_e32 v2, 0xffffff81, v13
	v_lshrrev_b32_e32 v5, 23, v4
	s_mov_b32 s14, exec_lo
	s_delay_alu instid0(VALU_DEP_2) | instskip(NEXT) | instid1(VALU_DEP_1)
	v_cndmask_b32_e64 v2, v2, 0xffffff82, s13
	v_add3_u32 v9, v23, v2, v5
	v_and_b32_e32 v2, 0x1fffff, v8
                                        ; implicit-def: $vgpr8
	s_delay_alu instid0(VALU_DEP_1) | instskip(NEXT) | instid1(VALU_DEP_1)
	v_dual_add_nc_u32 v13, 14, v9 :: v_dual_add_nc_u32 v2, v2, v4
                                        ; implicit-def: $vgpr4_vgpr5
	v_cmpx_ne_u32_e32 0, v13
	s_xor_b32 s14, exec_lo, s14
; %bb.7367:                             ;   in Loop: Header=BB4_7105 Depth=3
	s_delay_alu instid0(VALU_DEP_2) | instskip(SKIP_1) | instid1(VALU_DEP_1)
	v_cmp_lt_u64_e64 s13, 0xffffff, v[2:3]
	v_add_nc_u32_e32 v4, 15, v9
	v_cndmask_b32_e64 v8, v13, v4, s13
	v_cndmask_b32_e64 v4, 0, 1, s13
	s_delay_alu instid0(VALU_DEP_1)
	v_lshrrev_b64 v[4:5], v4, v[2:3]
; %bb.7368:                             ;   in Loop: Header=BB4_7105 Depth=3
	s_and_not1_saveexec_b32 s13, s14
; %bb.7369:                             ;   in Loop: Header=BB4_7105 Depth=3
	v_mov_b64_e32 v[4:5], v[2:3]
	v_bfe_u32 v8, v2, 23, 1
; %bb.7370:                             ;   in Loop: Header=BB4_7105 Depth=3
	s_or_b32 exec_lo, exec_lo, s13
	s_delay_alu instid0(VALU_DEP_2) | instskip(NEXT) | instid1(VALU_DEP_2)
	v_lshrrev_b64 v[4:5], 21, v[4:5]
	v_cmp_gt_i32_e64 s13, 32, v8
	v_min_i32_e32 v2, 31, v8
	v_cmp_eq_u32_e64 s14, 0, v8
	s_delay_alu instid0(VALU_DEP_2) | instskip(SKIP_1) | instid1(VALU_DEP_2)
	v_dual_cndmask_b32 v5, 0, v5, s13 :: v_dual_lshlrev_b32 v2, 2, v2
	v_cndmask_b32_e64 v4, 3, v4, s13
	v_and_b32_e32 v2, 0xfc, v2
	s_delay_alu instid0(VALU_DEP_2) | instskip(NEXT) | instid1(VALU_DEP_2)
	v_cmp_eq_u64_e64 s13, 0, v[4:5]
	v_and_or_b32 v2, v4, 3, v2
	s_and_b32 s13, s14, s13
	s_delay_alu instid0(VALU_DEP_1) | instid1(SALU_CYCLE_1)
	v_cndmask_b32_e64 v2, v2, 0, s13
	s_delay_alu instid0(VALU_DEP_1)
	v_or_b32_e32 v23, v2, v12
.LBB4_7371:                             ;   in Loop: Header=BB4_7105 Depth=3
	s_or_b32 exec_lo, exec_lo, s74
                                        ; implicit-def: $vgpr12
.LBB4_7372:                             ;   in Loop: Header=BB4_7105 Depth=3
	s_and_not1_saveexec_b32 s13, s73
; %bb.7373:                             ;   in Loop: Header=BB4_7105 Depth=3
	v_or_b32_e32 v23, 0x7b, v12
; %bb.7374:                             ;   in Loop: Header=BB4_7105 Depth=3
	s_or_b32 exec_lo, exec_lo, s13
                                        ; implicit-def: $vgpr4
                                        ; implicit-def: $vgpr5
.LBB4_7375:                             ;   in Loop: Header=BB4_7105 Depth=3
	s_and_not1_saveexec_b32 s14, s72
	s_cbranch_execz .LBB4_7381
; %bb.7376:                             ;   in Loop: Header=BB4_7105 Depth=3
	v_cmp_ne_u64_e64 s13, 0, v[2:3]
                                        ; implicit-def: $vgpr23
	s_and_saveexec_b32 s72, s13
	s_delay_alu instid0(SALU_CYCLE_1)
	s_xor_b32 s13, exec_lo, s72
; %bb.7377:                             ;   in Loop: Header=BB4_7105 Depth=3
	v_or_b32_e32 v23, 0x7f, v5
                                        ; implicit-def: $vgpr4
; %bb.7378:                             ;   in Loop: Header=BB4_7105 Depth=3
	s_and_not1_saveexec_b32 s72, s13
; %bb.7379:                             ;   in Loop: Header=BB4_7105 Depth=3
	v_cmp_lt_i32_e64 s13, -1, v4
	s_delay_alu instid0(VALU_DEP_1)
	v_cndmask_b32_e64 v23, 0xfc, v113, s13
; %bb.7380:                             ;   in Loop: Header=BB4_7105 Depth=3
	s_or_b32 exec_lo, exec_lo, s72
.LBB4_7381:                             ;   in Loop: Header=BB4_7105 Depth=3
	s_delay_alu instid0(SALU_CYCLE_1) | instskip(SKIP_1) | instid1(VALU_DEP_1)
	s_or_b32 exec_lo, exec_lo, s14
	v_and_b32_e32 v2, 0xff, v14
	v_cmp_ne_u16_e64 s13, 0, v2
	v_mov_b32_e32 v2, 0
	s_and_saveexec_b32 s14, s13
	s_cbranch_execz .LBB4_7391
; %bb.7382:                             ;   in Loop: Header=BB4_7105 Depth=3
	v_bfe_i32 v5, v14, 0, 8
	v_bfrev_b32_e32 v2, 1
	s_mov_b32 s72, exec_lo
	s_delay_alu instid0(VALU_DEP_2)
	v_cmpx_ne_u16_e32 0xff80, v5
	s_cbranch_execz .LBB4_7390
; %bb.7383:                             ;   in Loop: Header=BB4_7105 Depth=3
	v_and_b32_e32 v2, 0x7c, v14
	v_and_b32_e32 v4, 3, v14
	s_delay_alu instid0(VALU_DEP_2) | instskip(SKIP_1) | instid1(SALU_CYCLE_1)
	v_cmp_ne_u32_e64 s13, 0x7c, v2
                                        ; implicit-def: $vgpr2
	s_and_saveexec_b32 s73, s13
	s_xor_b32 s73, exec_lo, s73
	s_cbranch_execz .LBB4_7387
; %bb.7384:                             ;   in Loop: Header=BB4_7105 Depth=3
	v_bfe_u32 v2, v14, 2, 5
	s_mov_b32 s74, exec_lo
	s_delay_alu instid0(VALU_DEP_1)
	v_cmpx_eq_u32_e32 0, v2
; %bb.7385:                             ;   in Loop: Header=BB4_7105 Depth=3
	v_clz_i32_u32_e32 v2, v4
	s_delay_alu instid0(VALU_DEP_1) | instskip(NEXT) | instid1(VALU_DEP_1)
	v_min_u32_e32 v2, 32, v2
	v_subrev_nc_u32_e32 v4, 29, v2
	s_delay_alu instid0(VALU_DEP_1) | instskip(NEXT) | instid1(VALU_DEP_1)
	v_lshlrev_b64_e32 v[4:5], v4, v[14:15]
	v_dual_sub_nc_u32 v2, 30, v2 :: v_dual_bitop2_b32 v4, 3, v4 bitop3:0x40
; %bb.7386:                             ;   in Loop: Header=BB4_7105 Depth=3
	s_or_b32 exec_lo, exec_lo, s74
	v_lshlrev_b32_e32 v5, 24, v14
	s_delay_alu instid0(VALU_DEP_1) | instskip(NEXT) | instid1(VALU_DEP_1)
	v_and_b32_e32 v5, 0x80000000, v5
	v_lshl_add_u32 v2, v2, 23, v5
                                        ; implicit-def: $vgpr5
	s_delay_alu instid0(VALU_DEP_1) | instskip(NEXT) | instid1(VALU_DEP_1)
	v_lshl_or_b32 v2, v4, 21, v2
                                        ; implicit-def: $vgpr4
	v_add_nc_u32_e32 v2, 0x38000000, v2
.LBB4_7387:                             ;   in Loop: Header=BB4_7105 Depth=3
	s_and_not1_saveexec_b32 s73, s73
; %bb.7388:                             ;   in Loop: Header=BB4_7105 Depth=3
	v_cmp_lt_i16_e64 s13, -1, v5
	s_delay_alu instid0(VALU_DEP_1) | instskip(SKIP_1) | instid1(VALU_DEP_1)
	v_cndmask_b32_e64 v2, 0xff800000, v112, s13
	v_cmp_eq_u32_e64 s13, 0, v4
	v_cndmask_b32_e64 v2, 0x7f800001, v2, s13
; %bb.7389:                             ;   in Loop: Header=BB4_7105 Depth=3
	s_or_b32 exec_lo, exec_lo, s73
.LBB4_7390:                             ;   in Loop: Header=BB4_7105 Depth=3
	s_delay_alu instid0(SALU_CYCLE_1)
	s_or_b32 exec_lo, exec_lo, s72
.LBB4_7391:                             ;   in Loop: Header=BB4_7105 Depth=3
	s_delay_alu instid0(SALU_CYCLE_1) | instskip(SKIP_3) | instid1(VALU_DEP_1)
	s_or_b32 exec_lo, exec_lo, s14
	v_and_b32_e32 v5, 0xff, v10
	s_mov_b32 s72, 0
	s_mov_b32 s14, exec_lo
	v_cmpx_lt_i16_e32 0x7f, v5
	s_xor_b32 s14, exec_lo, s14
	s_cbranch_execz .LBB4_7668
; %bb.7392:                             ;   in Loop: Header=BB4_7105 Depth=3
	s_mov_b32 s72, -1
	s_mov_b32 s73, exec_lo
	v_cmpx_eq_u16_e32 0x80, v5
; %bb.7393:                             ;   in Loop: Header=BB4_7105 Depth=3
	s_xor_b32 s72, exec_lo, -1
; %bb.7394:                             ;   in Loop: Header=BB4_7105 Depth=3
	s_or_b32 exec_lo, exec_lo, s73
	s_delay_alu instid0(SALU_CYCLE_1)
	s_and_b32 s72, s72, exec_lo
                                        ; implicit-def: $vgpr5
	s_or_saveexec_b32 s14, s14
	v_bfrev_b32_e32 v4, 1
	s_xor_b32 exec_lo, exec_lo, s14
	s_cbranch_execnz .LBB4_7669
.LBB4_7395:                             ;   in Loop: Header=BB4_7105 Depth=3
	s_or_b32 exec_lo, exec_lo, s14
	s_and_saveexec_b32 s14, s72
	s_cbranch_execz .LBB4_7397
.LBB4_7396:                             ;   in Loop: Header=BB4_7105 Depth=3
	v_and_b32_e32 v8, 3, v10
	v_bfe_u32 v12, v10, 2, 5
	s_delay_alu instid0(VALU_DEP_2) | instskip(NEXT) | instid1(VALU_DEP_2)
	v_clz_i32_u32_e32 v4, v8
	v_cmp_eq_u32_e64 s13, 0, v12
	s_delay_alu instid0(VALU_DEP_2) | instskip(NEXT) | instid1(VALU_DEP_1)
	v_min_u32_e32 v9, 32, v4
	v_subrev_nc_u32_e32 v4, 29, v9
	s_delay_alu instid0(VALU_DEP_1) | instskip(SKIP_1) | instid1(VALU_DEP_1)
	v_lshlrev_b64_e32 v[4:5], v4, v[10:11]
	v_dual_lshlrev_b32 v5, 24, v10 :: v_dual_sub_nc_u32 v9, 30, v9
	v_and_b32_e32 v5, 0x80000000, v5
	s_delay_alu instid0(VALU_DEP_2) | instskip(SKIP_1) | instid1(VALU_DEP_2)
	v_dual_cndmask_b32 v9, v12, v9, s13 :: v_dual_bitop2_b32 v4, 3, v4 bitop3:0x40
	v_bfe_i32 v12, v10, 0, 8
	v_cndmask_b32_e64 v4, v8, v4, s13
	s_delay_alu instid0(VALU_DEP_3) | instskip(NEXT) | instid1(VALU_DEP_3)
	v_lshl_add_u32 v5, v9, 23, v5
	v_cmp_lt_i16_e64 s13, -1, v12
	s_delay_alu instid0(VALU_DEP_2) | instskip(NEXT) | instid1(VALU_DEP_2)
	v_lshl_or_b32 v4, v4, 21, v5
	v_cndmask_b32_e64 v9, 0xff800000, v112, s13
	v_and_b32_e32 v5, 0x7c, v10
	v_cmp_eq_u32_e64 s13, 0, v8
	s_delay_alu instid0(VALU_DEP_4) | instskip(NEXT) | instid1(VALU_DEP_2)
	v_add_nc_u32_e32 v4, 0x38000000, v4
	v_cndmask_b32_e64 v8, 0x7f800001, v9, s13
	s_delay_alu instid0(VALU_DEP_4) | instskip(NEXT) | instid1(VALU_DEP_1)
	v_cmp_eq_u32_e64 s13, 0x7c, v5
	v_cndmask_b32_e64 v4, v4, v8, s13
.LBB4_7397:                             ;   in Loop: Header=BB4_7105 Depth=3
	s_or_b32 exec_lo, exec_lo, s14
	s_delay_alu instid0(VALU_DEP_1) | instskip(SKIP_1) | instid1(VALU_DEP_1)
	v_dual_mul_f32 v4, v2, v4 :: v_dual_mov_b32 v9, v3
                                        ; implicit-def: $vgpr100
	s_mov_b32 s14, exec_lo
	v_and_b32_e32 v8, 0x7f800000, v4
	v_and_b32_e32 v2, 0x7fffff, v4
	v_lshrrev_b32_e32 v5, 24, v4
	s_delay_alu instid0(VALU_DEP_3)
	v_cmpx_ne_u64_e32 0x7f800000, v[8:9]
	s_xor_b32 s72, exec_lo, s14
	s_cbranch_execz .LBB4_7411
; %bb.7398:                             ;   in Loop: Header=BB4_7105 Depth=3
	v_and_b32_e32 v8, 0x7fffffff, v4
	v_mov_b32_e32 v9, v3
	v_and_b32_e32 v12, 0x80, v5
                                        ; implicit-def: $vgpr100
	s_mov_b32 s14, exec_lo
	s_delay_alu instid0(VALU_DEP_2)
	v_cmpx_gt_u64_e32 0x47600001, v[8:9]
	s_xor_b32 s73, exec_lo, s14
	s_cbranch_execz .LBB4_7408
; %bb.7399:                             ;   in Loop: Header=BB4_7105 Depth=3
	v_mov_b32_e32 v100, 0
	s_mov_b32 s74, exec_lo
	v_cmpx_ne_u32_e32 0, v4
	s_cbranch_execz .LBB4_7407
; %bb.7400:                             ;   in Loop: Header=BB4_7105 Depth=3
	v_bfe_u32 v13, v4, 23, 8
	v_or_b32_e32 v8, 0x800000, v2
	s_mov_b32 s75, exec_lo
	s_delay_alu instid0(VALU_DEP_2) | instskip(SKIP_1) | instid1(VALU_DEP_1)
	v_dual_mov_b32 v9, v3 :: v_dual_sub_nc_u32 v4, 0x71, v13
	v_cmp_gt_u32_e64 s13, 0x72, v13
	v_cndmask_b32_e64 v4, 0, v4, s13
	v_cmp_eq_u32_e64 s13, 0, v13
	s_delay_alu instid0(VALU_DEP_1) | instskip(NEXT) | instid1(VALU_DEP_3)
	v_cndmask_b32_e64 v8, v8, v2, s13
	v_cndmask_b32_e64 v100, v4, 0x70, s13
	s_delay_alu instid0(VALU_DEP_1) | instskip(NEXT) | instid1(VALU_DEP_1)
	v_dual_add_nc_u32 v4, 21, v100 :: v_dual_add_nc_u32 v101, 20, v100
	v_lshlrev_b64_e64 v[4:5], v4, -1
	s_delay_alu instid0(VALU_DEP_2) | instskip(NEXT) | instid1(VALU_DEP_2)
	v_lshlrev_b64_e64 v[102:103], v101, 1
	v_bfi_b32 v117, v5, 0, 0
	s_delay_alu instid0(VALU_DEP_3) | instskip(SKIP_1) | instid1(VALU_DEP_1)
	v_bfi_b32 v116, v4, 0, v8
	v_lshrrev_b64 v[4:5], v100, v[8:9]
	v_mov_b64_e32 v[8:9], v[4:5]
	s_delay_alu instid0(VALU_DEP_3)
	v_cmpx_eq_u64_e64 v[116:117], v[102:103]
; %bb.7401:                             ;   in Loop: Header=BB4_7105 Depth=3
	v_bfe_u32 v8, v4, 21, 1
	v_mov_b32_e32 v9, v3
	s_delay_alu instid0(VALU_DEP_1) | instskip(NEXT) | instid1(VALU_DEP_1)
	v_add_nc_u64_e32 v[8:9], v[4:5], v[8:9]
	v_add_nc_u64_e32 v[8:9], -1, v[8:9]
; %bb.7402:                             ;   in Loop: Header=BB4_7105 Depth=3
	s_or_b32 exec_lo, exec_lo, s75
	v_add_nc_u32_e32 v2, 0xffffff81, v13
	v_lshrrev_b32_e32 v5, 23, v4
	s_mov_b32 s14, exec_lo
	s_delay_alu instid0(VALU_DEP_2) | instskip(NEXT) | instid1(VALU_DEP_1)
	v_cndmask_b32_e64 v2, v2, 0xffffff82, s13
	v_add3_u32 v9, v100, v2, v5
	v_and_b32_e32 v2, 0x1fffff, v8
                                        ; implicit-def: $vgpr8
	s_delay_alu instid0(VALU_DEP_1) | instskip(NEXT) | instid1(VALU_DEP_1)
	v_dual_add_nc_u32 v13, 14, v9 :: v_dual_add_nc_u32 v2, v2, v4
                                        ; implicit-def: $vgpr4_vgpr5
	v_cmpx_ne_u32_e32 0, v13
	s_xor_b32 s14, exec_lo, s14
; %bb.7403:                             ;   in Loop: Header=BB4_7105 Depth=3
	s_delay_alu instid0(VALU_DEP_2) | instskip(SKIP_1) | instid1(VALU_DEP_1)
	v_cmp_lt_u64_e64 s13, 0xffffff, v[2:3]
	v_add_nc_u32_e32 v4, 15, v9
	v_cndmask_b32_e64 v8, v13, v4, s13
	v_cndmask_b32_e64 v4, 0, 1, s13
	s_delay_alu instid0(VALU_DEP_1)
	v_lshrrev_b64 v[4:5], v4, v[2:3]
; %bb.7404:                             ;   in Loop: Header=BB4_7105 Depth=3
	s_and_not1_saveexec_b32 s13, s14
; %bb.7405:                             ;   in Loop: Header=BB4_7105 Depth=3
	v_mov_b64_e32 v[4:5], v[2:3]
	v_bfe_u32 v8, v2, 23, 1
; %bb.7406:                             ;   in Loop: Header=BB4_7105 Depth=3
	s_or_b32 exec_lo, exec_lo, s13
	s_delay_alu instid0(VALU_DEP_2) | instskip(NEXT) | instid1(VALU_DEP_2)
	v_lshrrev_b64 v[4:5], 21, v[4:5]
	v_cmp_gt_i32_e64 s13, 32, v8
	v_min_i32_e32 v2, 31, v8
	v_cmp_eq_u32_e64 s14, 0, v8
	s_delay_alu instid0(VALU_DEP_2) | instskip(SKIP_1) | instid1(VALU_DEP_2)
	v_dual_cndmask_b32 v5, 0, v5, s13 :: v_dual_lshlrev_b32 v2, 2, v2
	v_cndmask_b32_e64 v4, 3, v4, s13
	v_and_b32_e32 v2, 0xfc, v2
	s_delay_alu instid0(VALU_DEP_2) | instskip(NEXT) | instid1(VALU_DEP_2)
	v_cmp_eq_u64_e64 s13, 0, v[4:5]
	v_and_or_b32 v2, v4, 3, v2
	s_and_b32 s13, s14, s13
	s_delay_alu instid0(VALU_DEP_1) | instid1(SALU_CYCLE_1)
	v_cndmask_b32_e64 v2, v2, 0, s13
	s_delay_alu instid0(VALU_DEP_1)
	v_or_b32_e32 v100, v2, v12
.LBB4_7407:                             ;   in Loop: Header=BB4_7105 Depth=3
	s_or_b32 exec_lo, exec_lo, s74
                                        ; implicit-def: $vgpr12
.LBB4_7408:                             ;   in Loop: Header=BB4_7105 Depth=3
	s_and_not1_saveexec_b32 s13, s73
; %bb.7409:                             ;   in Loop: Header=BB4_7105 Depth=3
	v_or_b32_e32 v100, 0x7b, v12
; %bb.7410:                             ;   in Loop: Header=BB4_7105 Depth=3
	s_or_b32 exec_lo, exec_lo, s13
                                        ; implicit-def: $vgpr4
                                        ; implicit-def: $vgpr5
.LBB4_7411:                             ;   in Loop: Header=BB4_7105 Depth=3
	s_and_not1_saveexec_b32 s14, s72
	s_cbranch_execz .LBB4_7417
; %bb.7412:                             ;   in Loop: Header=BB4_7105 Depth=3
	v_cmp_ne_u64_e64 s13, 0, v[2:3]
                                        ; implicit-def: $vgpr100
	s_and_saveexec_b32 s72, s13
	s_delay_alu instid0(SALU_CYCLE_1)
	s_xor_b32 s13, exec_lo, s72
; %bb.7413:                             ;   in Loop: Header=BB4_7105 Depth=3
	v_or_b32_e32 v100, 0x7f, v5
                                        ; implicit-def: $vgpr4
; %bb.7414:                             ;   in Loop: Header=BB4_7105 Depth=3
	s_and_not1_saveexec_b32 s72, s13
; %bb.7415:                             ;   in Loop: Header=BB4_7105 Depth=3
	v_cmp_lt_i32_e64 s13, -1, v4
	s_delay_alu instid0(VALU_DEP_1)
	v_cndmask_b32_e64 v100, 0xfc, v113, s13
; %bb.7416:                             ;   in Loop: Header=BB4_7105 Depth=3
	s_or_b32 exec_lo, exec_lo, s72
.LBB4_7417:                             ;   in Loop: Header=BB4_7105 Depth=3
	s_delay_alu instid0(SALU_CYCLE_1) | instskip(SKIP_3) | instid1(VALU_DEP_2)
	s_or_b32 exec_lo, exec_lo, s14
	v_lshrrev_b16 v4, 8, v14
	v_mov_b32_e32 v2, 0
	s_mov_b32 s14, exec_lo
	v_cmpx_ne_u16_e32 0, v4
	s_cbranch_execz .LBB4_7427
; %bb.7418:                             ;   in Loop: Header=BB4_7105 Depth=3
	v_bfrev_b32_e32 v2, 1
	s_mov_b32 s72, exec_lo
	v_cmpx_ne_u16_e32 0x80, v4
	s_cbranch_execz .LBB4_7426
; %bb.7419:                             ;   in Loop: Header=BB4_7105 Depth=3
	v_and_b32_e32 v8, 0xffff, v4
	s_delay_alu instid0(VALU_DEP_1) | instskip(SKIP_1) | instid1(VALU_DEP_2)
	v_and_b32_e32 v2, 0x7c, v8
	v_and_b32_e32 v5, 3, v8
	v_cmp_ne_u32_e64 s13, 0x7c, v2
                                        ; implicit-def: $vgpr2
	s_and_saveexec_b32 s73, s13
	s_delay_alu instid0(SALU_CYCLE_1)
	s_xor_b32 s73, exec_lo, s73
	s_cbranch_execz .LBB4_7423
; %bb.7420:                             ;   in Loop: Header=BB4_7105 Depth=3
	v_bfe_u32 v2, v8, 2, 5
	s_mov_b32 s74, exec_lo
	s_delay_alu instid0(VALU_DEP_1)
	v_cmpx_eq_u32_e32 0, v2
	s_cbranch_execz .LBB4_7422
; %bb.7421:                             ;   in Loop: Header=BB4_7105 Depth=3
	v_clz_i32_u32_e32 v2, v5
	s_delay_alu instid0(VALU_DEP_1) | instskip(SKIP_1) | instid1(VALU_DEP_2)
	v_min_u32_e32 v2, 32, v2
	v_mov_b32_e32 v5, v3
	v_subrev_nc_u32_e32 v8, 29, v2
	v_sub_nc_u32_e32 v2, 30, v2
	s_delay_alu instid0(VALU_DEP_2) | instskip(NEXT) | instid1(VALU_DEP_1)
	v_lshlrev_b64_e32 v[4:5], v8, v[4:5]
	v_and_b32_e32 v5, 3, v4
.LBB4_7422:                             ;   in Loop: Header=BB4_7105 Depth=3
	s_or_b32 exec_lo, exec_lo, s74
	v_lshlrev_b32_e32 v4, 16, v14
	s_delay_alu instid0(VALU_DEP_1) | instskip(NEXT) | instid1(VALU_DEP_1)
	v_and_b32_e32 v4, 0x80000000, v4
	v_lshl_add_u32 v2, v2, 23, v4
	s_delay_alu instid0(VALU_DEP_1) | instskip(NEXT) | instid1(VALU_DEP_1)
	v_lshl_or_b32 v2, v5, 21, v2
                                        ; implicit-def: $vgpr5
	v_add_nc_u32_e32 v2, 0x38000000, v2
.LBB4_7423:                             ;   in Loop: Header=BB4_7105 Depth=3
	s_and_not1_saveexec_b32 s73, s73
; %bb.7424:                             ;   in Loop: Header=BB4_7105 Depth=3
	v_cmp_lt_i16_e64 s13, -1, v14
	s_delay_alu instid0(VALU_DEP_1) | instskip(SKIP_1) | instid1(VALU_DEP_1)
	v_cndmask_b32_e64 v2, 0xff800000, v112, s13
	v_cmp_eq_u32_e64 s13, 0, v5
	v_cndmask_b32_e64 v2, 0x7f800001, v2, s13
; %bb.7425:                             ;   in Loop: Header=BB4_7105 Depth=3
	s_or_b32 exec_lo, exec_lo, s73
.LBB4_7426:                             ;   in Loop: Header=BB4_7105 Depth=3
	s_delay_alu instid0(SALU_CYCLE_1)
	s_or_b32 exec_lo, exec_lo, s72
.LBB4_7427:                             ;   in Loop: Header=BB4_7105 Depth=3
	s_delay_alu instid0(SALU_CYCLE_1) | instskip(SKIP_3) | instid1(VALU_DEP_1)
	s_or_b32 exec_lo, exec_lo, s14
	v_lshrrev_b16 v4, 8, v10
	s_mov_b32 s72, 0
	s_mov_b32 s14, exec_lo
	v_cmpx_lt_i16_e32 0x7f, v4
	s_xor_b32 s14, exec_lo, s14
	s_cbranch_execz .LBB4_7670
; %bb.7428:                             ;   in Loop: Header=BB4_7105 Depth=3
	s_mov_b32 s72, -1
	s_mov_b32 s73, exec_lo
	v_cmpx_eq_u16_e32 0x80, v4
; %bb.7429:                             ;   in Loop: Header=BB4_7105 Depth=3
	s_xor_b32 s72, exec_lo, -1
; %bb.7430:                             ;   in Loop: Header=BB4_7105 Depth=3
	s_or_b32 exec_lo, exec_lo, s73
	s_delay_alu instid0(SALU_CYCLE_1)
	s_and_b32 s72, s72, exec_lo
	s_or_saveexec_b32 s14, s14
	v_bfrev_b32_e32 v5, 1
	s_xor_b32 exec_lo, exec_lo, s14
	s_cbranch_execnz .LBB4_7671
.LBB4_7431:                             ;   in Loop: Header=BB4_7105 Depth=3
	s_or_b32 exec_lo, exec_lo, s14
	s_and_saveexec_b32 s14, s72
	s_cbranch_execz .LBB4_7433
.LBB4_7432:                             ;   in Loop: Header=BB4_7105 Depth=3
	v_and_b32_e32 v12, 0xffff, v4
	s_delay_alu instid0(VALU_DEP_1) | instskip(NEXT) | instid1(VALU_DEP_1)
	v_and_b32_e32 v13, 3, v12
	v_clz_i32_u32_e32 v5, v13
	s_delay_alu instid0(VALU_DEP_1) | instskip(SKIP_1) | instid1(VALU_DEP_2)
	v_min_u32_e32 v101, 32, v5
	v_mov_b32_e32 v5, v3
	v_subrev_nc_u32_e32 v8, 29, v101
	s_delay_alu instid0(VALU_DEP_1) | instskip(SKIP_2) | instid1(VALU_DEP_2)
	v_lshlrev_b64_e32 v[8:9], v8, v[4:5]
	v_bfe_u32 v5, v12, 2, 5
	v_dual_lshlrev_b32 v4, 24, v4 :: v_dual_sub_nc_u32 v9, 30, v101
	v_cmp_eq_u32_e64 s13, 0, v5
	s_delay_alu instid0(VALU_DEP_2) | instskip(NEXT) | instid1(VALU_DEP_2)
	v_and_b32_e32 v4, 0x80000000, v4
	v_dual_cndmask_b32 v5, v5, v9, s13 :: v_dual_bitop2_b32 v8, 3, v8 bitop3:0x40
	s_delay_alu instid0(VALU_DEP_1) | instskip(SKIP_1) | instid1(VALU_DEP_3)
	v_cndmask_b32_e64 v8, v13, v8, s13
	v_cmp_lt_i16_e64 s13, -1, v10
	v_lshl_add_u32 v4, v5, 23, v4
	s_delay_alu instid0(VALU_DEP_2) | instskip(SKIP_1) | instid1(VALU_DEP_3)
	v_cndmask_b32_e64 v5, 0xff800000, v112, s13
	v_cmp_eq_u32_e64 s13, 0, v13
	v_lshl_or_b32 v4, v8, 21, v4
	v_and_b32_e32 v8, 0x7c, v12
	s_delay_alu instid0(VALU_DEP_3) | instskip(NEXT) | instid1(VALU_DEP_3)
	v_cndmask_b32_e64 v5, 0x7f800001, v5, s13
	v_add_nc_u32_e32 v4, 0x38000000, v4
	s_delay_alu instid0(VALU_DEP_3) | instskip(NEXT) | instid1(VALU_DEP_1)
	v_cmp_eq_u32_e64 s13, 0x7c, v8
	v_cndmask_b32_e64 v5, v4, v5, s13
.LBB4_7433:                             ;   in Loop: Header=BB4_7105 Depth=3
	s_or_b32 exec_lo, exec_lo, s14
	s_delay_alu instid0(VALU_DEP_1) | instskip(SKIP_1) | instid1(VALU_DEP_1)
	v_dual_mul_f32 v4, v2, v5 :: v_dual_mov_b32 v9, v3
                                        ; implicit-def: $vgpr101
	s_mov_b32 s14, exec_lo
	v_and_b32_e32 v8, 0x7f800000, v4
	v_and_b32_e32 v2, 0x7fffff, v4
	v_lshrrev_b32_e32 v5, 24, v4
	s_delay_alu instid0(VALU_DEP_3)
	v_cmpx_ne_u64_e32 0x7f800000, v[8:9]
	s_xor_b32 s72, exec_lo, s14
	s_cbranch_execz .LBB4_7447
; %bb.7434:                             ;   in Loop: Header=BB4_7105 Depth=3
	v_and_b32_e32 v8, 0x7fffffff, v4
	v_mov_b32_e32 v9, v3
	v_and_b32_e32 v12, 0x80, v5
                                        ; implicit-def: $vgpr101
	s_mov_b32 s14, exec_lo
	s_delay_alu instid0(VALU_DEP_2)
	v_cmpx_gt_u64_e32 0x47600001, v[8:9]
	s_xor_b32 s73, exec_lo, s14
	s_cbranch_execz .LBB4_7444
; %bb.7435:                             ;   in Loop: Header=BB4_7105 Depth=3
	v_mov_b32_e32 v101, 0
	s_mov_b32 s74, exec_lo
	v_cmpx_ne_u32_e32 0, v4
	s_cbranch_execz .LBB4_7443
; %bb.7436:                             ;   in Loop: Header=BB4_7105 Depth=3
	v_bfe_u32 v13, v4, 23, 8
	v_or_b32_e32 v8, 0x800000, v2
	s_mov_b32 s75, exec_lo
	s_delay_alu instid0(VALU_DEP_2) | instskip(SKIP_1) | instid1(VALU_DEP_1)
	v_dual_mov_b32 v9, v3 :: v_dual_sub_nc_u32 v4, 0x71, v13
	v_cmp_gt_u32_e64 s13, 0x72, v13
	v_cndmask_b32_e64 v4, 0, v4, s13
	v_cmp_eq_u32_e64 s13, 0, v13
	s_delay_alu instid0(VALU_DEP_1) | instskip(NEXT) | instid1(VALU_DEP_1)
	v_cndmask_b32_e64 v101, v4, 0x70, s13
	v_dual_cndmask_b32 v8, v8, v2, s13 :: v_dual_add_nc_u32 v4, 21, v101
	v_add_nc_u32_e32 v102, 20, v101
	s_delay_alu instid0(VALU_DEP_2) | instskip(NEXT) | instid1(VALU_DEP_2)
	v_lshlrev_b64_e64 v[4:5], v4, -1
	v_lshlrev_b64_e64 v[102:103], v102, 1
	s_delay_alu instid0(VALU_DEP_2) | instskip(NEXT) | instid1(VALU_DEP_3)
	v_bfi_b32 v117, v5, 0, 0
	v_bfi_b32 v116, v4, 0, v8
	v_lshrrev_b64 v[4:5], v101, v[8:9]
	s_delay_alu instid0(VALU_DEP_1) | instskip(NEXT) | instid1(VALU_DEP_3)
	v_mov_b64_e32 v[8:9], v[4:5]
	v_cmpx_eq_u64_e64 v[116:117], v[102:103]
; %bb.7437:                             ;   in Loop: Header=BB4_7105 Depth=3
	v_bfe_u32 v8, v4, 21, 1
	v_mov_b32_e32 v9, v3
	s_delay_alu instid0(VALU_DEP_1) | instskip(NEXT) | instid1(VALU_DEP_1)
	v_add_nc_u64_e32 v[8:9], v[4:5], v[8:9]
	v_add_nc_u64_e32 v[8:9], -1, v[8:9]
; %bb.7438:                             ;   in Loop: Header=BB4_7105 Depth=3
	s_or_b32 exec_lo, exec_lo, s75
	v_add_nc_u32_e32 v2, 0xffffff81, v13
	v_lshrrev_b32_e32 v5, 23, v4
	s_mov_b32 s14, exec_lo
	s_delay_alu instid0(VALU_DEP_2) | instskip(NEXT) | instid1(VALU_DEP_1)
	v_cndmask_b32_e64 v2, v2, 0xffffff82, s13
	v_add3_u32 v9, v101, v2, v5
	v_and_b32_e32 v2, 0x1fffff, v8
                                        ; implicit-def: $vgpr8
	s_delay_alu instid0(VALU_DEP_1) | instskip(NEXT) | instid1(VALU_DEP_1)
	v_dual_add_nc_u32 v13, 14, v9 :: v_dual_add_nc_u32 v2, v2, v4
                                        ; implicit-def: $vgpr4_vgpr5
	v_cmpx_ne_u32_e32 0, v13
	s_xor_b32 s14, exec_lo, s14
; %bb.7439:                             ;   in Loop: Header=BB4_7105 Depth=3
	s_delay_alu instid0(VALU_DEP_2) | instskip(SKIP_1) | instid1(VALU_DEP_1)
	v_cmp_lt_u64_e64 s13, 0xffffff, v[2:3]
	v_add_nc_u32_e32 v4, 15, v9
	v_cndmask_b32_e64 v8, v13, v4, s13
	v_cndmask_b32_e64 v4, 0, 1, s13
	s_delay_alu instid0(VALU_DEP_1)
	v_lshrrev_b64 v[4:5], v4, v[2:3]
; %bb.7440:                             ;   in Loop: Header=BB4_7105 Depth=3
	s_and_not1_saveexec_b32 s13, s14
; %bb.7441:                             ;   in Loop: Header=BB4_7105 Depth=3
	v_mov_b64_e32 v[4:5], v[2:3]
	v_bfe_u32 v8, v2, 23, 1
; %bb.7442:                             ;   in Loop: Header=BB4_7105 Depth=3
	s_or_b32 exec_lo, exec_lo, s13
	s_delay_alu instid0(VALU_DEP_2) | instskip(NEXT) | instid1(VALU_DEP_2)
	v_lshrrev_b64 v[4:5], 21, v[4:5]
	v_cmp_gt_i32_e64 s13, 32, v8
	v_min_i32_e32 v2, 31, v8
	v_cmp_eq_u32_e64 s14, 0, v8
	s_delay_alu instid0(VALU_DEP_2) | instskip(SKIP_1) | instid1(VALU_DEP_2)
	v_dual_cndmask_b32 v5, 0, v5, s13 :: v_dual_lshlrev_b32 v2, 2, v2
	v_cndmask_b32_e64 v4, 3, v4, s13
	v_and_b32_e32 v2, 0xfc, v2
	s_delay_alu instid0(VALU_DEP_2) | instskip(NEXT) | instid1(VALU_DEP_2)
	v_cmp_eq_u64_e64 s13, 0, v[4:5]
	v_and_or_b32 v2, v4, 3, v2
	s_and_b32 s13, s14, s13
	s_delay_alu instid0(VALU_DEP_1) | instid1(SALU_CYCLE_1)
	v_cndmask_b32_e64 v2, v2, 0, s13
	s_delay_alu instid0(VALU_DEP_1)
	v_or_b32_e32 v101, v2, v12
.LBB4_7443:                             ;   in Loop: Header=BB4_7105 Depth=3
	s_or_b32 exec_lo, exec_lo, s74
                                        ; implicit-def: $vgpr12
.LBB4_7444:                             ;   in Loop: Header=BB4_7105 Depth=3
	s_and_not1_saveexec_b32 s13, s73
; %bb.7445:                             ;   in Loop: Header=BB4_7105 Depth=3
	v_or_b32_e32 v101, 0x7b, v12
; %bb.7446:                             ;   in Loop: Header=BB4_7105 Depth=3
	s_or_b32 exec_lo, exec_lo, s13
                                        ; implicit-def: $vgpr4
                                        ; implicit-def: $vgpr5
.LBB4_7447:                             ;   in Loop: Header=BB4_7105 Depth=3
	s_and_not1_saveexec_b32 s14, s72
	s_cbranch_execz .LBB4_7453
; %bb.7448:                             ;   in Loop: Header=BB4_7105 Depth=3
	v_cmp_ne_u64_e64 s13, 0, v[2:3]
                                        ; implicit-def: $vgpr101
	s_and_saveexec_b32 s72, s13
	s_delay_alu instid0(SALU_CYCLE_1)
	s_xor_b32 s13, exec_lo, s72
; %bb.7449:                             ;   in Loop: Header=BB4_7105 Depth=3
	v_or_b32_e32 v101, 0x7f, v5
                                        ; implicit-def: $vgpr4
; %bb.7450:                             ;   in Loop: Header=BB4_7105 Depth=3
	s_and_not1_saveexec_b32 s72, s13
; %bb.7451:                             ;   in Loop: Header=BB4_7105 Depth=3
	v_cmp_lt_i32_e64 s13, -1, v4
	s_delay_alu instid0(VALU_DEP_1)
	v_cndmask_b32_e64 v101, 0xfc, v113, s13
; %bb.7452:                             ;   in Loop: Header=BB4_7105 Depth=3
	s_or_b32 exec_lo, exec_lo, s72
.LBB4_7453:                             ;   in Loop: Header=BB4_7105 Depth=3
	s_delay_alu instid0(SALU_CYCLE_1) | instskip(SKIP_2) | instid1(VALU_DEP_1)
	s_or_b32 exec_lo, exec_lo, s14
	v_dual_lshrrev_b32 v2, 16, v14 :: v_dual_mov_b32 v4, 0
	s_mov_b32 s14, exec_lo
	v_and_b32_e32 v5, 0xff, v2
	s_delay_alu instid0(VALU_DEP_1)
	v_cmpx_ne_u16_e32 0, v5
	s_cbranch_execz .LBB4_7463
; %bb.7454:                             ;   in Loop: Header=BB4_7105 Depth=3
	v_bfrev_b32_e32 v4, 1
	s_mov_b32 s72, exec_lo
	v_cmpx_ne_u16_e32 0x80, v5
	s_cbranch_execz .LBB4_7462
; %bb.7455:                             ;   in Loop: Header=BB4_7105 Depth=3
	v_and_b32_e32 v4, 0x7c0000, v14
	v_bfe_u32 v5, v14, 16, 2
	s_delay_alu instid0(VALU_DEP_2) | instskip(SKIP_1) | instid1(SALU_CYCLE_1)
	v_cmp_ne_u32_e64 s13, 0x7c0000, v4
                                        ; implicit-def: $vgpr4
	s_and_saveexec_b32 s73, s13
	s_xor_b32 s73, exec_lo, s73
	s_cbranch_execz .LBB4_7459
; %bb.7456:                             ;   in Loop: Header=BB4_7105 Depth=3
	v_bfe_u32 v4, v14, 18, 5
	s_mov_b32 s74, exec_lo
	s_delay_alu instid0(VALU_DEP_1)
	v_cmpx_eq_u32_e32 0, v4
; %bb.7457:                             ;   in Loop: Header=BB4_7105 Depth=3
	v_clz_i32_u32_e32 v4, v5
	s_delay_alu instid0(VALU_DEP_1) | instskip(NEXT) | instid1(VALU_DEP_1)
	v_min_u32_e32 v4, 32, v4
	v_subrev_nc_u32_e32 v5, 29, v4
	v_sub_nc_u32_e32 v4, 30, v4
	s_delay_alu instid0(VALU_DEP_2) | instskip(NEXT) | instid1(VALU_DEP_1)
	v_lshlrev_b64_e32 v[8:9], v5, v[2:3]
	v_and_b32_e32 v5, 3, v8
; %bb.7458:                             ;   in Loop: Header=BB4_7105 Depth=3
	s_or_b32 exec_lo, exec_lo, s74
	v_lshlrev_b32_e32 v2, 24, v2
	s_delay_alu instid0(VALU_DEP_1) | instskip(NEXT) | instid1(VALU_DEP_1)
	v_and_b32_e32 v2, 0x80000000, v2
	v_lshl_add_u32 v2, v4, 23, v2
	s_delay_alu instid0(VALU_DEP_1) | instskip(NEXT) | instid1(VALU_DEP_1)
	v_lshl_or_b32 v2, v5, 21, v2
                                        ; implicit-def: $vgpr5
	v_add_nc_u32_e32 v4, 0x38000000, v2
                                        ; implicit-def: $vgpr2
.LBB4_7459:                             ;   in Loop: Header=BB4_7105 Depth=3
	s_and_not1_saveexec_b32 s73, s73
; %bb.7460:                             ;   in Loop: Header=BB4_7105 Depth=3
	v_bfe_i32 v2, v2, 0, 8
	s_delay_alu instid0(VALU_DEP_1) | instskip(NEXT) | instid1(VALU_DEP_1)
	v_cmp_lt_i16_e64 s13, -1, v2
	v_cndmask_b32_e64 v2, 0xff800000, v112, s13
	v_cmp_eq_u32_e64 s13, 0, v5
	s_delay_alu instid0(VALU_DEP_1)
	v_cndmask_b32_e64 v4, 0x7f800001, v2, s13
; %bb.7461:                             ;   in Loop: Header=BB4_7105 Depth=3
	s_or_b32 exec_lo, exec_lo, s73
.LBB4_7462:                             ;   in Loop: Header=BB4_7105 Depth=3
	s_delay_alu instid0(SALU_CYCLE_1)
	s_or_b32 exec_lo, exec_lo, s72
.LBB4_7463:                             ;   in Loop: Header=BB4_7105 Depth=3
	s_delay_alu instid0(SALU_CYCLE_1) | instskip(SKIP_3) | instid1(VALU_DEP_1)
	s_or_b32 exec_lo, exec_lo, s14
	v_lshrrev_b32_e32 v2, 16, v10
	s_mov_b32 s72, 0
	s_mov_b32 s14, exec_lo
	v_and_b32_e32 v8, 0xff, v2
	s_delay_alu instid0(VALU_DEP_1)
	v_cmpx_lt_i16_e32 0x7f, v8
	s_xor_b32 s14, exec_lo, s14
	s_cbranch_execz .LBB4_7672
; %bb.7464:                             ;   in Loop: Header=BB4_7105 Depth=3
	s_mov_b32 s72, -1
	s_mov_b32 s73, exec_lo
	v_cmpx_eq_u16_e32 0x80, v8
; %bb.7465:                             ;   in Loop: Header=BB4_7105 Depth=3
	s_xor_b32 s72, exec_lo, -1
; %bb.7466:                             ;   in Loop: Header=BB4_7105 Depth=3
	s_or_b32 exec_lo, exec_lo, s73
	s_delay_alu instid0(SALU_CYCLE_1)
	s_and_b32 s72, s72, exec_lo
                                        ; implicit-def: $vgpr8
	s_or_saveexec_b32 s14, s14
	v_bfrev_b32_e32 v5, 1
	s_xor_b32 exec_lo, exec_lo, s14
	s_cbranch_execnz .LBB4_7673
.LBB4_7467:                             ;   in Loop: Header=BB4_7105 Depth=3
	s_or_b32 exec_lo, exec_lo, s14
	s_and_saveexec_b32 s14, s72
	s_cbranch_execz .LBB4_7469
.LBB4_7468:                             ;   in Loop: Header=BB4_7105 Depth=3
	v_and_b32_e32 v5, 3, v2
	v_bfe_u32 v13, v10, 18, 5
	s_delay_alu instid0(VALU_DEP_2) | instskip(NEXT) | instid1(VALU_DEP_2)
	v_clz_i32_u32_e32 v8, v5
	v_cmp_eq_u32_e64 s13, 0, v13
	s_delay_alu instid0(VALU_DEP_2) | instskip(NEXT) | instid1(VALU_DEP_1)
	v_min_u32_e32 v12, 32, v8
	v_subrev_nc_u32_e32 v8, 29, v12
	v_sub_nc_u32_e32 v12, 30, v12
	s_delay_alu instid0(VALU_DEP_2) | instskip(NEXT) | instid1(VALU_DEP_2)
	v_lshlrev_b64_e32 v[8:9], v8, v[2:3]
	v_dual_lshlrev_b32 v9, 24, v2 :: v_dual_cndmask_b32 v12, v13, v12, s13
	v_bfe_i32 v2, v2, 0, 8
	s_delay_alu instid0(VALU_DEP_2) | instskip(NEXT) | instid1(VALU_DEP_4)
	v_and_b32_e32 v9, 0x80000000, v9
	v_and_b32_e32 v8, 3, v8
	s_delay_alu instid0(VALU_DEP_2) | instskip(NEXT) | instid1(VALU_DEP_2)
	v_lshl_add_u32 v9, v12, 23, v9
	v_cndmask_b32_e64 v8, v5, v8, s13
	v_cmp_lt_i16_e64 s13, -1, v2
	s_delay_alu instid0(VALU_DEP_2) | instskip(NEXT) | instid1(VALU_DEP_2)
	v_lshl_or_b32 v8, v8, 21, v9
	v_cndmask_b32_e64 v2, 0xff800000, v112, s13
	v_and_b32_e32 v9, 0x7c0000, v10
	v_cmp_eq_u32_e64 s13, 0, v5
	s_delay_alu instid0(VALU_DEP_4) | instskip(NEXT) | instid1(VALU_DEP_2)
	v_add_nc_u32_e32 v5, 0x38000000, v8
	v_cndmask_b32_e64 v2, 0x7f800001, v2, s13
	s_delay_alu instid0(VALU_DEP_4) | instskip(NEXT) | instid1(VALU_DEP_1)
	v_cmp_eq_u32_e64 s13, 0x7c0000, v9
	v_cndmask_b32_e64 v5, v5, v2, s13
.LBB4_7469:                             ;   in Loop: Header=BB4_7105 Depth=3
	s_or_b32 exec_lo, exec_lo, s14
	s_delay_alu instid0(VALU_DEP_1) | instskip(SKIP_1) | instid1(VALU_DEP_1)
	v_dual_mul_f32 v4, v4, v5 :: v_dual_mov_b32 v9, v3
                                        ; implicit-def: $vgpr102
	s_mov_b32 s14, exec_lo
	v_and_b32_e32 v8, 0x7f800000, v4
	v_and_b32_e32 v2, 0x7fffff, v4
	v_lshrrev_b32_e32 v5, 24, v4
	s_delay_alu instid0(VALU_DEP_3)
	v_cmpx_ne_u64_e32 0x7f800000, v[8:9]
	s_xor_b32 s72, exec_lo, s14
	s_cbranch_execz .LBB4_7483
; %bb.7470:                             ;   in Loop: Header=BB4_7105 Depth=3
	v_and_b32_e32 v8, 0x7fffffff, v4
	v_mov_b32_e32 v9, v3
	v_and_b32_e32 v12, 0x80, v5
                                        ; implicit-def: $vgpr102
	s_mov_b32 s14, exec_lo
	s_delay_alu instid0(VALU_DEP_2)
	v_cmpx_gt_u64_e32 0x47600001, v[8:9]
	s_xor_b32 s73, exec_lo, s14
	s_cbranch_execz .LBB4_7480
; %bb.7471:                             ;   in Loop: Header=BB4_7105 Depth=3
	v_mov_b32_e32 v102, 0
	s_mov_b32 s74, exec_lo
	v_cmpx_ne_u32_e32 0, v4
	s_cbranch_execz .LBB4_7479
; %bb.7472:                             ;   in Loop: Header=BB4_7105 Depth=3
	v_bfe_u32 v13, v4, 23, 8
	v_or_b32_e32 v8, 0x800000, v2
	s_mov_b32 s75, exec_lo
	s_delay_alu instid0(VALU_DEP_2) | instskip(SKIP_1) | instid1(VALU_DEP_1)
	v_dual_mov_b32 v9, v3 :: v_dual_sub_nc_u32 v4, 0x71, v13
	v_cmp_gt_u32_e64 s13, 0x72, v13
	v_cndmask_b32_e64 v4, 0, v4, s13
	v_cmp_eq_u32_e64 s13, 0, v13
	s_delay_alu instid0(VALU_DEP_1) | instskip(SKIP_1) | instid1(VALU_DEP_2)
	v_cndmask_b32_e64 v102, v4, 0x70, s13
	v_cndmask_b32_e64 v8, v8, v2, s13
	v_dual_add_nc_u32 v4, 21, v102 :: v_dual_add_nc_u32 v103, 20, v102
	s_delay_alu instid0(VALU_DEP_1) | instskip(NEXT) | instid1(VALU_DEP_2)
	v_lshlrev_b64_e64 v[4:5], v4, -1
	v_lshlrev_b64_e64 v[116:117], v103, 1
	s_delay_alu instid0(VALU_DEP_2) | instskip(NEXT) | instid1(VALU_DEP_3)
	v_bfi_b32 v45, v5, 0, 0
	v_bfi_b32 v44, v4, 0, v8
	v_lshrrev_b64 v[4:5], v102, v[8:9]
	s_delay_alu instid0(VALU_DEP_1) | instskip(NEXT) | instid1(VALU_DEP_3)
	v_mov_b64_e32 v[8:9], v[4:5]
	v_cmpx_eq_u64_e64 v[44:45], v[116:117]
; %bb.7473:                             ;   in Loop: Header=BB4_7105 Depth=3
	v_bfe_u32 v8, v4, 21, 1
	v_mov_b32_e32 v9, v3
	s_delay_alu instid0(VALU_DEP_1) | instskip(NEXT) | instid1(VALU_DEP_1)
	v_add_nc_u64_e32 v[8:9], v[4:5], v[8:9]
	v_add_nc_u64_e32 v[8:9], -1, v[8:9]
; %bb.7474:                             ;   in Loop: Header=BB4_7105 Depth=3
	s_or_b32 exec_lo, exec_lo, s75
	v_add_nc_u32_e32 v2, 0xffffff81, v13
	v_lshrrev_b32_e32 v5, 23, v4
	s_mov_b32 s14, exec_lo
	s_delay_alu instid0(VALU_DEP_2) | instskip(NEXT) | instid1(VALU_DEP_1)
	v_cndmask_b32_e64 v2, v2, 0xffffff82, s13
	v_add3_u32 v9, v102, v2, v5
	v_and_b32_e32 v2, 0x1fffff, v8
                                        ; implicit-def: $vgpr8
	s_delay_alu instid0(VALU_DEP_1) | instskip(NEXT) | instid1(VALU_DEP_1)
	v_dual_add_nc_u32 v13, 14, v9 :: v_dual_add_nc_u32 v2, v2, v4
                                        ; implicit-def: $vgpr4_vgpr5
	v_cmpx_ne_u32_e32 0, v13
	s_xor_b32 s14, exec_lo, s14
; %bb.7475:                             ;   in Loop: Header=BB4_7105 Depth=3
	s_delay_alu instid0(VALU_DEP_2) | instskip(SKIP_1) | instid1(VALU_DEP_1)
	v_cmp_lt_u64_e64 s13, 0xffffff, v[2:3]
	v_add_nc_u32_e32 v4, 15, v9
	v_cndmask_b32_e64 v8, v13, v4, s13
	v_cndmask_b32_e64 v4, 0, 1, s13
	s_delay_alu instid0(VALU_DEP_1)
	v_lshrrev_b64 v[4:5], v4, v[2:3]
; %bb.7476:                             ;   in Loop: Header=BB4_7105 Depth=3
	s_and_not1_saveexec_b32 s13, s14
; %bb.7477:                             ;   in Loop: Header=BB4_7105 Depth=3
	v_mov_b64_e32 v[4:5], v[2:3]
	v_bfe_u32 v8, v2, 23, 1
; %bb.7478:                             ;   in Loop: Header=BB4_7105 Depth=3
	s_or_b32 exec_lo, exec_lo, s13
	s_delay_alu instid0(VALU_DEP_2) | instskip(NEXT) | instid1(VALU_DEP_2)
	v_lshrrev_b64 v[4:5], 21, v[4:5]
	v_cmp_gt_i32_e64 s13, 32, v8
	v_min_i32_e32 v2, 31, v8
	v_cmp_eq_u32_e64 s14, 0, v8
	s_delay_alu instid0(VALU_DEP_2) | instskip(SKIP_1) | instid1(VALU_DEP_2)
	v_dual_cndmask_b32 v5, 0, v5, s13 :: v_dual_lshlrev_b32 v2, 2, v2
	v_cndmask_b32_e64 v4, 3, v4, s13
	v_and_b32_e32 v2, 0xfc, v2
	s_delay_alu instid0(VALU_DEP_2) | instskip(NEXT) | instid1(VALU_DEP_2)
	v_cmp_eq_u64_e64 s13, 0, v[4:5]
	v_and_or_b32 v2, v4, 3, v2
	s_and_b32 s13, s14, s13
	s_delay_alu instid0(VALU_DEP_1) | instid1(SALU_CYCLE_1)
	v_cndmask_b32_e64 v2, v2, 0, s13
	s_delay_alu instid0(VALU_DEP_1)
	v_or_b32_e32 v102, v2, v12
.LBB4_7479:                             ;   in Loop: Header=BB4_7105 Depth=3
	s_or_b32 exec_lo, exec_lo, s74
                                        ; implicit-def: $vgpr12
.LBB4_7480:                             ;   in Loop: Header=BB4_7105 Depth=3
	s_and_not1_saveexec_b32 s13, s73
; %bb.7481:                             ;   in Loop: Header=BB4_7105 Depth=3
	v_or_b32_e32 v102, 0x7b, v12
; %bb.7482:                             ;   in Loop: Header=BB4_7105 Depth=3
	s_or_b32 exec_lo, exec_lo, s13
                                        ; implicit-def: $vgpr4
                                        ; implicit-def: $vgpr5
.LBB4_7483:                             ;   in Loop: Header=BB4_7105 Depth=3
	s_and_not1_saveexec_b32 s14, s72
	s_cbranch_execz .LBB4_7489
; %bb.7484:                             ;   in Loop: Header=BB4_7105 Depth=3
	v_cmp_ne_u64_e64 s13, 0, v[2:3]
                                        ; implicit-def: $vgpr102
	s_and_saveexec_b32 s72, s13
	s_delay_alu instid0(SALU_CYCLE_1)
	s_xor_b32 s13, exec_lo, s72
; %bb.7485:                             ;   in Loop: Header=BB4_7105 Depth=3
	v_or_b32_e32 v102, 0x7f, v5
                                        ; implicit-def: $vgpr4
; %bb.7486:                             ;   in Loop: Header=BB4_7105 Depth=3
	s_and_not1_saveexec_b32 s72, s13
; %bb.7487:                             ;   in Loop: Header=BB4_7105 Depth=3
	v_cmp_lt_i32_e64 s13, -1, v4
	s_delay_alu instid0(VALU_DEP_1)
	v_cndmask_b32_e64 v102, 0xfc, v113, s13
; %bb.7488:                             ;   in Loop: Header=BB4_7105 Depth=3
	s_or_b32 exec_lo, exec_lo, s72
.LBB4_7489:                             ;   in Loop: Header=BB4_7105 Depth=3
	s_delay_alu instid0(SALU_CYCLE_1)
	s_or_b32 exec_lo, exec_lo, s14
	v_mov_b32_e32 v4, 0
	s_mov_b32 s14, exec_lo
	v_cmpx_lt_u32_e32 0xffffff, v14
	s_cbranch_execz .LBB4_7499
; %bb.7490:                             ;   in Loop: Header=BB4_7105 Depth=3
	v_lshrrev_b32_e32 v2, 24, v14
	v_bfrev_b32_e32 v4, 1
	s_mov_b32 s72, exec_lo
	s_delay_alu instid0(VALU_DEP_2)
	v_cmpx_ne_u32_e32 0x80, v2
	s_cbranch_execz .LBB4_7498
; %bb.7491:                             ;   in Loop: Header=BB4_7105 Depth=3
	v_and_b32_e32 v4, 0x7c000000, v14
	v_bfe_u32 v5, v14, 24, 2
	s_delay_alu instid0(VALU_DEP_2) | instskip(SKIP_1) | instid1(SALU_CYCLE_1)
	v_cmp_ne_u32_e64 s13, 0x7c000000, v4
                                        ; implicit-def: $vgpr4
	s_and_saveexec_b32 s73, s13
	s_xor_b32 s73, exec_lo, s73
	s_cbranch_execz .LBB4_7495
; %bb.7492:                             ;   in Loop: Header=BB4_7105 Depth=3
	v_bfe_u32 v4, v14, 26, 5
	s_mov_b32 s74, exec_lo
	s_delay_alu instid0(VALU_DEP_1)
	v_cmpx_eq_u32_e32 0, v4
; %bb.7493:                             ;   in Loop: Header=BB4_7105 Depth=3
	v_clz_i32_u32_e32 v4, v5
	s_delay_alu instid0(VALU_DEP_1) | instskip(NEXT) | instid1(VALU_DEP_1)
	v_min_u32_e32 v4, 32, v4
	v_subrev_nc_u32_e32 v5, 29, v4
	v_sub_nc_u32_e32 v4, 30, v4
	s_delay_alu instid0(VALU_DEP_2) | instskip(NEXT) | instid1(VALU_DEP_1)
	v_lshlrev_b64_e32 v[8:9], v5, v[2:3]
	v_and_b32_e32 v5, 3, v8
; %bb.7494:                             ;   in Loop: Header=BB4_7105 Depth=3
	s_or_b32 exec_lo, exec_lo, s74
	v_and_b32_e32 v2, 0x80000000, v14
	s_delay_alu instid0(VALU_DEP_1) | instskip(NEXT) | instid1(VALU_DEP_1)
	v_lshl_add_u32 v2, v4, 23, v2
	v_lshl_or_b32 v2, v5, 21, v2
                                        ; implicit-def: $vgpr5
	s_delay_alu instid0(VALU_DEP_1)
	v_add_nc_u32_e32 v4, 0x38000000, v2
.LBB4_7495:                             ;   in Loop: Header=BB4_7105 Depth=3
	s_and_not1_saveexec_b32 s73, s73
; %bb.7496:                             ;   in Loop: Header=BB4_7105 Depth=3
	v_cmp_lt_i32_e64 s13, -1, v14
	s_delay_alu instid0(VALU_DEP_1) | instskip(SKIP_1) | instid1(VALU_DEP_1)
	v_cndmask_b32_e64 v2, 0xff800000, v112, s13
	v_cmp_eq_u32_e64 s13, 0, v5
	v_cndmask_b32_e64 v4, 0x7f800001, v2, s13
; %bb.7497:                             ;   in Loop: Header=BB4_7105 Depth=3
	s_or_b32 exec_lo, exec_lo, s73
.LBB4_7498:                             ;   in Loop: Header=BB4_7105 Depth=3
	s_delay_alu instid0(SALU_CYCLE_1)
	s_or_b32 exec_lo, exec_lo, s72
.LBB4_7499:                             ;   in Loop: Header=BB4_7105 Depth=3
	s_delay_alu instid0(SALU_CYCLE_1) | instskip(SKIP_3) | instid1(VALU_DEP_2)
	s_or_b32 exec_lo, exec_lo, s14
	v_bfe_u32 v5, v10, 24, 2
	v_bfe_u32 v13, v10, 26, 5
                                        ; implicit-def: $vgpr103
	s_mov_b32 s14, exec_lo
	v_clz_i32_u32_e32 v2, v5
	s_delay_alu instid0(VALU_DEP_2) | instskip(NEXT) | instid1(VALU_DEP_2)
	v_cmp_eq_u32_e64 s13, 0, v13
	v_min_u32_e32 v12, 32, v2
	v_lshrrev_b32_e32 v2, 24, v10
	s_delay_alu instid0(VALU_DEP_2) | instskip(NEXT) | instid1(VALU_DEP_1)
	v_subrev_nc_u32_e32 v8, 29, v12
	v_lshlrev_b64_e32 v[8:9], v8, v[2:3]
	v_sub_nc_u32_e32 v9, 30, v12
	v_and_b32_e32 v12, 0x80000000, v10
	s_delay_alu instid0(VALU_DEP_2) | instskip(NEXT) | instid1(VALU_DEP_1)
	v_dual_cndmask_b32 v9, v13, v9, s13 :: v_dual_bitop2_b32 v8, 3, v8 bitop3:0x40
	v_lshl_add_u32 v9, v9, 23, v12
	s_delay_alu instid0(VALU_DEP_2) | instskip(SKIP_1) | instid1(VALU_DEP_2)
	v_cndmask_b32_e64 v8, v5, v8, s13
	v_cmp_lt_i32_e64 s13, -1, v10
	v_lshl_or_b32 v8, v8, 21, v9
	s_delay_alu instid0(VALU_DEP_2) | instskip(SKIP_2) | instid1(VALU_DEP_4)
	v_cndmask_b32_e64 v12, 0xff800000, v112, s13
	v_and_b32_e32 v9, 0x7c000000, v10
	v_cmp_eq_u32_e64 s13, 0, v5
	v_add_nc_u32_e32 v8, 0x38000000, v8
	s_delay_alu instid0(VALU_DEP_2) | instskip(NEXT) | instid1(VALU_DEP_4)
	v_cndmask_b32_e64 v5, 0x7f800001, v12, s13
	v_cmp_eq_u32_e64 s13, 0x7c000000, v9
	s_delay_alu instid0(VALU_DEP_1) | instskip(SKIP_1) | instid1(VALU_DEP_1)
	v_dual_mov_b32 v9, v3 :: v_dual_cndmask_b32 v5, v8, v5, s13
	v_cmp_ne_u32_e64 s13, 0x80, v2
	v_cndmask_b32_e64 v2, 0x80000000, v5, s13
	v_cmp_lt_u32_e64 s13, 0xffffff, v10
	s_delay_alu instid0(VALU_DEP_1) | instskip(NEXT) | instid1(VALU_DEP_1)
	v_cndmask_b32_e64 v2, 0, v2, s13
	v_mul_f32_e32 v4, v2, v4
	s_delay_alu instid0(VALU_DEP_1) | instskip(SKIP_2) | instid1(VALU_DEP_3)
	v_and_b32_e32 v8, 0x7f800000, v4
	v_and_b32_e32 v2, 0x7fffff, v4
	v_lshrrev_b32_e32 v5, 24, v4
	v_cmpx_ne_u64_e32 0x7f800000, v[8:9]
	s_xor_b32 s72, exec_lo, s14
	s_cbranch_execz .LBB4_7513
; %bb.7500:                             ;   in Loop: Header=BB4_7105 Depth=3
	v_and_b32_e32 v8, 0x7fffffff, v4
	v_mov_b32_e32 v9, v3
	v_and_b32_e32 v12, 0x80, v5
                                        ; implicit-def: $vgpr103
	s_mov_b32 s14, exec_lo
	s_delay_alu instid0(VALU_DEP_2)
	v_cmpx_gt_u64_e32 0x47600001, v[8:9]
	s_xor_b32 s73, exec_lo, s14
	s_cbranch_execz .LBB4_7510
; %bb.7501:                             ;   in Loop: Header=BB4_7105 Depth=3
	v_mov_b32_e32 v103, 0
	s_mov_b32 s74, exec_lo
	v_cmpx_ne_u32_e32 0, v4
	s_cbranch_execz .LBB4_7509
; %bb.7502:                             ;   in Loop: Header=BB4_7105 Depth=3
	v_bfe_u32 v13, v4, 23, 8
	v_or_b32_e32 v8, 0x800000, v2
	s_mov_b32 s75, exec_lo
	s_delay_alu instid0(VALU_DEP_2) | instskip(SKIP_1) | instid1(VALU_DEP_1)
	v_dual_mov_b32 v9, v3 :: v_dual_sub_nc_u32 v4, 0x71, v13
	v_cmp_gt_u32_e64 s13, 0x72, v13
	v_cndmask_b32_e64 v4, 0, v4, s13
	v_cmp_eq_u32_e64 s13, 0, v13
	s_delay_alu instid0(VALU_DEP_1) | instskip(NEXT) | instid1(VALU_DEP_1)
	v_cndmask_b32_e64 v103, v4, 0x70, s13
	v_dual_cndmask_b32 v8, v8, v2, s13 :: v_dual_add_nc_u32 v4, 21, v103
	v_add_nc_u32_e32 v116, 20, v103
	s_delay_alu instid0(VALU_DEP_2) | instskip(NEXT) | instid1(VALU_DEP_2)
	v_lshlrev_b64_e64 v[4:5], v4, -1
	v_lshlrev_b64_e64 v[116:117], v116, 1
	s_delay_alu instid0(VALU_DEP_2) | instskip(NEXT) | instid1(VALU_DEP_3)
	v_bfi_b32 v45, v5, 0, 0
	v_bfi_b32 v44, v4, 0, v8
	v_lshrrev_b64 v[4:5], v103, v[8:9]
	s_delay_alu instid0(VALU_DEP_1) | instskip(NEXT) | instid1(VALU_DEP_3)
	v_mov_b64_e32 v[8:9], v[4:5]
	v_cmpx_eq_u64_e64 v[44:45], v[116:117]
; %bb.7503:                             ;   in Loop: Header=BB4_7105 Depth=3
	v_bfe_u32 v8, v4, 21, 1
	v_mov_b32_e32 v9, v3
	s_delay_alu instid0(VALU_DEP_1) | instskip(NEXT) | instid1(VALU_DEP_1)
	v_add_nc_u64_e32 v[8:9], v[4:5], v[8:9]
	v_add_nc_u64_e32 v[8:9], -1, v[8:9]
; %bb.7504:                             ;   in Loop: Header=BB4_7105 Depth=3
	s_or_b32 exec_lo, exec_lo, s75
	v_add_nc_u32_e32 v2, 0xffffff81, v13
	v_lshrrev_b32_e32 v5, 23, v4
	s_mov_b32 s14, exec_lo
	s_delay_alu instid0(VALU_DEP_2) | instskip(NEXT) | instid1(VALU_DEP_1)
	v_cndmask_b32_e64 v2, v2, 0xffffff82, s13
	v_add3_u32 v9, v103, v2, v5
	v_and_b32_e32 v2, 0x1fffff, v8
                                        ; implicit-def: $vgpr8
	s_delay_alu instid0(VALU_DEP_1) | instskip(NEXT) | instid1(VALU_DEP_1)
	v_dual_add_nc_u32 v13, 14, v9 :: v_dual_add_nc_u32 v2, v2, v4
                                        ; implicit-def: $vgpr4_vgpr5
	v_cmpx_ne_u32_e32 0, v13
	s_xor_b32 s14, exec_lo, s14
; %bb.7505:                             ;   in Loop: Header=BB4_7105 Depth=3
	s_delay_alu instid0(VALU_DEP_2) | instskip(SKIP_1) | instid1(VALU_DEP_1)
	v_cmp_lt_u64_e64 s13, 0xffffff, v[2:3]
	v_add_nc_u32_e32 v4, 15, v9
	v_cndmask_b32_e64 v8, v13, v4, s13
	v_cndmask_b32_e64 v4, 0, 1, s13
	s_delay_alu instid0(VALU_DEP_1)
	v_lshrrev_b64 v[4:5], v4, v[2:3]
; %bb.7506:                             ;   in Loop: Header=BB4_7105 Depth=3
	s_and_not1_saveexec_b32 s13, s14
; %bb.7507:                             ;   in Loop: Header=BB4_7105 Depth=3
	v_mov_b64_e32 v[4:5], v[2:3]
	v_bfe_u32 v8, v2, 23, 1
; %bb.7508:                             ;   in Loop: Header=BB4_7105 Depth=3
	s_or_b32 exec_lo, exec_lo, s13
	s_delay_alu instid0(VALU_DEP_2) | instskip(NEXT) | instid1(VALU_DEP_2)
	v_lshrrev_b64 v[4:5], 21, v[4:5]
	v_cmp_gt_i32_e64 s13, 32, v8
	v_min_i32_e32 v2, 31, v8
	v_cmp_eq_u32_e64 s14, 0, v8
	s_delay_alu instid0(VALU_DEP_2) | instskip(SKIP_1) | instid1(VALU_DEP_2)
	v_dual_cndmask_b32 v5, 0, v5, s13 :: v_dual_lshlrev_b32 v2, 2, v2
	v_cndmask_b32_e64 v4, 3, v4, s13
	v_and_b32_e32 v2, 0xfc, v2
	s_delay_alu instid0(VALU_DEP_2) | instskip(NEXT) | instid1(VALU_DEP_2)
	v_cmp_eq_u64_e64 s13, 0, v[4:5]
	v_and_or_b32 v2, v4, 3, v2
	s_and_b32 s13, s14, s13
	s_delay_alu instid0(VALU_DEP_1) | instid1(SALU_CYCLE_1)
	v_cndmask_b32_e64 v2, v2, 0, s13
	s_delay_alu instid0(VALU_DEP_1)
	v_or_b32_e32 v103, v2, v12
.LBB4_7509:                             ;   in Loop: Header=BB4_7105 Depth=3
	s_or_b32 exec_lo, exec_lo, s74
                                        ; implicit-def: $vgpr12
.LBB4_7510:                             ;   in Loop: Header=BB4_7105 Depth=3
	s_and_not1_saveexec_b32 s13, s73
; %bb.7511:                             ;   in Loop: Header=BB4_7105 Depth=3
	v_or_b32_e32 v103, 0x7b, v12
; %bb.7512:                             ;   in Loop: Header=BB4_7105 Depth=3
	s_or_b32 exec_lo, exec_lo, s13
                                        ; implicit-def: $vgpr4
                                        ; implicit-def: $vgpr5
.LBB4_7513:                             ;   in Loop: Header=BB4_7105 Depth=3
	s_and_not1_saveexec_b32 s14, s72
	s_cbranch_execz .LBB4_7519
; %bb.7514:                             ;   in Loop: Header=BB4_7105 Depth=3
	v_cmp_ne_u64_e64 s13, 0, v[2:3]
                                        ; implicit-def: $vgpr103
	s_and_saveexec_b32 s72, s13
	s_delay_alu instid0(SALU_CYCLE_1)
	s_xor_b32 s13, exec_lo, s72
; %bb.7515:                             ;   in Loop: Header=BB4_7105 Depth=3
	v_or_b32_e32 v103, 0x7f, v5
                                        ; implicit-def: $vgpr4
; %bb.7516:                             ;   in Loop: Header=BB4_7105 Depth=3
	s_and_not1_saveexec_b32 s72, s13
; %bb.7517:                             ;   in Loop: Header=BB4_7105 Depth=3
	v_cmp_lt_i32_e64 s13, -1, v4
	s_delay_alu instid0(VALU_DEP_1)
	v_cndmask_b32_e64 v103, 0xfc, v113, s13
; %bb.7518:                             ;   in Loop: Header=BB4_7105 Depth=3
	s_or_b32 exec_lo, exec_lo, s72
.LBB4_7519:                             ;   in Loop: Header=BB4_7105 Depth=3
	s_delay_alu instid0(SALU_CYCLE_1) | instskip(SKIP_3) | instid1(VALU_DEP_2)
	s_or_b32 exec_lo, exec_lo, s14
	v_and_b32_e32 v4, 0xff, v15
	v_dual_mov_b32 v2, v15 :: v_dual_mov_b32 v8, 0
	s_mov_b32 s14, exec_lo
	v_cmpx_ne_u16_e32 0, v4
	s_cbranch_execz .LBB4_7529
; %bb.7520:                             ;   in Loop: Header=BB4_7105 Depth=3
	v_bfrev_b32_e32 v8, 1
	s_mov_b32 s72, exec_lo
	v_cmpx_ne_u16_e32 0x80, v4
	s_cbranch_execz .LBB4_7528
; %bb.7521:                             ;   in Loop: Header=BB4_7105 Depth=3
	v_and_b32_e32 v5, 0x7c, v15
	v_and_b32_e32 v4, 3, v15
	s_mov_b32 s73, exec_lo
                                        ; implicit-def: $vgpr8
	s_delay_alu instid0(VALU_DEP_2)
	v_cmpx_ne_u32_e32 0x7c, v5
	s_xor_b32 s73, exec_lo, s73
	s_cbranch_execz .LBB4_7525
; %bb.7522:                             ;   in Loop: Header=BB4_7105 Depth=3
	v_bfe_u32 v5, v15, 2, 5
	s_mov_b32 s74, exec_lo
	s_delay_alu instid0(VALU_DEP_1)
	v_cmpx_eq_u32_e32 0, v5
; %bb.7523:                             ;   in Loop: Header=BB4_7105 Depth=3
	v_clz_i32_u32_e32 v4, v4
	s_delay_alu instid0(VALU_DEP_1) | instskip(NEXT) | instid1(VALU_DEP_1)
	v_min_u32_e32 v8, 32, v4
	v_subrev_nc_u32_e32 v4, 29, v8
	s_delay_alu instid0(VALU_DEP_1) | instskip(SKIP_1) | instid1(VALU_DEP_2)
	v_lshlrev_b64_e32 v[4:5], v4, v[2:3]
	v_sub_nc_u32_e32 v5, 30, v8
	v_and_b32_e32 v4, 3, v4
; %bb.7524:                             ;   in Loop: Header=BB4_7105 Depth=3
	s_or_b32 exec_lo, exec_lo, s74
	v_lshlrev_b32_e32 v8, 24, v15
	s_delay_alu instid0(VALU_DEP_1) | instskip(NEXT) | instid1(VALU_DEP_1)
	v_and_b32_e32 v8, 0x80000000, v8
	v_lshl_add_u32 v5, v5, 23, v8
	s_delay_alu instid0(VALU_DEP_1) | instskip(NEXT) | instid1(VALU_DEP_1)
	v_lshl_or_b32 v4, v4, 21, v5
	v_add_nc_u32_e32 v8, 0x38000000, v4
                                        ; implicit-def: $vgpr4
.LBB4_7525:                             ;   in Loop: Header=BB4_7105 Depth=3
	s_and_not1_saveexec_b32 s73, s73
; %bb.7526:                             ;   in Loop: Header=BB4_7105 Depth=3
	v_bfe_i32 v5, v15, 0, 8
	s_delay_alu instid0(VALU_DEP_1) | instskip(NEXT) | instid1(VALU_DEP_1)
	v_cmp_lt_i16_e64 s13, -1, v5
	v_cndmask_b32_e64 v5, 0xff800000, v112, s13
	v_cmp_eq_u32_e64 s13, 0, v4
	s_delay_alu instid0(VALU_DEP_1)
	v_cndmask_b32_e64 v8, 0x7f800001, v5, s13
; %bb.7527:                             ;   in Loop: Header=BB4_7105 Depth=3
	s_or_b32 exec_lo, exec_lo, s73
.LBB4_7528:                             ;   in Loop: Header=BB4_7105 Depth=3
	s_delay_alu instid0(SALU_CYCLE_1)
	s_or_b32 exec_lo, exec_lo, s72
.LBB4_7529:                             ;   in Loop: Header=BB4_7105 Depth=3
	s_delay_alu instid0(SALU_CYCLE_1) | instskip(SKIP_4) | instid1(VALU_DEP_2)
	s_or_b32 exec_lo, exec_lo, s14
	v_and_b32_e32 v5, 0xff, v11
	v_mov_b32_e32 v4, v11
	s_mov_b32 s72, 0
	s_mov_b32 s14, exec_lo
	v_cmpx_lt_i16_e32 0x7f, v5
	s_xor_b32 s14, exec_lo, s14
	s_cbranch_execz .LBB4_7674
; %bb.7530:                             ;   in Loop: Header=BB4_7105 Depth=3
	s_mov_b32 s72, -1
	s_mov_b32 s73, exec_lo
	v_cmpx_eq_u16_e32 0x80, v5
; %bb.7531:                             ;   in Loop: Header=BB4_7105 Depth=3
	s_xor_b32 s72, exec_lo, -1
; %bb.7532:                             ;   in Loop: Header=BB4_7105 Depth=3
	s_or_b32 exec_lo, exec_lo, s73
	s_delay_alu instid0(SALU_CYCLE_1)
	s_and_b32 s72, s72, exec_lo
                                        ; implicit-def: $vgpr5
	s_or_saveexec_b32 s14, s14
	v_bfrev_b32_e32 v9, 1
	s_xor_b32 exec_lo, exec_lo, s14
	s_cbranch_execnz .LBB4_7675
.LBB4_7533:                             ;   in Loop: Header=BB4_7105 Depth=3
	s_or_b32 exec_lo, exec_lo, s14
	v_mov_b32_e32 v5, v3
	s_and_saveexec_b32 s14, s72
	s_cbranch_execz .LBB4_7535
.LBB4_7534:                             ;   in Loop: Header=BB4_7105 Depth=3
	v_and_b32_e32 v9, 3, v11
	s_delay_alu instid0(VALU_DEP_1) | instskip(NEXT) | instid1(VALU_DEP_1)
	v_clz_i32_u32_e32 v12, v9
	v_min_u32_e32 v116, 32, v12
	s_delay_alu instid0(VALU_DEP_1) | instskip(SKIP_1) | instid1(VALU_DEP_2)
	v_subrev_nc_u32_e32 v12, 29, v116
	v_sub_nc_u32_e32 v116, 30, v116
	v_lshlrev_b64_e32 v[12:13], v12, v[4:5]
	v_bfe_u32 v13, v11, 2, 5
	v_lshlrev_b32_e32 v5, 24, v11
	s_delay_alu instid0(VALU_DEP_2) | instskip(NEXT) | instid1(VALU_DEP_2)
	v_cmp_eq_u32_e64 s13, 0, v13
	v_and_b32_e32 v5, 0x80000000, v5
	v_and_b32_e32 v12, 3, v12
	s_delay_alu instid0(VALU_DEP_3) | instskip(SKIP_1) | instid1(VALU_DEP_3)
	v_cndmask_b32_e64 v13, v13, v116, s13
	v_bfe_i32 v116, v11, 0, 8
	v_cndmask_b32_e64 v12, v9, v12, s13
	s_delay_alu instid0(VALU_DEP_3) | instskip(NEXT) | instid1(VALU_DEP_3)
	v_lshl_add_u32 v5, v13, 23, v5
	v_cmp_lt_i16_e64 s13, -1, v116
	s_delay_alu instid0(VALU_DEP_2) | instskip(NEXT) | instid1(VALU_DEP_2)
	v_lshl_or_b32 v5, v12, 21, v5
	v_cndmask_b32_e64 v13, 0xff800000, v112, s13
	v_and_b32_e32 v12, 0x7c, v11
	v_cmp_eq_u32_e64 s13, 0, v9
	s_delay_alu instid0(VALU_DEP_4) | instskip(NEXT) | instid1(VALU_DEP_2)
	v_add_nc_u32_e32 v5, 0x38000000, v5
	v_cndmask_b32_e64 v9, 0x7f800001, v13, s13
	s_delay_alu instid0(VALU_DEP_4) | instskip(NEXT) | instid1(VALU_DEP_1)
	v_cmp_eq_u32_e64 s13, 0x7c, v12
	v_cndmask_b32_e64 v9, v5, v9, s13
.LBB4_7535:                             ;   in Loop: Header=BB4_7105 Depth=3
	s_or_b32 exec_lo, exec_lo, s14
	s_delay_alu instid0(VALU_DEP_1) | instskip(SKIP_2) | instid1(VALU_DEP_2)
	v_dual_mul_f32 v13, v8, v9 :: v_dual_mov_b32 v117, v3
	v_mov_b32_e32 v9, v3
                                        ; implicit-def: $vgpr12
	s_mov_b32 s14, exec_lo
	v_and_b32_e32 v116, 0x7f800000, v13
	v_and_b32_e32 v8, 0x7fffff, v13
	v_lshrrev_b32_e32 v5, 24, v13
	s_delay_alu instid0(VALU_DEP_3)
	v_cmpx_ne_u64_e32 0x7f800000, v[116:117]
	s_xor_b32 s72, exec_lo, s14
	s_cbranch_execz .LBB4_7549
; %bb.7536:                             ;   in Loop: Header=BB4_7105 Depth=3
	v_and_b32_e32 v116, 0x7fffffff, v13
	v_mov_b32_e32 v117, v3
	v_and_b32_e32 v5, 0x80, v5
                                        ; implicit-def: $vgpr12
	s_mov_b32 s14, exec_lo
	s_delay_alu instid0(VALU_DEP_2)
	v_cmpx_gt_u64_e32 0x47600001, v[116:117]
	s_xor_b32 s73, exec_lo, s14
	s_cbranch_execz .LBB4_7546
; %bb.7537:                             ;   in Loop: Header=BB4_7105 Depth=3
	v_mov_b32_e32 v12, 0
	s_mov_b32 s74, exec_lo
	v_cmpx_ne_u32_e32 0, v13
	s_cbranch_execz .LBB4_7545
; %bb.7538:                             ;   in Loop: Header=BB4_7105 Depth=3
	v_bfe_u32 v116, v13, 23, 8
	v_or_b32_e32 v41, 0x800000, v8
	s_delay_alu instid0(VALU_DEP_2) | instskip(SKIP_1) | instid1(VALU_DEP_1)
	v_sub_nc_u32_e32 v12, 0x71, v116
	v_cmp_gt_u32_e64 s13, 0x72, v116
	v_cndmask_b32_e64 v12, 0, v12, s13
	v_cmp_eq_u32_e64 s13, 0, v116
	s_delay_alu instid0(VALU_DEP_1) | instskip(NEXT) | instid1(VALU_DEP_1)
	v_cndmask_b32_e64 v117, v12, 0x70, s13
	v_dual_cndmask_b32 v8, v41, v8, s13 :: v_dual_add_nc_u32 v12, 21, v117
	v_add_nc_u32_e32 v43, 20, v117
	s_delay_alu instid0(VALU_DEP_2) | instskip(NEXT) | instid1(VALU_DEP_2)
	v_lshlrev_b64_e64 v[12:13], v12, -1
	v_lshlrev_b64_e64 v[44:45], v43, 1
	s_delay_alu instid0(VALU_DEP_2) | instskip(SKIP_1) | instid1(VALU_DEP_4)
	v_bfi_b32 v12, v12, 0, v8
	v_lshrrev_b64 v[8:9], v117, v[8:9]
	v_bfi_b32 v13, v13, 0, 0
	s_delay_alu instid0(VALU_DEP_1) | instskip(NEXT) | instid1(VALU_DEP_3)
	v_cmp_eq_u64_e64 s14, v[12:13], v[44:45]
	v_mov_b64_e32 v[12:13], v[8:9]
	s_and_saveexec_b32 s75, s14
; %bb.7539:                             ;   in Loop: Header=BB4_7105 Depth=3
	v_bfe_u32 v12, v8, 21, 1
	v_mov_b32_e32 v13, v3
	s_delay_alu instid0(VALU_DEP_1) | instskip(NEXT) | instid1(VALU_DEP_1)
	v_add_nc_u64_e32 v[12:13], v[8:9], v[12:13]
	v_add_nc_u64_e32 v[12:13], -1, v[12:13]
; %bb.7540:                             ;   in Loop: Header=BB4_7105 Depth=3
	s_or_b32 exec_lo, exec_lo, s75
	v_add_nc_u32_e32 v9, 0xffffff81, v116
	v_lshrrev_b32_e32 v13, 23, v8
	s_mov_b32 s14, exec_lo
	s_delay_alu instid0(VALU_DEP_2) | instskip(NEXT) | instid1(VALU_DEP_1)
	v_cndmask_b32_e64 v9, v9, 0xffffff82, s13
	v_add3_u32 v13, v117, v9, v13
	v_and_b32_e32 v9, 0x1fffff, v12
                                        ; implicit-def: $vgpr12
	s_delay_alu instid0(VALU_DEP_1) | instskip(SKIP_1) | instid1(VALU_DEP_2)
	v_dual_add_nc_u32 v116, 14, v13 :: v_dual_add_nc_u32 v8, v9, v8
	v_mov_b32_e32 v9, v3
	v_cmpx_ne_u32_e32 0, v116
	s_xor_b32 s14, exec_lo, s14
; %bb.7541:                             ;   in Loop: Header=BB4_7105 Depth=3
	s_delay_alu instid0(VALU_DEP_2) | instskip(SKIP_1) | instid1(VALU_DEP_2)
	v_cmp_lt_u64_e64 s13, 0xffffff, v[8:9]
	v_add_nc_u32_e32 v12, 15, v13
	v_cndmask_b32_e64 v13, 0, 1, s13
	s_delay_alu instid0(VALU_DEP_2) | instskip(NEXT) | instid1(VALU_DEP_2)
	v_cndmask_b32_e64 v12, v116, v12, s13
	v_lshrrev_b64 v[8:9], v13, v[8:9]
; %bb.7542:                             ;   in Loop: Header=BB4_7105 Depth=3
	s_and_not1_saveexec_b32 s13, s14
; %bb.7543:                             ;   in Loop: Header=BB4_7105 Depth=3
	s_delay_alu instid0(VALU_DEP_1)
	v_bfe_u32 v12, v8, 23, 1
; %bb.7544:                             ;   in Loop: Header=BB4_7105 Depth=3
	s_or_b32 exec_lo, exec_lo, s13
	s_delay_alu instid0(VALU_DEP_2) | instskip(NEXT) | instid1(VALU_DEP_2)
	v_lshrrev_b64 v[8:9], 21, v[8:9]
	v_cmp_gt_i32_e64 s13, 32, v12
	v_min_i32_e32 v13, 31, v12
	v_cmp_eq_u32_e64 s14, 0, v12
	s_delay_alu instid0(VALU_DEP_3) | instskip(NEXT) | instid1(VALU_DEP_3)
	v_cndmask_b32_e64 v9, 0, v9, s13
	v_dual_lshlrev_b32 v13, 2, v13 :: v_dual_cndmask_b32 v8, 3, v8, s13
	s_delay_alu instid0(VALU_DEP_1) | instskip(NEXT) | instid1(VALU_DEP_2)
	v_and_b32_e32 v13, 0xfc, v13
	v_cmp_eq_u64_e64 s13, 0, v[8:9]
	s_delay_alu instid0(VALU_DEP_2)
	v_and_or_b32 v8, v8, 3, v13
	s_and_b32 s13, s14, s13
	s_delay_alu instid0(VALU_DEP_1) | instid1(SALU_CYCLE_1)
	v_cndmask_b32_e64 v8, v8, 0, s13
	s_delay_alu instid0(VALU_DEP_1)
	v_or_b32_e32 v12, v8, v5
.LBB4_7545:                             ;   in Loop: Header=BB4_7105 Depth=3
	s_or_b32 exec_lo, exec_lo, s74
                                        ; implicit-def: $vgpr5
.LBB4_7546:                             ;   in Loop: Header=BB4_7105 Depth=3
	s_and_not1_saveexec_b32 s13, s73
; %bb.7547:                             ;   in Loop: Header=BB4_7105 Depth=3
	v_or_b32_e32 v12, 0x7b, v5
; %bb.7548:                             ;   in Loop: Header=BB4_7105 Depth=3
	s_or_b32 exec_lo, exec_lo, s13
                                        ; implicit-def: $vgpr13
                                        ; implicit-def: $vgpr8_vgpr9
                                        ; implicit-def: $vgpr5
.LBB4_7549:                             ;   in Loop: Header=BB4_7105 Depth=3
	s_and_not1_saveexec_b32 s14, s72
	s_cbranch_execz .LBB4_7555
; %bb.7550:                             ;   in Loop: Header=BB4_7105 Depth=3
	v_cmp_ne_u64_e64 s13, 0, v[8:9]
                                        ; implicit-def: $vgpr12
	s_and_saveexec_b32 s72, s13
	s_delay_alu instid0(SALU_CYCLE_1)
	s_xor_b32 s13, exec_lo, s72
; %bb.7551:                             ;   in Loop: Header=BB4_7105 Depth=3
	v_or_b32_e32 v12, 0x7f, v5
                                        ; implicit-def: $vgpr13
; %bb.7552:                             ;   in Loop: Header=BB4_7105 Depth=3
	s_and_not1_saveexec_b32 s72, s13
; %bb.7553:                             ;   in Loop: Header=BB4_7105 Depth=3
	v_cmp_lt_i32_e64 s13, -1, v13
	s_delay_alu instid0(VALU_DEP_1)
	v_cndmask_b32_e64 v12, 0xfc, v113, s13
; %bb.7554:                             ;   in Loop: Header=BB4_7105 Depth=3
	s_or_b32 exec_lo, exec_lo, s72
.LBB4_7555:                             ;   in Loop: Header=BB4_7105 Depth=3
	s_delay_alu instid0(SALU_CYCLE_1) | instskip(SKIP_3) | instid1(VALU_DEP_2)
	s_or_b32 exec_lo, exec_lo, s14
	v_lshrrev_b16 v8, 8, v2
	v_mov_b32_e32 v5, 0
	s_mov_b32 s14, exec_lo
	v_cmpx_ne_u16_e32 0, v8
	s_cbranch_execz .LBB4_7565
; %bb.7556:                             ;   in Loop: Header=BB4_7105 Depth=3
	v_bfrev_b32_e32 v5, 1
	s_mov_b32 s72, exec_lo
	v_cmpx_ne_u16_e32 0x80, v8
	s_cbranch_execz .LBB4_7564
; %bb.7557:                             ;   in Loop: Header=BB4_7105 Depth=3
	v_and_b32_e32 v13, 0xffff, v8
	s_delay_alu instid0(VALU_DEP_1) | instskip(SKIP_1) | instid1(VALU_DEP_2)
	v_and_b32_e32 v5, 0x7c, v13
	v_and_b32_e32 v9, 3, v13
	v_cmp_ne_u32_e64 s13, 0x7c, v5
                                        ; implicit-def: $vgpr5
	s_and_saveexec_b32 s73, s13
	s_delay_alu instid0(SALU_CYCLE_1)
	s_xor_b32 s73, exec_lo, s73
	s_cbranch_execz .LBB4_7561
; %bb.7558:                             ;   in Loop: Header=BB4_7105 Depth=3
	v_bfe_u32 v5, v13, 2, 5
	s_mov_b32 s74, exec_lo
	s_delay_alu instid0(VALU_DEP_1)
	v_cmpx_eq_u32_e32 0, v5
	s_cbranch_execz .LBB4_7560
; %bb.7559:                             ;   in Loop: Header=BB4_7105 Depth=3
	v_clz_i32_u32_e32 v5, v9
	s_delay_alu instid0(VALU_DEP_1) | instskip(SKIP_1) | instid1(VALU_DEP_2)
	v_min_u32_e32 v5, 32, v5
	v_mov_b32_e32 v9, v3
	v_subrev_nc_u32_e32 v13, 29, v5
	v_sub_nc_u32_e32 v5, 30, v5
	s_delay_alu instid0(VALU_DEP_2) | instskip(NEXT) | instid1(VALU_DEP_1)
	v_lshlrev_b64_e32 v[8:9], v13, v[8:9]
	v_and_b32_e32 v9, 3, v8
.LBB4_7560:                             ;   in Loop: Header=BB4_7105 Depth=3
	s_or_b32 exec_lo, exec_lo, s74
	v_lshlrev_b32_e32 v2, 16, v2
	s_delay_alu instid0(VALU_DEP_1) | instskip(NEXT) | instid1(VALU_DEP_1)
	v_and_b32_e32 v2, 0x80000000, v2
	v_lshl_add_u32 v2, v5, 23, v2
	s_delay_alu instid0(VALU_DEP_1) | instskip(NEXT) | instid1(VALU_DEP_1)
	v_lshl_or_b32 v2, v9, 21, v2
                                        ; implicit-def: $vgpr9
	v_add_nc_u32_e32 v5, 0x38000000, v2
.LBB4_7561:                             ;   in Loop: Header=BB4_7105 Depth=3
	s_and_not1_saveexec_b32 s73, s73
; %bb.7562:                             ;   in Loop: Header=BB4_7105 Depth=3
	v_cmp_lt_i16_e64 s13, -1, v2
	s_delay_alu instid0(VALU_DEP_1) | instskip(SKIP_1) | instid1(VALU_DEP_1)
	v_cndmask_b32_e64 v2, 0xff800000, v112, s13
	v_cmp_eq_u32_e64 s13, 0, v9
	v_cndmask_b32_e64 v5, 0x7f800001, v2, s13
; %bb.7563:                             ;   in Loop: Header=BB4_7105 Depth=3
	s_or_b32 exec_lo, exec_lo, s73
.LBB4_7564:                             ;   in Loop: Header=BB4_7105 Depth=3
	s_delay_alu instid0(SALU_CYCLE_1)
	s_or_b32 exec_lo, exec_lo, s72
.LBB4_7565:                             ;   in Loop: Header=BB4_7105 Depth=3
	s_delay_alu instid0(SALU_CYCLE_1) | instskip(SKIP_3) | instid1(VALU_DEP_1)
	s_or_b32 exec_lo, exec_lo, s14
	v_lshrrev_b16 v8, 8, v4
	s_mov_b32 s72, 0
	s_mov_b32 s14, exec_lo
	v_cmpx_lt_i16_e32 0x7f, v8
	s_xor_b32 s14, exec_lo, s14
	s_cbranch_execz .LBB4_7676
; %bb.7566:                             ;   in Loop: Header=BB4_7105 Depth=3
	s_mov_b32 s72, -1
	s_mov_b32 s73, exec_lo
	v_cmpx_eq_u16_e32 0x80, v8
; %bb.7567:                             ;   in Loop: Header=BB4_7105 Depth=3
	s_xor_b32 s72, exec_lo, -1
; %bb.7568:                             ;   in Loop: Header=BB4_7105 Depth=3
	s_or_b32 exec_lo, exec_lo, s73
	s_delay_alu instid0(SALU_CYCLE_1)
	s_and_b32 s72, s72, exec_lo
	s_or_saveexec_b32 s14, s14
	v_bfrev_b32_e32 v2, 1
	s_xor_b32 exec_lo, exec_lo, s14
	s_cbranch_execnz .LBB4_7677
.LBB4_7569:                             ;   in Loop: Header=BB4_7105 Depth=3
	s_or_b32 exec_lo, exec_lo, s14
	s_and_saveexec_b32 s14, s72
	s_cbranch_execz .LBB4_7571
.LBB4_7570:                             ;   in Loop: Header=BB4_7105 Depth=3
	v_and_b32_e32 v2, 0xffff, v8
	s_delay_alu instid0(VALU_DEP_1) | instskip(NEXT) | instid1(VALU_DEP_1)
	v_and_b32_e32 v13, 3, v2
	v_clz_i32_u32_e32 v9, v13
	s_delay_alu instid0(VALU_DEP_1) | instskip(SKIP_1) | instid1(VALU_DEP_2)
	v_min_u32_e32 v41, 32, v9
	v_mov_b32_e32 v9, v3
	v_subrev_nc_u32_e32 v116, 29, v41
	s_delay_alu instid0(VALU_DEP_1) | instskip(SKIP_3) | instid1(VALU_DEP_3)
	v_lshlrev_b64_e32 v[116:117], v116, v[8:9]
	v_bfe_u32 v9, v2, 2, 5
	v_dual_lshlrev_b32 v8, 24, v8 :: v_dual_sub_nc_u32 v117, 30, v41
	v_and_b32_e32 v2, 0x7c, v2
	v_cmp_eq_u32_e64 s13, 0, v9
	s_delay_alu instid0(VALU_DEP_3) | instskip(NEXT) | instid1(VALU_DEP_2)
	v_and_b32_e32 v8, 0x80000000, v8
	v_dual_cndmask_b32 v9, v9, v117, s13 :: v_dual_bitop2_b32 v116, 3, v116 bitop3:0x40
	s_delay_alu instid0(VALU_DEP_1) | instskip(SKIP_1) | instid1(VALU_DEP_3)
	v_cndmask_b32_e64 v116, v13, v116, s13
	v_cmp_lt_i16_e64 s13, -1, v4
	v_lshl_add_u32 v8, v9, 23, v8
	s_delay_alu instid0(VALU_DEP_2) | instskip(SKIP_1) | instid1(VALU_DEP_3)
	v_cndmask_b32_e64 v4, 0xff800000, v112, s13
	v_cmp_eq_u32_e64 s13, 0, v13
	v_lshl_or_b32 v8, v116, 21, v8
	s_delay_alu instid0(VALU_DEP_2) | instskip(NEXT) | instid1(VALU_DEP_2)
	v_cndmask_b32_e64 v4, 0x7f800001, v4, s13
	v_add_nc_u32_e32 v8, 0x38000000, v8
	v_cmp_eq_u32_e64 s13, 0x7c, v2
	s_delay_alu instid0(VALU_DEP_1)
	v_cndmask_b32_e64 v2, v8, v4, s13
.LBB4_7571:                             ;   in Loop: Header=BB4_7105 Depth=3
	s_or_b32 exec_lo, exec_lo, s14
	s_delay_alu instid0(VALU_DEP_1) | instskip(SKIP_1) | instid1(VALU_DEP_1)
	v_dual_mul_f32 v4, v5, v2 :: v_dual_mov_b32 v9, v3
                                        ; implicit-def: $vgpr13
	s_mov_b32 s14, exec_lo
	v_and_b32_e32 v8, 0x7f800000, v4
	v_and_b32_e32 v2, 0x7fffff, v4
	v_lshrrev_b32_e32 v5, 24, v4
	s_delay_alu instid0(VALU_DEP_3)
	v_cmpx_ne_u64_e32 0x7f800000, v[8:9]
	s_xor_b32 s72, exec_lo, s14
	s_cbranch_execz .LBB4_7585
; %bb.7572:                             ;   in Loop: Header=BB4_7105 Depth=3
	v_and_b32_e32 v8, 0x7fffffff, v4
	v_mov_b32_e32 v9, v3
	v_and_b32_e32 v116, 0x80, v5
                                        ; implicit-def: $vgpr13
	s_mov_b32 s14, exec_lo
	s_delay_alu instid0(VALU_DEP_2)
	v_cmpx_gt_u64_e32 0x47600001, v[8:9]
	s_xor_b32 s73, exec_lo, s14
	s_cbranch_execz .LBB4_7582
; %bb.7573:                             ;   in Loop: Header=BB4_7105 Depth=3
	v_mov_b32_e32 v13, 0
	s_mov_b32 s74, exec_lo
	v_cmpx_ne_u32_e32 0, v4
	s_cbranch_execz .LBB4_7581
; %bb.7574:                             ;   in Loop: Header=BB4_7105 Depth=3
	v_bfe_u32 v13, v4, 23, 8
	v_or_b32_e32 v8, 0x800000, v2
	s_mov_b32 s75, exec_lo
	s_delay_alu instid0(VALU_DEP_2) | instskip(SKIP_1) | instid1(VALU_DEP_1)
	v_dual_mov_b32 v9, v3 :: v_dual_sub_nc_u32 v4, 0x71, v13
	v_cmp_gt_u32_e64 s13, 0x72, v13
	v_cndmask_b32_e64 v4, 0, v4, s13
	v_cmp_eq_u32_e64 s13, 0, v13
	s_delay_alu instid0(VALU_DEP_1) | instskip(NEXT) | instid1(VALU_DEP_1)
	v_cndmask_b32_e64 v117, v4, 0x70, s13
	v_dual_cndmask_b32 v8, v8, v2, s13 :: v_dual_add_nc_u32 v4, 21, v117
	v_add_nc_u32_e32 v41, 20, v117
	s_delay_alu instid0(VALU_DEP_2) | instskip(NEXT) | instid1(VALU_DEP_2)
	v_lshlrev_b64_e64 v[4:5], v4, -1
	v_lshlrev_b64_e64 v[44:45], v41, 1
	s_delay_alu instid0(VALU_DEP_2) | instskip(NEXT) | instid1(VALU_DEP_3)
	v_bfi_b32 v47, v5, 0, 0
	v_bfi_b32 v46, v4, 0, v8
	v_lshrrev_b64 v[4:5], v117, v[8:9]
	s_delay_alu instid0(VALU_DEP_1) | instskip(NEXT) | instid1(VALU_DEP_3)
	v_mov_b64_e32 v[8:9], v[4:5]
	v_cmpx_eq_u64_e64 v[46:47], v[44:45]
; %bb.7575:                             ;   in Loop: Header=BB4_7105 Depth=3
	v_bfe_u32 v8, v4, 21, 1
	v_mov_b32_e32 v9, v3
	s_delay_alu instid0(VALU_DEP_1) | instskip(NEXT) | instid1(VALU_DEP_1)
	v_add_nc_u64_e32 v[8:9], v[4:5], v[8:9]
	v_add_nc_u64_e32 v[8:9], -1, v[8:9]
; %bb.7576:                             ;   in Loop: Header=BB4_7105 Depth=3
	s_or_b32 exec_lo, exec_lo, s75
	v_add_nc_u32_e32 v2, 0xffffff81, v13
	v_lshrrev_b32_e32 v5, 23, v4
	s_mov_b32 s14, exec_lo
	s_delay_alu instid0(VALU_DEP_2) | instskip(NEXT) | instid1(VALU_DEP_1)
	v_cndmask_b32_e64 v2, v2, 0xffffff82, s13
	v_add3_u32 v9, v117, v2, v5
	v_and_b32_e32 v2, 0x1fffff, v8
                                        ; implicit-def: $vgpr8
	s_delay_alu instid0(VALU_DEP_1) | instskip(NEXT) | instid1(VALU_DEP_1)
	v_dual_add_nc_u32 v13, 14, v9 :: v_dual_add_nc_u32 v2, v2, v4
                                        ; implicit-def: $vgpr4_vgpr5
	v_cmpx_ne_u32_e32 0, v13
	s_xor_b32 s14, exec_lo, s14
; %bb.7577:                             ;   in Loop: Header=BB4_7105 Depth=3
	s_delay_alu instid0(VALU_DEP_2) | instskip(SKIP_1) | instid1(VALU_DEP_1)
	v_cmp_lt_u64_e64 s13, 0xffffff, v[2:3]
	v_add_nc_u32_e32 v4, 15, v9
	v_cndmask_b32_e64 v8, v13, v4, s13
	v_cndmask_b32_e64 v4, 0, 1, s13
	s_delay_alu instid0(VALU_DEP_1)
	v_lshrrev_b64 v[4:5], v4, v[2:3]
; %bb.7578:                             ;   in Loop: Header=BB4_7105 Depth=3
	s_and_not1_saveexec_b32 s13, s14
; %bb.7579:                             ;   in Loop: Header=BB4_7105 Depth=3
	v_mov_b64_e32 v[4:5], v[2:3]
	v_bfe_u32 v8, v2, 23, 1
; %bb.7580:                             ;   in Loop: Header=BB4_7105 Depth=3
	s_or_b32 exec_lo, exec_lo, s13
	s_delay_alu instid0(VALU_DEP_2) | instskip(NEXT) | instid1(VALU_DEP_2)
	v_lshrrev_b64 v[4:5], 21, v[4:5]
	v_cmp_gt_i32_e64 s13, 32, v8
	v_min_i32_e32 v2, 31, v8
	v_cmp_eq_u32_e64 s14, 0, v8
	s_delay_alu instid0(VALU_DEP_2) | instskip(SKIP_1) | instid1(VALU_DEP_2)
	v_dual_cndmask_b32 v5, 0, v5, s13 :: v_dual_lshlrev_b32 v2, 2, v2
	v_cndmask_b32_e64 v4, 3, v4, s13
	v_and_b32_e32 v2, 0xfc, v2
	s_delay_alu instid0(VALU_DEP_2) | instskip(NEXT) | instid1(VALU_DEP_2)
	v_cmp_eq_u64_e64 s13, 0, v[4:5]
	v_and_or_b32 v2, v4, 3, v2
	s_and_b32 s13, s14, s13
	s_delay_alu instid0(VALU_DEP_1) | instid1(SALU_CYCLE_1)
	v_cndmask_b32_e64 v2, v2, 0, s13
	s_delay_alu instid0(VALU_DEP_1)
	v_or_b32_e32 v13, v2, v116
.LBB4_7581:                             ;   in Loop: Header=BB4_7105 Depth=3
	s_or_b32 exec_lo, exec_lo, s74
                                        ; implicit-def: $vgpr116
.LBB4_7582:                             ;   in Loop: Header=BB4_7105 Depth=3
	s_and_not1_saveexec_b32 s13, s73
; %bb.7583:                             ;   in Loop: Header=BB4_7105 Depth=3
	v_or_b32_e32 v13, 0x7b, v116
; %bb.7584:                             ;   in Loop: Header=BB4_7105 Depth=3
	s_or_b32 exec_lo, exec_lo, s13
                                        ; implicit-def: $vgpr4
                                        ; implicit-def: $vgpr5
.LBB4_7585:                             ;   in Loop: Header=BB4_7105 Depth=3
	s_and_not1_saveexec_b32 s14, s72
	s_cbranch_execz .LBB4_7591
; %bb.7586:                             ;   in Loop: Header=BB4_7105 Depth=3
	v_cmp_ne_u64_e64 s13, 0, v[2:3]
                                        ; implicit-def: $vgpr13
	s_and_saveexec_b32 s72, s13
	s_delay_alu instid0(SALU_CYCLE_1)
	s_xor_b32 s13, exec_lo, s72
; %bb.7587:                             ;   in Loop: Header=BB4_7105 Depth=3
	v_or_b32_e32 v13, 0x7f, v5
                                        ; implicit-def: $vgpr4
; %bb.7588:                             ;   in Loop: Header=BB4_7105 Depth=3
	s_and_not1_saveexec_b32 s72, s13
; %bb.7589:                             ;   in Loop: Header=BB4_7105 Depth=3
	v_cmp_lt_i32_e64 s13, -1, v4
	s_delay_alu instid0(VALU_DEP_1)
	v_cndmask_b32_e64 v13, 0xfc, v113, s13
; %bb.7590:                             ;   in Loop: Header=BB4_7105 Depth=3
	s_or_b32 exec_lo, exec_lo, s72
.LBB4_7591:                             ;   in Loop: Header=BB4_7105 Depth=3
	s_delay_alu instid0(SALU_CYCLE_1) | instskip(SKIP_2) | instid1(VALU_DEP_1)
	s_or_b32 exec_lo, exec_lo, s14
	v_dual_lshrrev_b32 v2, 16, v15 :: v_dual_mov_b32 v4, 0
	s_mov_b32 s14, exec_lo
	v_and_b32_e32 v5, 0xff, v2
	s_delay_alu instid0(VALU_DEP_1)
	v_cmpx_ne_u16_e32 0, v5
	s_cbranch_execz .LBB4_7601
; %bb.7592:                             ;   in Loop: Header=BB4_7105 Depth=3
	v_bfrev_b32_e32 v4, 1
	s_mov_b32 s72, exec_lo
	v_cmpx_ne_u16_e32 0x80, v5
	s_cbranch_execz .LBB4_7600
; %bb.7593:                             ;   in Loop: Header=BB4_7105 Depth=3
	v_and_b32_e32 v4, 0x7c0000, v15
	v_bfe_u32 v5, v15, 16, 2
	s_delay_alu instid0(VALU_DEP_2) | instskip(SKIP_1) | instid1(SALU_CYCLE_1)
	v_cmp_ne_u32_e64 s13, 0x7c0000, v4
                                        ; implicit-def: $vgpr4
	s_and_saveexec_b32 s73, s13
	s_xor_b32 s73, exec_lo, s73
	s_cbranch_execz .LBB4_7597
; %bb.7594:                             ;   in Loop: Header=BB4_7105 Depth=3
	v_bfe_u32 v4, v15, 18, 5
	s_mov_b32 s74, exec_lo
	s_delay_alu instid0(VALU_DEP_1)
	v_cmpx_eq_u32_e32 0, v4
; %bb.7595:                             ;   in Loop: Header=BB4_7105 Depth=3
	v_clz_i32_u32_e32 v4, v5
	s_delay_alu instid0(VALU_DEP_1) | instskip(NEXT) | instid1(VALU_DEP_1)
	v_min_u32_e32 v4, 32, v4
	v_subrev_nc_u32_e32 v5, 29, v4
	v_sub_nc_u32_e32 v4, 30, v4
	s_delay_alu instid0(VALU_DEP_2) | instskip(NEXT) | instid1(VALU_DEP_1)
	v_lshlrev_b64_e32 v[8:9], v5, v[2:3]
	v_and_b32_e32 v5, 3, v8
; %bb.7596:                             ;   in Loop: Header=BB4_7105 Depth=3
	s_or_b32 exec_lo, exec_lo, s74
	v_lshlrev_b32_e32 v2, 24, v2
	s_delay_alu instid0(VALU_DEP_1) | instskip(NEXT) | instid1(VALU_DEP_1)
	v_and_b32_e32 v2, 0x80000000, v2
	v_lshl_add_u32 v2, v4, 23, v2
	s_delay_alu instid0(VALU_DEP_1) | instskip(NEXT) | instid1(VALU_DEP_1)
	v_lshl_or_b32 v2, v5, 21, v2
                                        ; implicit-def: $vgpr5
	v_add_nc_u32_e32 v4, 0x38000000, v2
                                        ; implicit-def: $vgpr2
.LBB4_7597:                             ;   in Loop: Header=BB4_7105 Depth=3
	s_and_not1_saveexec_b32 s73, s73
; %bb.7598:                             ;   in Loop: Header=BB4_7105 Depth=3
	v_bfe_i32 v2, v2, 0, 8
	s_delay_alu instid0(VALU_DEP_1) | instskip(NEXT) | instid1(VALU_DEP_1)
	v_cmp_lt_i16_e64 s13, -1, v2
	v_cndmask_b32_e64 v2, 0xff800000, v112, s13
	v_cmp_eq_u32_e64 s13, 0, v5
	s_delay_alu instid0(VALU_DEP_1)
	v_cndmask_b32_e64 v4, 0x7f800001, v2, s13
; %bb.7599:                             ;   in Loop: Header=BB4_7105 Depth=3
	s_or_b32 exec_lo, exec_lo, s73
.LBB4_7600:                             ;   in Loop: Header=BB4_7105 Depth=3
	s_delay_alu instid0(SALU_CYCLE_1)
	s_or_b32 exec_lo, exec_lo, s72
.LBB4_7601:                             ;   in Loop: Header=BB4_7105 Depth=3
	s_delay_alu instid0(SALU_CYCLE_1) | instskip(SKIP_3) | instid1(VALU_DEP_1)
	s_or_b32 exec_lo, exec_lo, s14
	v_lshrrev_b32_e32 v2, 16, v11
	s_mov_b32 s72, 0
	s_mov_b32 s14, exec_lo
	v_and_b32_e32 v8, 0xff, v2
	s_delay_alu instid0(VALU_DEP_1)
	v_cmpx_lt_i16_e32 0x7f, v8
	s_xor_b32 s14, exec_lo, s14
	s_cbranch_execz .LBB4_7678
; %bb.7602:                             ;   in Loop: Header=BB4_7105 Depth=3
	s_mov_b32 s72, -1
	s_mov_b32 s73, exec_lo
	v_cmpx_eq_u16_e32 0x80, v8
; %bb.7603:                             ;   in Loop: Header=BB4_7105 Depth=3
	s_xor_b32 s72, exec_lo, -1
; %bb.7604:                             ;   in Loop: Header=BB4_7105 Depth=3
	s_or_b32 exec_lo, exec_lo, s73
	s_delay_alu instid0(SALU_CYCLE_1)
	s_and_b32 s72, s72, exec_lo
                                        ; implicit-def: $vgpr8
	s_or_saveexec_b32 s14, s14
	v_bfrev_b32_e32 v5, 1
	s_xor_b32 exec_lo, exec_lo, s14
	s_cbranch_execnz .LBB4_7679
.LBB4_7605:                             ;   in Loop: Header=BB4_7105 Depth=3
	s_or_b32 exec_lo, exec_lo, s14
	s_and_saveexec_b32 s14, s72
	s_cbranch_execz .LBB4_7607
.LBB4_7606:                             ;   in Loop: Header=BB4_7105 Depth=3
	v_and_b32_e32 v5, 3, v2
	v_bfe_u32 v117, v11, 18, 5
	s_delay_alu instid0(VALU_DEP_2) | instskip(NEXT) | instid1(VALU_DEP_2)
	v_clz_i32_u32_e32 v8, v5
	v_cmp_eq_u32_e64 s13, 0, v117
	s_delay_alu instid0(VALU_DEP_2) | instskip(NEXT) | instid1(VALU_DEP_1)
	v_min_u32_e32 v116, 32, v8
	v_subrev_nc_u32_e32 v8, 29, v116
	v_sub_nc_u32_e32 v116, 30, v116
	s_delay_alu instid0(VALU_DEP_2) | instskip(NEXT) | instid1(VALU_DEP_2)
	v_lshlrev_b64_e32 v[8:9], v8, v[2:3]
	v_dual_lshlrev_b32 v9, 24, v2 :: v_dual_cndmask_b32 v116, v117, v116, s13
	v_bfe_i32 v2, v2, 0, 8
	s_delay_alu instid0(VALU_DEP_2) | instskip(NEXT) | instid1(VALU_DEP_4)
	v_and_b32_e32 v9, 0x80000000, v9
	v_and_b32_e32 v8, 3, v8
	s_delay_alu instid0(VALU_DEP_2) | instskip(NEXT) | instid1(VALU_DEP_2)
	v_lshl_add_u32 v9, v116, 23, v9
	v_cndmask_b32_e64 v8, v5, v8, s13
	v_cmp_lt_i16_e64 s13, -1, v2
	s_delay_alu instid0(VALU_DEP_2) | instskip(NEXT) | instid1(VALU_DEP_2)
	v_lshl_or_b32 v8, v8, 21, v9
	v_cndmask_b32_e64 v2, 0xff800000, v112, s13
	v_and_b32_e32 v9, 0x7c0000, v11
	v_cmp_eq_u32_e64 s13, 0, v5
	s_delay_alu instid0(VALU_DEP_4) | instskip(NEXT) | instid1(VALU_DEP_2)
	v_add_nc_u32_e32 v5, 0x38000000, v8
	v_cndmask_b32_e64 v2, 0x7f800001, v2, s13
	s_delay_alu instid0(VALU_DEP_4) | instskip(NEXT) | instid1(VALU_DEP_1)
	v_cmp_eq_u32_e64 s13, 0x7c0000, v9
	v_cndmask_b32_e64 v5, v5, v2, s13
.LBB4_7607:                             ;   in Loop: Header=BB4_7105 Depth=3
	s_or_b32 exec_lo, exec_lo, s14
	s_delay_alu instid0(VALU_DEP_1) | instskip(SKIP_1) | instid1(VALU_DEP_1)
	v_dual_mul_f32 v4, v4, v5 :: v_dual_mov_b32 v9, v3
                                        ; implicit-def: $vgpr116
	s_mov_b32 s14, exec_lo
	v_and_b32_e32 v8, 0x7f800000, v4
	v_and_b32_e32 v2, 0x7fffff, v4
	v_lshrrev_b32_e32 v5, 24, v4
	s_delay_alu instid0(VALU_DEP_3)
	v_cmpx_ne_u64_e32 0x7f800000, v[8:9]
	s_xor_b32 s72, exec_lo, s14
	s_cbranch_execz .LBB4_7621
; %bb.7608:                             ;   in Loop: Header=BB4_7105 Depth=3
	v_and_b32_e32 v8, 0x7fffffff, v4
	v_mov_b32_e32 v9, v3
	v_and_b32_e32 v117, 0x80, v5
                                        ; implicit-def: $vgpr116
	s_mov_b32 s14, exec_lo
	s_delay_alu instid0(VALU_DEP_2)
	v_cmpx_gt_u64_e32 0x47600001, v[8:9]
	s_xor_b32 s73, exec_lo, s14
	s_cbranch_execz .LBB4_7618
; %bb.7609:                             ;   in Loop: Header=BB4_7105 Depth=3
	v_mov_b32_e32 v116, 0
	s_mov_b32 s74, exec_lo
	v_cmpx_ne_u32_e32 0, v4
	s_cbranch_execz .LBB4_7617
; %bb.7610:                             ;   in Loop: Header=BB4_7105 Depth=3
	v_bfe_u32 v116, v4, 23, 8
	v_or_b32_e32 v8, 0x800000, v2
	s_mov_b32 s75, exec_lo
	s_delay_alu instid0(VALU_DEP_2) | instskip(SKIP_1) | instid1(VALU_DEP_1)
	v_dual_mov_b32 v9, v3 :: v_dual_sub_nc_u32 v4, 0x71, v116
	v_cmp_gt_u32_e64 s13, 0x72, v116
	v_cndmask_b32_e64 v4, 0, v4, s13
	v_cmp_eq_u32_e64 s13, 0, v116
	s_delay_alu instid0(VALU_DEP_1) | instskip(NEXT) | instid1(VALU_DEP_1)
	v_cndmask_b32_e64 v41, v4, 0x70, s13
	v_dual_cndmask_b32 v8, v8, v2, s13 :: v_dual_add_nc_u32 v4, 21, v41
	v_add_nc_u32_e32 v43, 20, v41
	s_delay_alu instid0(VALU_DEP_2) | instskip(NEXT) | instid1(VALU_DEP_2)
	v_lshlrev_b64_e64 v[4:5], v4, -1
	v_lshlrev_b64_e64 v[44:45], v43, 1
	s_delay_alu instid0(VALU_DEP_2) | instskip(NEXT) | instid1(VALU_DEP_3)
	v_bfi_b32 v47, v5, 0, 0
	v_bfi_b32 v46, v4, 0, v8
	v_lshrrev_b64 v[4:5], v41, v[8:9]
	s_delay_alu instid0(VALU_DEP_1) | instskip(NEXT) | instid1(VALU_DEP_3)
	v_mov_b64_e32 v[8:9], v[4:5]
	v_cmpx_eq_u64_e64 v[46:47], v[44:45]
; %bb.7611:                             ;   in Loop: Header=BB4_7105 Depth=3
	v_bfe_u32 v8, v4, 21, 1
	v_mov_b32_e32 v9, v3
	s_delay_alu instid0(VALU_DEP_1) | instskip(NEXT) | instid1(VALU_DEP_1)
	v_add_nc_u64_e32 v[8:9], v[4:5], v[8:9]
	v_add_nc_u64_e32 v[8:9], -1, v[8:9]
; %bb.7612:                             ;   in Loop: Header=BB4_7105 Depth=3
	s_or_b32 exec_lo, exec_lo, s75
	v_add_nc_u32_e32 v2, 0xffffff81, v116
	v_lshrrev_b32_e32 v5, 23, v4
	s_mov_b32 s14, exec_lo
	s_delay_alu instid0(VALU_DEP_2) | instskip(NEXT) | instid1(VALU_DEP_1)
	v_cndmask_b32_e64 v2, v2, 0xffffff82, s13
	v_add3_u32 v9, v41, v2, v5
	v_and_b32_e32 v2, 0x1fffff, v8
                                        ; implicit-def: $vgpr8
	s_delay_alu instid0(VALU_DEP_1) | instskip(NEXT) | instid1(VALU_DEP_1)
	v_dual_add_nc_u32 v116, 14, v9 :: v_dual_add_nc_u32 v2, v2, v4
                                        ; implicit-def: $vgpr4_vgpr5
	v_cmpx_ne_u32_e32 0, v116
	s_xor_b32 s14, exec_lo, s14
; %bb.7613:                             ;   in Loop: Header=BB4_7105 Depth=3
	s_delay_alu instid0(VALU_DEP_2) | instskip(SKIP_1) | instid1(VALU_DEP_1)
	v_cmp_lt_u64_e64 s13, 0xffffff, v[2:3]
	v_add_nc_u32_e32 v4, 15, v9
	v_cndmask_b32_e64 v8, v116, v4, s13
	v_cndmask_b32_e64 v4, 0, 1, s13
	s_delay_alu instid0(VALU_DEP_1)
	v_lshrrev_b64 v[4:5], v4, v[2:3]
; %bb.7614:                             ;   in Loop: Header=BB4_7105 Depth=3
	s_and_not1_saveexec_b32 s13, s14
; %bb.7615:                             ;   in Loop: Header=BB4_7105 Depth=3
	v_mov_b64_e32 v[4:5], v[2:3]
	v_bfe_u32 v8, v2, 23, 1
; %bb.7616:                             ;   in Loop: Header=BB4_7105 Depth=3
	s_or_b32 exec_lo, exec_lo, s13
	s_delay_alu instid0(VALU_DEP_2) | instskip(NEXT) | instid1(VALU_DEP_2)
	v_lshrrev_b64 v[4:5], 21, v[4:5]
	v_cmp_gt_i32_e64 s13, 32, v8
	v_min_i32_e32 v2, 31, v8
	v_cmp_eq_u32_e64 s14, 0, v8
	s_delay_alu instid0(VALU_DEP_2) | instskip(SKIP_1) | instid1(VALU_DEP_2)
	v_dual_cndmask_b32 v5, 0, v5, s13 :: v_dual_lshlrev_b32 v2, 2, v2
	v_cndmask_b32_e64 v4, 3, v4, s13
	v_and_b32_e32 v2, 0xfc, v2
	s_delay_alu instid0(VALU_DEP_2) | instskip(NEXT) | instid1(VALU_DEP_2)
	v_cmp_eq_u64_e64 s13, 0, v[4:5]
	v_and_or_b32 v2, v4, 3, v2
	s_and_b32 s13, s14, s13
	s_delay_alu instid0(VALU_DEP_1) | instid1(SALU_CYCLE_1)
	v_cndmask_b32_e64 v2, v2, 0, s13
	s_delay_alu instid0(VALU_DEP_1)
	v_or_b32_e32 v116, v2, v117
.LBB4_7617:                             ;   in Loop: Header=BB4_7105 Depth=3
	s_or_b32 exec_lo, exec_lo, s74
                                        ; implicit-def: $vgpr117
.LBB4_7618:                             ;   in Loop: Header=BB4_7105 Depth=3
	s_and_not1_saveexec_b32 s13, s73
; %bb.7619:                             ;   in Loop: Header=BB4_7105 Depth=3
	v_or_b32_e32 v116, 0x7b, v117
; %bb.7620:                             ;   in Loop: Header=BB4_7105 Depth=3
	s_or_b32 exec_lo, exec_lo, s13
                                        ; implicit-def: $vgpr4
                                        ; implicit-def: $vgpr5
.LBB4_7621:                             ;   in Loop: Header=BB4_7105 Depth=3
	s_and_not1_saveexec_b32 s14, s72
	s_cbranch_execz .LBB4_7627
; %bb.7622:                             ;   in Loop: Header=BB4_7105 Depth=3
	v_cmp_ne_u64_e64 s13, 0, v[2:3]
                                        ; implicit-def: $vgpr116
	s_and_saveexec_b32 s72, s13
	s_delay_alu instid0(SALU_CYCLE_1)
	s_xor_b32 s13, exec_lo, s72
; %bb.7623:                             ;   in Loop: Header=BB4_7105 Depth=3
	v_or_b32_e32 v116, 0x7f, v5
                                        ; implicit-def: $vgpr4
; %bb.7624:                             ;   in Loop: Header=BB4_7105 Depth=3
	s_and_not1_saveexec_b32 s72, s13
; %bb.7625:                             ;   in Loop: Header=BB4_7105 Depth=3
	v_cmp_lt_i32_e64 s13, -1, v4
	s_delay_alu instid0(VALU_DEP_1)
	v_cndmask_b32_e64 v116, 0xfc, v113, s13
; %bb.7626:                             ;   in Loop: Header=BB4_7105 Depth=3
	s_or_b32 exec_lo, exec_lo, s72
.LBB4_7627:                             ;   in Loop: Header=BB4_7105 Depth=3
	s_delay_alu instid0(SALU_CYCLE_1)
	s_or_b32 exec_lo, exec_lo, s14
	v_mov_b32_e32 v4, 0
	s_mov_b32 s14, exec_lo
	v_cmpx_lt_u64_e64 s[22:23], v[14:15]
	s_cbranch_execz .LBB4_7637
; %bb.7628:                             ;   in Loop: Header=BB4_7105 Depth=3
	v_lshrrev_b32_e32 v2, 24, v15
	v_bfrev_b32_e32 v4, 1
	s_mov_b32 s72, exec_lo
	s_delay_alu instid0(VALU_DEP_2)
	v_cmpx_ne_u32_e32 0x80, v2
	s_cbranch_execz .LBB4_7636
; %bb.7629:                             ;   in Loop: Header=BB4_7105 Depth=3
	v_and_b32_e32 v4, 0x7c000000, v15
	v_bfe_u32 v5, v15, 24, 2
	s_delay_alu instid0(VALU_DEP_2) | instskip(SKIP_1) | instid1(SALU_CYCLE_1)
	v_cmp_ne_u32_e64 s13, 0x7c000000, v4
                                        ; implicit-def: $vgpr4
	s_and_saveexec_b32 s73, s13
	s_xor_b32 s73, exec_lo, s73
	s_cbranch_execz .LBB4_7633
; %bb.7630:                             ;   in Loop: Header=BB4_7105 Depth=3
	v_bfe_u32 v4, v15, 26, 5
	s_mov_b32 s74, exec_lo
	s_delay_alu instid0(VALU_DEP_1)
	v_cmpx_eq_u32_e32 0, v4
; %bb.7631:                             ;   in Loop: Header=BB4_7105 Depth=3
	v_clz_i32_u32_e32 v4, v5
	s_delay_alu instid0(VALU_DEP_1) | instskip(NEXT) | instid1(VALU_DEP_1)
	v_min_u32_e32 v4, 32, v4
	v_subrev_nc_u32_e32 v5, 29, v4
	v_sub_nc_u32_e32 v4, 30, v4
	s_delay_alu instid0(VALU_DEP_2) | instskip(NEXT) | instid1(VALU_DEP_1)
	v_lshlrev_b64_e32 v[8:9], v5, v[2:3]
	v_and_b32_e32 v5, 3, v8
; %bb.7632:                             ;   in Loop: Header=BB4_7105 Depth=3
	s_or_b32 exec_lo, exec_lo, s74
	v_and_b32_e32 v2, 0x80000000, v15
                                        ; implicit-def: $vgpr14_vgpr15
	s_delay_alu instid0(VALU_DEP_1) | instskip(NEXT) | instid1(VALU_DEP_1)
	v_lshl_add_u32 v2, v4, 23, v2
	v_lshl_or_b32 v2, v5, 21, v2
                                        ; implicit-def: $vgpr5
	s_delay_alu instid0(VALU_DEP_1)
	v_add_nc_u32_e32 v4, 0x38000000, v2
.LBB4_7633:                             ;   in Loop: Header=BB4_7105 Depth=3
	s_and_not1_saveexec_b32 s73, s73
; %bb.7634:                             ;   in Loop: Header=BB4_7105 Depth=3
	v_cmp_lt_i64_e64 s13, -1, v[14:15]
	s_delay_alu instid0(VALU_DEP_1) | instskip(SKIP_1) | instid1(VALU_DEP_1)
	v_cndmask_b32_e64 v2, 0xff800000, v112, s13
	v_cmp_eq_u32_e64 s13, 0, v5
	v_cndmask_b32_e64 v4, 0x7f800001, v2, s13
; %bb.7635:                             ;   in Loop: Header=BB4_7105 Depth=3
	s_or_b32 exec_lo, exec_lo, s73
.LBB4_7636:                             ;   in Loop: Header=BB4_7105 Depth=3
	s_delay_alu instid0(SALU_CYCLE_1)
	s_or_b32 exec_lo, exec_lo, s72
.LBB4_7637:                             ;   in Loop: Header=BB4_7105 Depth=3
	s_delay_alu instid0(SALU_CYCLE_1) | instskip(SKIP_2) | instid1(VALU_DEP_2)
	s_or_b32 exec_lo, exec_lo, s14
	v_bfe_u32 v5, v11, 24, 2
	v_bfe_u32 v15, v11, 26, 5
	v_clz_i32_u32_e32 v2, v5
	s_delay_alu instid0(VALU_DEP_2) | instskip(NEXT) | instid1(VALU_DEP_2)
	v_cmp_eq_u32_e64 s13, 0, v15
	v_min_u32_e32 v14, 32, v2
	v_lshrrev_b32_e32 v2, 24, v11
	s_delay_alu instid0(VALU_DEP_2) | instskip(NEXT) | instid1(VALU_DEP_1)
	v_subrev_nc_u32_e32 v8, 29, v14
	v_lshlrev_b64_e32 v[8:9], v8, v[2:3]
	v_sub_nc_u32_e32 v9, 30, v14
	v_and_b32_e32 v14, 0x80000000, v11
	s_delay_alu instid0(VALU_DEP_2) | instskip(NEXT) | instid1(VALU_DEP_1)
	v_dual_cndmask_b32 v9, v15, v9, s13 :: v_dual_bitop2_b32 v8, 3, v8 bitop3:0x40
	v_lshl_add_u32 v9, v9, 23, v14
	s_delay_alu instid0(VALU_DEP_2) | instskip(SKIP_1) | instid1(VALU_DEP_2)
	v_cndmask_b32_e64 v8, v5, v8, s13
	v_cmp_lt_i64_e64 s13, -1, v[10:11]
	v_lshl_or_b32 v8, v8, 21, v9
	v_and_b32_e32 v9, 0x7c000000, v11
	s_delay_alu instid0(VALU_DEP_3) | instskip(SKIP_1) | instid1(VALU_DEP_4)
	v_cndmask_b32_e64 v14, 0xff800000, v112, s13
	v_cmp_eq_u32_e64 s13, 0, v5
	v_add_nc_u32_e32 v8, 0x38000000, v8
	s_delay_alu instid0(VALU_DEP_2) | instskip(SKIP_1) | instid1(VALU_DEP_1)
	v_cndmask_b32_e64 v5, 0x7f800001, v14, s13
	v_cmp_eq_u32_e64 s13, 0x7c000000, v9
	v_dual_mov_b32 v9, v3 :: v_dual_cndmask_b32 v5, v8, v5, s13
	v_cmp_ne_u32_e64 s13, 0x80, v2
	s_delay_alu instid0(VALU_DEP_1) | instskip(SKIP_1) | instid1(VALU_DEP_1)
	v_cndmask_b32_e64 v2, 0x80000000, v5, s13
	v_cmp_lt_u64_e64 s13, s[22:23], v[10:11]
	v_cndmask_b32_e64 v2, 0, v2, s13
	s_delay_alu instid0(VALU_DEP_1) | instskip(NEXT) | instid1(VALU_DEP_1)
	v_mul_f32_e32 v5, v2, v4
                                        ; implicit-def: $vgpr4
	v_and_b32_e32 v8, 0x7f800000, v5
	v_and_b32_e32 v2, 0x7fffff, v5
	s_delay_alu instid0(VALU_DEP_2) | instskip(SKIP_2) | instid1(SALU_CYCLE_1)
	v_cmp_ne_u64_e64 s13, 0x7f800000, v[8:9]
	v_lshrrev_b32_e32 v8, 24, v5
	s_and_saveexec_b32 s14, s13
	s_xor_b32 s72, exec_lo, s14
	s_cbranch_execz .LBB4_7651
; %bb.7638:                             ;   in Loop: Header=BB4_7105 Depth=3
	v_and_b32_e32 v10, 0x7fffffff, v5
	v_mov_b32_e32 v11, v3
                                        ; implicit-def: $vgpr4
	s_delay_alu instid0(VALU_DEP_1) | instskip(SKIP_2) | instid1(SALU_CYCLE_1)
	v_cmp_gt_u64_e64 s13, 0x47600001, v[10:11]
	v_and_b32_e32 v10, 0x80, v8
	s_and_saveexec_b32 s14, s13
	s_xor_b32 s73, exec_lo, s14
	s_cbranch_execz .LBB4_7648
; %bb.7639:                             ;   in Loop: Header=BB4_7105 Depth=3
	v_mov_b32_e32 v4, 0
	s_mov_b32 s74, exec_lo
	v_cmpx_ne_u32_e32 0, v5
	s_cbranch_execz .LBB4_7647
; %bb.7640:                             ;   in Loop: Header=BB4_7105 Depth=3
	v_bfe_u32 v11, v5, 23, 8
	v_or_b32_e32 v8, 0x800000, v2
	s_mov_b32 s75, exec_lo
	s_delay_alu instid0(VALU_DEP_2) | instskip(SKIP_1) | instid1(VALU_DEP_1)
	v_dual_mov_b32 v9, v3 :: v_dual_sub_nc_u32 v4, 0x71, v11
	v_cmp_gt_u32_e64 s13, 0x72, v11
	v_cndmask_b32_e64 v4, 0, v4, s13
	v_cmp_eq_u32_e64 s13, 0, v11
	s_delay_alu instid0(VALU_DEP_1) | instskip(SKIP_1) | instid1(VALU_DEP_2)
	v_cndmask_b32_e64 v14, v4, 0x70, s13
	v_cndmask_b32_e64 v8, v8, v2, s13
	v_dual_add_nc_u32 v4, 21, v14 :: v_dual_add_nc_u32 v15, 20, v14
	s_delay_alu instid0(VALU_DEP_1) | instskip(NEXT) | instid1(VALU_DEP_2)
	v_lshlrev_b64_e64 v[4:5], v4, -1
	v_lshlrev_b64_e64 v[44:45], v15, 1
	s_delay_alu instid0(VALU_DEP_2) | instskip(NEXT) | instid1(VALU_DEP_3)
	v_bfi_b32 v47, v5, 0, 0
	v_bfi_b32 v46, v4, 0, v8
	v_lshrrev_b64 v[4:5], v14, v[8:9]
	s_delay_alu instid0(VALU_DEP_1) | instskip(NEXT) | instid1(VALU_DEP_3)
	v_mov_b64_e32 v[8:9], v[4:5]
	v_cmpx_eq_u64_e64 v[46:47], v[44:45]
; %bb.7641:                             ;   in Loop: Header=BB4_7105 Depth=3
	v_bfe_u32 v8, v4, 21, 1
	v_mov_b32_e32 v9, v3
	s_delay_alu instid0(VALU_DEP_1) | instskip(NEXT) | instid1(VALU_DEP_1)
	v_add_nc_u64_e32 v[8:9], v[4:5], v[8:9]
	v_add_nc_u64_e32 v[8:9], -1, v[8:9]
; %bb.7642:                             ;   in Loop: Header=BB4_7105 Depth=3
	s_or_b32 exec_lo, exec_lo, s75
	v_add_nc_u32_e32 v2, 0xffffff81, v11
	v_lshrrev_b32_e32 v5, 23, v4
	s_mov_b32 s14, exec_lo
	s_delay_alu instid0(VALU_DEP_2) | instskip(NEXT) | instid1(VALU_DEP_1)
	v_cndmask_b32_e64 v2, v2, 0xffffff82, s13
	v_add3_u32 v9, v14, v2, v5
	v_and_b32_e32 v2, 0x1fffff, v8
                                        ; implicit-def: $vgpr8
	s_delay_alu instid0(VALU_DEP_1) | instskip(NEXT) | instid1(VALU_DEP_1)
	v_dual_add_nc_u32 v11, 14, v9 :: v_dual_add_nc_u32 v2, v2, v4
                                        ; implicit-def: $vgpr4_vgpr5
	v_cmpx_ne_u32_e32 0, v11
	s_xor_b32 s14, exec_lo, s14
; %bb.7643:                             ;   in Loop: Header=BB4_7105 Depth=3
	s_delay_alu instid0(VALU_DEP_2) | instskip(SKIP_1) | instid1(VALU_DEP_1)
	v_cmp_lt_u64_e64 s13, 0xffffff, v[2:3]
	v_add_nc_u32_e32 v4, 15, v9
	v_cndmask_b32_e64 v8, v11, v4, s13
	v_cndmask_b32_e64 v4, 0, 1, s13
	s_delay_alu instid0(VALU_DEP_1)
	v_lshrrev_b64 v[4:5], v4, v[2:3]
; %bb.7644:                             ;   in Loop: Header=BB4_7105 Depth=3
	s_and_not1_saveexec_b32 s13, s14
; %bb.7645:                             ;   in Loop: Header=BB4_7105 Depth=3
	v_mov_b64_e32 v[4:5], v[2:3]
	v_bfe_u32 v8, v2, 23, 1
; %bb.7646:                             ;   in Loop: Header=BB4_7105 Depth=3
	s_or_b32 exec_lo, exec_lo, s13
	s_delay_alu instid0(VALU_DEP_2) | instskip(NEXT) | instid1(VALU_DEP_2)
	v_lshrrev_b64 v[4:5], 21, v[4:5]
	v_cmp_gt_i32_e64 s13, 32, v8
	v_min_i32_e32 v2, 31, v8
	v_cmp_eq_u32_e64 s14, 0, v8
	s_delay_alu instid0(VALU_DEP_2) | instskip(SKIP_1) | instid1(VALU_DEP_2)
	v_dual_cndmask_b32 v5, 0, v5, s13 :: v_dual_lshlrev_b32 v2, 2, v2
	v_cndmask_b32_e64 v4, 3, v4, s13
	v_and_b32_e32 v2, 0xfc, v2
	s_delay_alu instid0(VALU_DEP_2) | instskip(NEXT) | instid1(VALU_DEP_2)
	v_cmp_eq_u64_e64 s13, 0, v[4:5]
	v_and_or_b32 v2, v4, 3, v2
	s_and_b32 s13, s14, s13
	s_delay_alu instid0(VALU_DEP_1) | instid1(SALU_CYCLE_1)
	v_cndmask_b32_e64 v2, v2, 0, s13
	s_delay_alu instid0(VALU_DEP_1)
	v_or_b32_e32 v4, v2, v10
.LBB4_7647:                             ;   in Loop: Header=BB4_7105 Depth=3
	s_or_b32 exec_lo, exec_lo, s74
                                        ; implicit-def: $vgpr10
.LBB4_7648:                             ;   in Loop: Header=BB4_7105 Depth=3
	s_and_not1_saveexec_b32 s13, s73
; %bb.7649:                             ;   in Loop: Header=BB4_7105 Depth=3
	v_or_b32_e32 v4, 0x7b, v10
; %bb.7650:                             ;   in Loop: Header=BB4_7105 Depth=3
	s_or_b32 exec_lo, exec_lo, s13
                                        ; implicit-def: $vgpr5
                                        ; implicit-def: $vgpr8
.LBB4_7651:                             ;   in Loop: Header=BB4_7105 Depth=3
	s_and_not1_saveexec_b32 s14, s72
	s_cbranch_execz .LBB4_7104
; %bb.7652:                             ;   in Loop: Header=BB4_7105 Depth=3
	v_cmp_ne_u64_e64 s13, 0, v[2:3]
                                        ; implicit-def: $vgpr4
	s_and_saveexec_b32 s72, s13
	s_delay_alu instid0(SALU_CYCLE_1)
	s_xor_b32 s13, exec_lo, s72
; %bb.7653:                             ;   in Loop: Header=BB4_7105 Depth=3
	v_or_b32_e32 v4, 0x7f, v8
                                        ; implicit-def: $vgpr5
; %bb.7654:                             ;   in Loop: Header=BB4_7105 Depth=3
	s_and_not1_saveexec_b32 s72, s13
	s_cbranch_execz .LBB4_7103
; %bb.7655:                             ;   in Loop: Header=BB4_7105 Depth=3
	v_cmp_lt_i32_e64 s13, -1, v5
	s_delay_alu instid0(VALU_DEP_1)
	v_cndmask_b32_e64 v4, 0xfc, v113, s13
	s_branch .LBB4_7103
.LBB4_7656:                             ;   in Loop: Header=BB4_7105 Depth=3
	s_or_saveexec_b32 s14, s14
	v_bfrev_b32_e32 v4, 1
	s_xor_b32 exec_lo, exec_lo, s14
	s_cbranch_execz .LBB4_7119
.LBB4_7657:                             ;   in Loop: Header=BB4_7105 Depth=3
	v_cmp_ne_u16_e64 s13, 0, v5
	v_mov_b32_e32 v4, 0
	s_and_not1_b32 s72, s72, exec_lo
	s_and_b32 s13, s13, exec_lo
	s_delay_alu instid0(SALU_CYCLE_1)
	s_or_b32 s72, s72, s13
	s_or_b32 exec_lo, exec_lo, s14
	s_and_saveexec_b32 s14, s72
	s_cbranch_execnz .LBB4_7120
	s_branch .LBB4_7121
.LBB4_7658:                             ;   in Loop: Header=BB4_7105 Depth=3
	s_or_saveexec_b32 s14, s14
	v_bfrev_b32_e32 v5, 1
	s_xor_b32 exec_lo, exec_lo, s14
	s_cbranch_execz .LBB4_7155
.LBB4_7659:                             ;   in Loop: Header=BB4_7105 Depth=3
	v_cmp_ne_u16_e64 s13, 0, v4
	v_mov_b32_e32 v5, 0
	s_and_not1_b32 s72, s72, exec_lo
	s_and_b32 s13, s13, exec_lo
	s_delay_alu instid0(SALU_CYCLE_1)
	s_or_b32 s72, s72, s13
	s_or_b32 exec_lo, exec_lo, s14
	s_and_saveexec_b32 s14, s72
	s_cbranch_execnz .LBB4_7156
	s_branch .LBB4_7157
.LBB4_7660:                             ;   in Loop: Header=BB4_7105 Depth=3
	s_or_saveexec_b32 s14, s14
	v_bfrev_b32_e32 v5, 1
	s_xor_b32 exec_lo, exec_lo, s14
	s_cbranch_execz .LBB4_7191
.LBB4_7661:                             ;   in Loop: Header=BB4_7105 Depth=3
	v_cmp_ne_u16_e64 s13, 0, v22
	v_mov_b32_e32 v5, 0
	s_and_not1_b32 s72, s72, exec_lo
	s_and_b32 s13, s13, exec_lo
	s_delay_alu instid0(SALU_CYCLE_1)
	s_or_b32 s72, s72, s13
	s_or_b32 exec_lo, exec_lo, s14
	s_and_saveexec_b32 s14, s72
	s_cbranch_execnz .LBB4_7192
	s_branch .LBB4_7193
.LBB4_7662:                             ;   in Loop: Header=BB4_7105 Depth=3
	s_or_saveexec_b32 s14, s14
	v_bfrev_b32_e32 v23, 1
	s_xor_b32 exec_lo, exec_lo, s14
	s_cbranch_execz .LBB4_7257
.LBB4_7663:                             ;   in Loop: Header=BB4_7105 Depth=3
	v_cmp_ne_u16_e64 s13, 0, v5
	v_mov_b32_e32 v23, 0
	s_and_not1_b32 s72, s72, exec_lo
	s_and_b32 s13, s13, exec_lo
	s_delay_alu instid0(SALU_CYCLE_1)
	s_or_b32 s72, s72, s13
	s_or_b32 exec_lo, exec_lo, s14
	v_mov_b32_e32 v5, v3
	s_and_saveexec_b32 s14, s72
	s_cbranch_execnz .LBB4_7258
	s_branch .LBB4_7259
.LBB4_7664:                             ;   in Loop: Header=BB4_7105 Depth=3
	s_or_saveexec_b32 s14, s14
	v_bfrev_b32_e32 v2, 1
	s_xor_b32 exec_lo, exec_lo, s14
	s_cbranch_execz .LBB4_7293
.LBB4_7665:                             ;   in Loop: Header=BB4_7105 Depth=3
	v_cmp_ne_u16_e64 s13, 0, v22
	v_mov_b32_e32 v2, 0
	s_and_not1_b32 s72, s72, exec_lo
	s_and_b32 s13, s13, exec_lo
	s_delay_alu instid0(SALU_CYCLE_1)
	s_or_b32 s72, s72, s13
	s_or_b32 exec_lo, exec_lo, s14
	s_and_saveexec_b32 s14, s72
	s_cbranch_execnz .LBB4_7294
	s_branch .LBB4_7295
.LBB4_7666:                             ;   in Loop: Header=BB4_7105 Depth=3
	s_or_saveexec_b32 s14, s14
	v_bfrev_b32_e32 v5, 1
	s_xor_b32 exec_lo, exec_lo, s14
	s_cbranch_execz .LBB4_7329
.LBB4_7667:                             ;   in Loop: Header=BB4_7105 Depth=3
	v_cmp_ne_u16_e64 s13, 0, v22
	v_mov_b32_e32 v5, 0
	s_and_not1_b32 s72, s72, exec_lo
	s_and_b32 s13, s13, exec_lo
	s_delay_alu instid0(SALU_CYCLE_1)
	s_or_b32 s72, s72, s13
	s_or_b32 exec_lo, exec_lo, s14
	s_and_saveexec_b32 s14, s72
	s_cbranch_execnz .LBB4_7330
	s_branch .LBB4_7331
.LBB4_7668:                             ;   in Loop: Header=BB4_7105 Depth=3
	s_or_saveexec_b32 s14, s14
	v_bfrev_b32_e32 v4, 1
	s_xor_b32 exec_lo, exec_lo, s14
	s_cbranch_execz .LBB4_7395
.LBB4_7669:                             ;   in Loop: Header=BB4_7105 Depth=3
	v_cmp_ne_u16_e64 s13, 0, v5
	v_mov_b32_e32 v4, 0
	s_and_not1_b32 s72, s72, exec_lo
	s_and_b32 s13, s13, exec_lo
	s_delay_alu instid0(SALU_CYCLE_1)
	s_or_b32 s72, s72, s13
	s_or_b32 exec_lo, exec_lo, s14
	s_and_saveexec_b32 s14, s72
	s_cbranch_execnz .LBB4_7396
	s_branch .LBB4_7397
.LBB4_7670:                             ;   in Loop: Header=BB4_7105 Depth=3
	s_or_saveexec_b32 s14, s14
	v_bfrev_b32_e32 v5, 1
	s_xor_b32 exec_lo, exec_lo, s14
	s_cbranch_execz .LBB4_7431
.LBB4_7671:                             ;   in Loop: Header=BB4_7105 Depth=3
	v_cmp_ne_u16_e64 s13, 0, v4
	v_mov_b32_e32 v5, 0
	s_and_not1_b32 s72, s72, exec_lo
	s_and_b32 s13, s13, exec_lo
	s_delay_alu instid0(SALU_CYCLE_1)
	s_or_b32 s72, s72, s13
	s_or_b32 exec_lo, exec_lo, s14
	s_and_saveexec_b32 s14, s72
	s_cbranch_execnz .LBB4_7432
	s_branch .LBB4_7433
.LBB4_7672:                             ;   in Loop: Header=BB4_7105 Depth=3
	s_or_saveexec_b32 s14, s14
	v_bfrev_b32_e32 v5, 1
	s_xor_b32 exec_lo, exec_lo, s14
	s_cbranch_execz .LBB4_7467
.LBB4_7673:                             ;   in Loop: Header=BB4_7105 Depth=3
	v_cmp_ne_u16_e64 s13, 0, v8
	v_mov_b32_e32 v5, 0
	s_and_not1_b32 s72, s72, exec_lo
	s_and_b32 s13, s13, exec_lo
	s_delay_alu instid0(SALU_CYCLE_1)
	s_or_b32 s72, s72, s13
	s_or_b32 exec_lo, exec_lo, s14
	s_and_saveexec_b32 s14, s72
	s_cbranch_execnz .LBB4_7468
	s_branch .LBB4_7469
.LBB4_7674:                             ;   in Loop: Header=BB4_7105 Depth=3
	s_or_saveexec_b32 s14, s14
	v_bfrev_b32_e32 v9, 1
	s_xor_b32 exec_lo, exec_lo, s14
	s_cbranch_execz .LBB4_7533
.LBB4_7675:                             ;   in Loop: Header=BB4_7105 Depth=3
	v_cmp_ne_u16_e64 s13, 0, v5
	v_mov_b32_e32 v9, 0
	s_and_not1_b32 s72, s72, exec_lo
	s_and_b32 s13, s13, exec_lo
	s_delay_alu instid0(SALU_CYCLE_1)
	s_or_b32 s72, s72, s13
	s_or_b32 exec_lo, exec_lo, s14
	v_mov_b32_e32 v5, v3
	s_and_saveexec_b32 s14, s72
	s_cbranch_execnz .LBB4_7534
	s_branch .LBB4_7535
.LBB4_7676:                             ;   in Loop: Header=BB4_7105 Depth=3
	s_or_saveexec_b32 s14, s14
	v_bfrev_b32_e32 v2, 1
	s_xor_b32 exec_lo, exec_lo, s14
	s_cbranch_execz .LBB4_7569
.LBB4_7677:                             ;   in Loop: Header=BB4_7105 Depth=3
	v_cmp_ne_u16_e64 s13, 0, v8
	v_mov_b32_e32 v2, 0
	s_and_not1_b32 s72, s72, exec_lo
	s_and_b32 s13, s13, exec_lo
	s_delay_alu instid0(SALU_CYCLE_1)
	s_or_b32 s72, s72, s13
	s_or_b32 exec_lo, exec_lo, s14
	s_and_saveexec_b32 s14, s72
	s_cbranch_execnz .LBB4_7570
	s_branch .LBB4_7571
.LBB4_7678:                             ;   in Loop: Header=BB4_7105 Depth=3
	s_or_saveexec_b32 s14, s14
	v_bfrev_b32_e32 v5, 1
	s_xor_b32 exec_lo, exec_lo, s14
	s_cbranch_execz .LBB4_7605
.LBB4_7679:                             ;   in Loop: Header=BB4_7105 Depth=3
	v_cmp_ne_u16_e64 s13, 0, v8
	v_mov_b32_e32 v5, 0
	s_and_not1_b32 s72, s72, exec_lo
	s_and_b32 s13, s13, exec_lo
	s_delay_alu instid0(SALU_CYCLE_1)
	s_or_b32 s72, s72, s13
	s_or_b32 exec_lo, exec_lo, s14
	s_and_saveexec_b32 s14, s72
	s_cbranch_execnz .LBB4_7606
	s_branch .LBB4_7607
.LBB4_7680:                             ;   in Loop: Header=BB4_3099 Depth=2
	s_or_b32 exec_lo, exec_lo, s43
.LBB4_7681:                             ;   in Loop: Header=BB4_3099 Depth=2
	s_delay_alu instid0(SALU_CYCLE_1) | instskip(SKIP_3) | instid1(VALU_DEP_1)
	s_or_b32 exec_lo, exec_lo, s42
	v_dual_mov_b32 v41, 0 :: v_dual_bitop2_b32 v4, 15, v88 bitop3:0x40
	s_mov_b32 s14, 0
	s_mov_b32 s42, exec_lo
                                        ; implicit-def: $vgpr122
                                        ; implicit-def: $vgpr2
	v_cndmask_b32_e32 v43, v29, v4, vcc_lo
	s_delay_alu instid0(VALU_DEP_1)
	v_cmpx_ne_u32_e32 0, v43
	s_cbranch_execz .LBB4_7683
; %bb.7682:                             ;   in Loop: Header=BB4_3099 Depth=2
	v_cmp_lt_i32_e64 s13, 0, v30
	s_mov_b32 s14, exec_lo
	v_sub_nc_u32_e32 v4, v29, v4
	v_cndmask_b32_e64 v2, 0, v52, s13
	s_delay_alu instid0(VALU_DEP_1) | instskip(NEXT) | instid1(VALU_DEP_1)
	v_dual_cndmask_b32 v4, 0, v4, vcc_lo :: v_dual_sub_nc_u32 v2, v2, v30
	v_add3_u32 v41, v26, v27, v4
	s_delay_alu instid0(VALU_DEP_2) | instskip(NEXT) | instid1(VALU_DEP_1)
	v_lshl_add_u32 v122, v2, 5, v28
	v_ashrrev_i32_e32 v2, 31, v122
	s_delay_alu instid0(VALU_DEP_1) | instskip(NEXT) | instid1(VALU_DEP_1)
	v_lshrrev_b32_e32 v2, 27, v2
	v_add_nc_u32_e32 v2, v122, v2
	s_delay_alu instid0(VALU_DEP_1)
	v_ashrrev_i32_e32 v2, 5, v2
.LBB4_7683:                             ;   in Loop: Header=BB4_3099 Depth=2
	s_or_b32 exec_lo, exec_lo, s42
	s_delay_alu instid0(SALU_CYCLE_1)
	s_and_b32 s13, s14, exec_lo
.LBB4_7684:                             ;   in Loop: Header=BB4_3099 Depth=2
	s_or_b32 exec_lo, exec_lo, s15
	s_and_saveexec_b32 s14, s13
	s_cbranch_execz .LBB4_8441
.LBB4_7685:                             ;   in Loop: Header=BB4_3099 Depth=2
	v_ashrrev_i32_e32 v4, 31, v43
	s_mov_b32 s15, exec_lo
	s_delay_alu instid0(VALU_DEP_1) | instskip(NEXT) | instid1(VALU_DEP_1)
	v_lshrrev_b32_e32 v4, 23, v4
	v_add_nc_u32_e32 v4, v43, v4
	s_delay_alu instid0(VALU_DEP_1) | instskip(NEXT) | instid1(VALU_DEP_1)
	v_ashrrev_i32_e32 v124, 9, v4
	v_sub_nc_u32_e32 v123, v124, v2
	s_delay_alu instid0(VALU_DEP_1)
	v_cmpx_lt_i32_e32 0, v123
	s_cbranch_execz .LBB4_8393
; %bb.7686:                             ;   in Loop: Header=BB4_3099 Depth=2
	v_dual_mov_b32 v125, v88 :: v_dual_ashrrev_i32 v4, 31, v122
	s_trap 2
	s_mov_b32 s42, 0
	s_delay_alu instid0(VALU_DEP_1) | instskip(NEXT) | instid1(VALU_DEP_1)
	v_dual_lshlrev_b32 v2, 9, v2 :: v_dual_lshrrev_b32 v4, 27, v4
	v_add_nc_u32_e32 v4, v122, v4
	s_delay_alu instid0(VALU_DEP_1) | instskip(SKIP_2) | instid1(VALU_DEP_1)
	v_and_b32_e32 v8, 0xffffffe0, v4
	ds_load_b64 v[4:5], v0
	v_sub_nc_u32_e32 v8, v122, v8
	v_add3_u32 v12, v41, v8, v2
	scratch_load_b64 v[8:9], off, s33 offset:224 th:TH_LOAD_LU ; 8-byte Folded Reload
	v_ashrrev_i32_e32 v13, 31, v12
	s_wait_dscnt 0x0
	s_delay_alu instid0(VALU_DEP_1) | instskip(SKIP_3) | instid1(VALU_DEP_2)
	v_add_nc_u64_e32 v[10:11], v[4:5], v[12:13]
	s_wait_loadcnt 0x0
	v_add_nc_u64_e32 v[14:15], 0x1e0, v[8:9]
	v_add_nc_u64_e32 v[8:9], v[12:13], v[56:57]
	v_add_nc_u64_e32 v[12:13], v[14:15], v[12:13]
	s_branch .LBB4_7689
.LBB4_7687:                             ;   in Loop: Header=BB4_7689 Depth=3
	s_or_b32 exec_lo, exec_lo, s43
.LBB4_7688:                             ;   in Loop: Header=BB4_7689 Depth=3
	s_delay_alu instid0(SALU_CYCLE_1)
	s_or_b32 exec_lo, exec_lo, s13
	v_sub_nc_u32_e32 v123, v123, v52
	s_clause 0xf
	flat_store_b8 v[12:13], v100 offset:-480 th:TH_STORE_NT
	flat_store_b8 v[12:13], v101 offset:-448 th:TH_STORE_NT
	;; [unrolled: 1-line block ×15, first 2 shown]
	flat_store_b8 v[12:13], v5 th:TH_STORE_NT
	v_add_nc_u64_e32 v[8:9], v[8:9], v[70:71]
	v_add_nc_u64_e32 v[10:11], v[10:11], v[70:71]
	v_cmp_gt_i32_e32 vcc_lo, 1, v123
	s_wait_xcnt 0x0
	v_add_nc_u64_e32 v[12:13], v[12:13], v[70:71]
	s_or_b32 s42, vcc_lo, s42
	s_delay_alu instid0(SALU_CYCLE_1)
	s_and_not1_b32 exec_lo, exec_lo, s42
	s_cbranch_execz .LBB4_8392
.LBB4_7689:                             ;   Parent Loop BB4_47 Depth=1
                                        ;     Parent Loop BB4_3099 Depth=2
                                        ; =>    This Inner Loop Header: Depth=3
	s_clause 0xf
	flat_load_i8 v120, v[8:9] th:TH_LOAD_NT
	flat_load_i8 v116, v[8:9] offset:32 th:TH_LOAD_NT
	flat_load_i8 v4, v[8:9] offset:64 th:TH_LOAD_NT
	;; [unrolled: 1-line block ×15, first 2 shown]
	s_clause 0xf
	flat_load_i8 v44, v[10:11] th:TH_LOAD_NT
	flat_load_i8 v66, v[10:11] offset:32 th:TH_LOAD_NT
	flat_load_i8 v84, v[10:11] offset:64 th:TH_LOAD_NT
	;; [unrolled: 1-line block ×15, first 2 shown]
	v_dual_mov_b32 v2, 0 :: v_dual_mov_b32 v5, 0
	s_mov_b32 s13, exec_lo
	s_wait_loadcnt_dscnt 0x1f1f
	s_wait_xcnt 0x0
	v_cmpx_ne_u16_e32 0, v120
	s_cbranch_execz .LBB4_7699
; %bb.7690:                             ;   in Loop: Header=BB4_7689 Depth=3
	v_bfrev_b32_e32 v5, 1
	s_mov_b32 s43, exec_lo
	v_cmpx_ne_u16_e32 0xff80, v120
	s_cbranch_execz .LBB4_7698
; %bb.7691:                             ;   in Loop: Header=BB4_7689 Depth=3
	v_and_b32_e32 v5, 0x7c, v120
	v_and_b32_e32 v15, 3, v120
	s_delay_alu instid0(VALU_DEP_2) | instskip(SKIP_1) | instid1(SALU_CYCLE_1)
	v_cmp_ne_u32_e32 vcc_lo, 0x7c, v5
                                        ; implicit-def: $vgpr5
	s_and_saveexec_b32 s72, vcc_lo
	s_xor_b32 s72, exec_lo, s72
	s_cbranch_execz .LBB4_7695
; %bb.7692:                             ;   in Loop: Header=BB4_7689 Depth=3
	v_and_b32_e32 v5, 0xff, v120
	s_mov_b32 s73, exec_lo
	s_delay_alu instid0(VALU_DEP_1) | instskip(NEXT) | instid1(VALU_DEP_1)
	v_bfe_u32 v5, v5, 2, 5
	v_cmpx_eq_u32_e32 0, v5
	s_cbranch_execz .LBB4_7694
; %bb.7693:                             ;   in Loop: Header=BB4_7689 Depth=3
	v_clz_i32_u32_e32 v5, v15
	s_delay_alu instid0(VALU_DEP_1) | instskip(SKIP_1) | instid1(VALU_DEP_2)
	v_min_u32_e32 v5, 32, v5
	v_mov_b32_e32 v121, v3
	v_subrev_nc_u32_e32 v15, 29, v5
	v_sub_nc_u32_e32 v5, 30, v5
	s_delay_alu instid0(VALU_DEP_2) | instskip(NEXT) | instid1(VALU_DEP_1)
	v_lshlrev_b64_e32 v[100:101], v15, v[120:121]
	v_and_b32_e32 v15, 3, v100
.LBB4_7694:                             ;   in Loop: Header=BB4_7689 Depth=3
	s_or_b32 exec_lo, exec_lo, s73
	v_bfe_i32 v17, v120, 0, 16
                                        ; implicit-def: $vgpr120
	s_delay_alu instid0(VALU_DEP_1) | instskip(NEXT) | instid1(VALU_DEP_1)
	v_and_b32_e32 v17, 0x80000000, v17
	v_lshl_add_u32 v5, v5, 23, v17
	s_delay_alu instid0(VALU_DEP_1) | instskip(NEXT) | instid1(VALU_DEP_1)
	v_lshl_or_b32 v5, v15, 21, v5
                                        ; implicit-def: $vgpr15
	v_add_nc_u32_e32 v5, 0x38000000, v5
.LBB4_7695:                             ;   in Loop: Header=BB4_7689 Depth=3
	s_and_not1_saveexec_b32 s72, s72
; %bb.7696:                             ;   in Loop: Header=BB4_7689 Depth=3
	v_cmp_lt_i16_e32 vcc_lo, -1, v120
	v_cndmask_b32_e32 v5, 0xff800000, v112, vcc_lo
	v_cmp_eq_u32_e32 vcc_lo, 0, v15
	s_delay_alu instid0(VALU_DEP_2)
	v_cndmask_b32_e32 v5, 0x7f800001, v5, vcc_lo
; %bb.7697:                             ;   in Loop: Header=BB4_7689 Depth=3
	s_or_b32 exec_lo, exec_lo, s72
.LBB4_7698:                             ;   in Loop: Header=BB4_7689 Depth=3
	s_delay_alu instid0(SALU_CYCLE_1)
	s_or_b32 exec_lo, exec_lo, s43
.LBB4_7699:                             ;   in Loop: Header=BB4_7689 Depth=3
	s_delay_alu instid0(SALU_CYCLE_1) | instskip(NEXT) | instid1(SALU_CYCLE_1)
	s_or_b32 exec_lo, exec_lo, s13
	s_mov_b32 s13, exec_lo
	s_wait_loadcnt_dscnt 0xf0f
	v_cmpx_ne_u16_e32 0, v44
	s_cbranch_execz .LBB4_7709
; %bb.7700:                             ;   in Loop: Header=BB4_7689 Depth=3
	v_bfrev_b32_e32 v2, 1
	s_mov_b32 s43, exec_lo
	v_cmpx_ne_u16_e32 0xff80, v44
	s_cbranch_execz .LBB4_7708
; %bb.7701:                             ;   in Loop: Header=BB4_7689 Depth=3
	v_and_b32_e32 v2, 0x7c, v44
	v_and_b32_e32 v15, 3, v44
	s_delay_alu instid0(VALU_DEP_2) | instskip(SKIP_1) | instid1(SALU_CYCLE_1)
	v_cmp_ne_u32_e32 vcc_lo, 0x7c, v2
                                        ; implicit-def: $vgpr2
	s_and_saveexec_b32 s72, vcc_lo
	s_xor_b32 s72, exec_lo, s72
	s_cbranch_execz .LBB4_7705
; %bb.7702:                             ;   in Loop: Header=BB4_7689 Depth=3
	v_and_b32_e32 v2, 0xff, v44
	s_mov_b32 s73, exec_lo
	s_delay_alu instid0(VALU_DEP_1) | instskip(NEXT) | instid1(VALU_DEP_1)
	v_bfe_u32 v2, v2, 2, 5
	v_cmpx_eq_u32_e32 0, v2
	s_cbranch_execz .LBB4_7704
; %bb.7703:                             ;   in Loop: Header=BB4_7689 Depth=3
	v_clz_i32_u32_e32 v2, v15
	s_delay_alu instid0(VALU_DEP_1) | instskip(SKIP_1) | instid1(VALU_DEP_2)
	v_min_u32_e32 v2, 32, v2
	v_mov_b32_e32 v45, v3
	v_subrev_nc_u32_e32 v15, 29, v2
	v_sub_nc_u32_e32 v2, 30, v2
	s_delay_alu instid0(VALU_DEP_2) | instskip(NEXT) | instid1(VALU_DEP_1)
	v_lshlrev_b64_e32 v[100:101], v15, v[44:45]
	v_and_b32_e32 v15, 3, v100
.LBB4_7704:                             ;   in Loop: Header=BB4_7689 Depth=3
	s_or_b32 exec_lo, exec_lo, s73
	v_bfe_i32 v17, v44, 0, 16
                                        ; implicit-def: $vgpr44
	s_delay_alu instid0(VALU_DEP_1) | instskip(NEXT) | instid1(VALU_DEP_1)
	v_and_b32_e32 v17, 0x80000000, v17
	v_lshl_add_u32 v2, v2, 23, v17
	s_delay_alu instid0(VALU_DEP_1) | instskip(NEXT) | instid1(VALU_DEP_1)
	v_lshl_or_b32 v2, v15, 21, v2
                                        ; implicit-def: $vgpr15
	v_add_nc_u32_e32 v2, 0x38000000, v2
.LBB4_7705:                             ;   in Loop: Header=BB4_7689 Depth=3
	s_and_not1_saveexec_b32 s72, s72
; %bb.7706:                             ;   in Loop: Header=BB4_7689 Depth=3
	v_cmp_lt_i16_e32 vcc_lo, -1, v44
	v_cndmask_b32_e32 v2, 0xff800000, v112, vcc_lo
	v_cmp_eq_u32_e32 vcc_lo, 0, v15
	s_delay_alu instid0(VALU_DEP_2)
	v_cndmask_b32_e32 v2, 0x7f800001, v2, vcc_lo
; %bb.7707:                             ;   in Loop: Header=BB4_7689 Depth=3
	s_or_b32 exec_lo, exec_lo, s72
.LBB4_7708:                             ;   in Loop: Header=BB4_7689 Depth=3
	s_delay_alu instid0(SALU_CYCLE_1)
	s_or_b32 exec_lo, exec_lo, s43
.LBB4_7709:                             ;   in Loop: Header=BB4_7689 Depth=3
	s_delay_alu instid0(SALU_CYCLE_1) | instskip(NEXT) | instid1(VALU_DEP_1)
	s_or_b32 exec_lo, exec_lo, s13
	v_dual_mul_f32 v15, v5, v2 :: v_dual_mov_b32 v101, v3
	s_delay_alu instid0(VALU_DEP_1) | instskip(SKIP_1) | instid1(VALU_DEP_2)
	v_and_b32_e32 v100, 0x7f800000, v15
	v_and_b32_e32 v2, 0x7fffff, v15
	v_cmp_ne_u64_e32 vcc_lo, 0x7f800000, v[100:101]
                                        ; implicit-def: $vgpr100
	s_and_saveexec_b32 s13, vcc_lo
	s_delay_alu instid0(SALU_CYCLE_1)
	s_xor_b32 s43, exec_lo, s13
	s_cbranch_execz .LBB4_7727
; %bb.7710:                             ;   in Loop: Header=BB4_7689 Depth=3
	v_and_b32_e32 v100, 0x7fffffff, v15
	v_dual_mov_b32 v101, v3 :: v_dual_lshrrev_b32 v5, 24, v15
	s_delay_alu instid0(VALU_DEP_1) | instskip(NEXT) | instid1(VALU_DEP_2)
	v_cmp_gt_u64_e32 vcc_lo, 0x47600001, v[100:101]
	v_and_b32_e32 v5, 0x80, v5
                                        ; implicit-def: $vgpr100
	s_and_saveexec_b32 s13, vcc_lo
	s_delay_alu instid0(SALU_CYCLE_1)
	s_xor_b32 s72, exec_lo, s13
	s_cbranch_execz .LBB4_7724
; %bb.7711:                             ;   in Loop: Header=BB4_7689 Depth=3
	v_mov_b32_e32 v100, 0
	s_mov_b32 s73, exec_lo
	v_cmpx_ne_u32_e32 0, v15
	s_cbranch_execz .LBB4_7723
; %bb.7712:                             ;   in Loop: Header=BB4_7689 Depth=3
	v_bfe_u32 v15, v15, 23, 8
	v_or_b32_e32 v19, 0x800000, v2
	v_mov_b32_e32 v101, v3
	s_delay_alu instid0(VALU_DEP_3) | instskip(SKIP_1) | instid1(VALU_DEP_4)
	v_cmp_eq_u32_e32 vcc_lo, 0, v15
	v_cmp_gt_u32_e64 s13, 0x72, v15
	v_dual_cndmask_b32 v100, v19, v2 :: v_dual_sub_nc_u32 v17, 0x71, v15
	s_delay_alu instid0(VALU_DEP_1) | instskip(NEXT) | instid1(VALU_DEP_1)
	v_cndmask_b32_e64 v17, 0, v17, s13
	v_cndmask_b32_e64 v17, v17, 0x70, vcc_lo
	s_delay_alu instid0(VALU_DEP_1) | instskip(NEXT) | instid1(VALU_DEP_1)
	v_add_nc_u32_e32 v2, 21, v17
	v_lshlrev_b64_e64 v[102:103], v2, -1
	v_add_nc_u32_e32 v2, 20, v17
	s_delay_alu instid0(VALU_DEP_1) | instskip(NEXT) | instid1(VALU_DEP_3)
	v_lshlrev_b64_e64 v[44:45], v2, 1
	v_bfi_b32 v103, v103, 0, 0
	s_delay_alu instid0(VALU_DEP_4) | instskip(NEXT) | instid1(VALU_DEP_1)
	v_bfi_b32 v102, v102, 0, v100
	v_cmp_eq_u64_e64 s13, v[102:103], v[44:45]
	v_lshrrev_b64 v[44:45], v17, v[100:101]
	s_delay_alu instid0(VALU_DEP_1)
	v_mov_b64_e32 v[120:121], v[44:45]
	s_and_saveexec_b32 s74, s13
; %bb.7713:                             ;   in Loop: Header=BB4_7689 Depth=3
	v_bfe_u32 v100, v44, 21, 1
	v_mov_b32_e32 v101, v3
	s_delay_alu instid0(VALU_DEP_1) | instskip(NEXT) | instid1(VALU_DEP_1)
	v_add_nc_u64_e32 v[100:101], v[44:45], v[100:101]
	v_add_nc_u64_e32 v[120:121], -1, v[100:101]
; %bb.7714:                             ;   in Loop: Header=BB4_7689 Depth=3
	s_or_b32 exec_lo, exec_lo, s74
	v_add_nc_u32_e32 v2, 0xffffff81, v15
	v_lshrrev_b32_e32 v15, 23, v44
	s_mov_b32 s13, exec_lo
	s_delay_alu instid0(VALU_DEP_2) | instskip(NEXT) | instid1(VALU_DEP_1)
	v_cndmask_b32_e64 v2, v2, 0xffffff82, vcc_lo
	v_add3_u32 v17, v17, v2, v15
	v_and_b32_e32 v2, 0x1fffff, v120
                                        ; implicit-def: $vgpr15
	s_delay_alu instid0(VALU_DEP_1) | instskip(NEXT) | instid1(VALU_DEP_1)
	v_dual_add_nc_u32 v19, 14, v17 :: v_dual_add_nc_u32 v2, v2, v44
                                        ; implicit-def: $vgpr44_vgpr45
	v_cmpx_ne_u32_e32 0, v19
	s_xor_b32 s13, exec_lo, s13
; %bb.7715:                             ;   in Loop: Header=BB4_7689 Depth=3
	s_delay_alu instid0(VALU_DEP_2) | instskip(SKIP_2) | instid1(VALU_DEP_2)
	v_cmp_lt_u64_e32 vcc_lo, 0xffffff, v[2:3]
	v_add_nc_u32_e32 v15, 15, v17
	v_cndmask_b32_e64 v17, 0, 1, vcc_lo
	v_cndmask_b32_e32 v15, v19, v15, vcc_lo
	s_delay_alu instid0(VALU_DEP_2)
	v_lshrrev_b64 v[44:45], v17, v[2:3]
; %bb.7716:                             ;   in Loop: Header=BB4_7689 Depth=3
	s_and_not1_saveexec_b32 s13, s13
; %bb.7717:                             ;   in Loop: Header=BB4_7689 Depth=3
	v_mov_b64_e32 v[44:45], v[2:3]
	v_bfe_u32 v15, v2, 23, 1
; %bb.7718:                             ;   in Loop: Header=BB4_7689 Depth=3
	s_or_b32 exec_lo, exec_lo, s13
	s_delay_alu instid0(VALU_DEP_2) | instskip(NEXT) | instid1(VALU_DEP_2)
	v_lshrrev_b64 v[100:101], 21, v[44:45]
	v_cmp_gt_i32_e32 vcc_lo, 32, v15
	v_cmp_ne_u32_e64 s13, 0, v15
	s_delay_alu instid0(VALU_DEP_3) | instskip(NEXT) | instid1(VALU_DEP_1)
	v_dual_cndmask_b32 v45, 0, v101 :: v_dual_cndmask_b32 v44, 3, v100
                                        ; implicit-def: $vgpr100
	v_cmp_ne_u64_e32 vcc_lo, 0, v[44:45]
	s_or_b32 s13, s13, vcc_lo
	s_delay_alu instid0(SALU_CYCLE_1) | instskip(NEXT) | instid1(SALU_CYCLE_1)
	s_and_saveexec_b32 s74, s13
	s_xor_b32 s13, exec_lo, s74
; %bb.7719:                             ;   in Loop: Header=BB4_7689 Depth=3
	v_min_i32_e32 v2, 31, v15
	s_delay_alu instid0(VALU_DEP_1) | instskip(NEXT) | instid1(VALU_DEP_1)
	v_lshl_or_b32 v2, v2, 2, v5
                                        ; implicit-def: $vgpr5
	v_and_or_b32 v100, v44, 3, v2
; %bb.7720:                             ;   in Loop: Header=BB4_7689 Depth=3
	s_and_not1_saveexec_b32 s13, s13
; %bb.7721:                             ;   in Loop: Header=BB4_7689 Depth=3
	v_mov_b32_e32 v100, v5
; %bb.7722:                             ;   in Loop: Header=BB4_7689 Depth=3
	s_or_b32 exec_lo, exec_lo, s13
.LBB4_7723:                             ;   in Loop: Header=BB4_7689 Depth=3
	s_delay_alu instid0(SALU_CYCLE_1)
	s_or_b32 exec_lo, exec_lo, s73
                                        ; implicit-def: $vgpr5
.LBB4_7724:                             ;   in Loop: Header=BB4_7689 Depth=3
	s_and_not1_saveexec_b32 s13, s72
; %bb.7725:                             ;   in Loop: Header=BB4_7689 Depth=3
	v_or_b32_e32 v100, 0x7b, v5
; %bb.7726:                             ;   in Loop: Header=BB4_7689 Depth=3
	s_or_b32 exec_lo, exec_lo, s13
                                        ; implicit-def: $vgpr15
.LBB4_7727:                             ;   in Loop: Header=BB4_7689 Depth=3
	s_and_not1_saveexec_b32 s13, s43
	s_cbranch_execz .LBB4_7733
; %bb.7728:                             ;   in Loop: Header=BB4_7689 Depth=3
	s_mov_b32 s43, exec_lo
                                        ; implicit-def: $vgpr100
	v_cmpx_ne_u64_e32 0, v[2:3]
	s_xor_b32 s43, exec_lo, s43
; %bb.7729:                             ;   in Loop: Header=BB4_7689 Depth=3
	v_lshrrev_b32_e32 v2, 24, v15
                                        ; implicit-def: $vgpr15
	s_delay_alu instid0(VALU_DEP_1)
	v_or_b32_e32 v100, 0x7f, v2
; %bb.7730:                             ;   in Loop: Header=BB4_7689 Depth=3
	s_and_not1_saveexec_b32 s43, s43
; %bb.7731:                             ;   in Loop: Header=BB4_7689 Depth=3
	v_cmp_lt_i32_e32 vcc_lo, -1, v15
	v_cndmask_b32_e64 v100, -4, 0x7c, vcc_lo
; %bb.7732:                             ;   in Loop: Header=BB4_7689 Depth=3
	s_or_b32 exec_lo, exec_lo, s43
.LBB4_7733:                             ;   in Loop: Header=BB4_7689 Depth=3
	s_delay_alu instid0(SALU_CYCLE_1)
	s_or_b32 exec_lo, exec_lo, s13
	v_dual_mov_b32 v2, 0 :: v_dual_mov_b32 v5, 0
	s_mov_b32 s13, exec_lo
	v_cmpx_ne_u16_e32 0, v116
	s_cbranch_execz .LBB4_7743
; %bb.7734:                             ;   in Loop: Header=BB4_7689 Depth=3
	v_bfrev_b32_e32 v5, 1
	s_mov_b32 s43, exec_lo
	v_cmpx_ne_u16_e32 0xff80, v116
	s_cbranch_execz .LBB4_7742
; %bb.7735:                             ;   in Loop: Header=BB4_7689 Depth=3
	v_and_b32_e32 v5, 0x7c, v116
	v_and_b32_e32 v15, 3, v116
	s_delay_alu instid0(VALU_DEP_2) | instskip(SKIP_1) | instid1(SALU_CYCLE_1)
	v_cmp_ne_u32_e32 vcc_lo, 0x7c, v5
                                        ; implicit-def: $vgpr5
	s_and_saveexec_b32 s72, vcc_lo
	s_xor_b32 s72, exec_lo, s72
	s_cbranch_execz .LBB4_7739
; %bb.7736:                             ;   in Loop: Header=BB4_7689 Depth=3
	v_and_b32_e32 v5, 0xff, v116
	s_mov_b32 s73, exec_lo
	s_delay_alu instid0(VALU_DEP_1) | instskip(NEXT) | instid1(VALU_DEP_1)
	v_bfe_u32 v5, v5, 2, 5
	v_cmpx_eq_u32_e32 0, v5
	s_cbranch_execz .LBB4_7738
; %bb.7737:                             ;   in Loop: Header=BB4_7689 Depth=3
	v_clz_i32_u32_e32 v5, v15
	s_delay_alu instid0(VALU_DEP_1) | instskip(SKIP_1) | instid1(VALU_DEP_2)
	v_min_u32_e32 v5, 32, v5
	v_mov_b32_e32 v117, v3
	v_subrev_nc_u32_e32 v15, 29, v5
	v_sub_nc_u32_e32 v5, 30, v5
	s_delay_alu instid0(VALU_DEP_2) | instskip(NEXT) | instid1(VALU_DEP_1)
	v_lshlrev_b64_e32 v[102:103], v15, v[116:117]
	v_and_b32_e32 v15, 3, v102
.LBB4_7738:                             ;   in Loop: Header=BB4_7689 Depth=3
	s_or_b32 exec_lo, exec_lo, s73
	v_bfe_i32 v17, v116, 0, 16
                                        ; implicit-def: $vgpr116
	s_delay_alu instid0(VALU_DEP_1) | instskip(NEXT) | instid1(VALU_DEP_1)
	v_and_b32_e32 v17, 0x80000000, v17
	v_lshl_add_u32 v5, v5, 23, v17
	s_delay_alu instid0(VALU_DEP_1) | instskip(NEXT) | instid1(VALU_DEP_1)
	v_lshl_or_b32 v5, v15, 21, v5
                                        ; implicit-def: $vgpr15
	v_add_nc_u32_e32 v5, 0x38000000, v5
.LBB4_7739:                             ;   in Loop: Header=BB4_7689 Depth=3
	s_and_not1_saveexec_b32 s72, s72
; %bb.7740:                             ;   in Loop: Header=BB4_7689 Depth=3
	v_cmp_lt_i16_e32 vcc_lo, -1, v116
	v_cndmask_b32_e32 v5, 0xff800000, v112, vcc_lo
	v_cmp_eq_u32_e32 vcc_lo, 0, v15
	s_delay_alu instid0(VALU_DEP_2)
	v_cndmask_b32_e32 v5, 0x7f800001, v5, vcc_lo
; %bb.7741:                             ;   in Loop: Header=BB4_7689 Depth=3
	s_or_b32 exec_lo, exec_lo, s72
.LBB4_7742:                             ;   in Loop: Header=BB4_7689 Depth=3
	s_delay_alu instid0(SALU_CYCLE_1)
	s_or_b32 exec_lo, exec_lo, s43
.LBB4_7743:                             ;   in Loop: Header=BB4_7689 Depth=3
	s_delay_alu instid0(SALU_CYCLE_1) | instskip(NEXT) | instid1(SALU_CYCLE_1)
	s_or_b32 exec_lo, exec_lo, s13
	s_mov_b32 s13, exec_lo
	s_wait_loadcnt_dscnt 0xe0e
	v_cmpx_ne_u16_e32 0, v66
	s_cbranch_execz .LBB4_7753
; %bb.7744:                             ;   in Loop: Header=BB4_7689 Depth=3
	v_bfrev_b32_e32 v2, 1
	s_mov_b32 s43, exec_lo
	v_cmpx_ne_u16_e32 0xff80, v66
	s_cbranch_execz .LBB4_7752
; %bb.7745:                             ;   in Loop: Header=BB4_7689 Depth=3
	v_and_b32_e32 v2, 0x7c, v66
	v_and_b32_e32 v15, 3, v66
	s_delay_alu instid0(VALU_DEP_2) | instskip(SKIP_1) | instid1(SALU_CYCLE_1)
	v_cmp_ne_u32_e32 vcc_lo, 0x7c, v2
                                        ; implicit-def: $vgpr2
	s_and_saveexec_b32 s72, vcc_lo
	s_xor_b32 s72, exec_lo, s72
	s_cbranch_execz .LBB4_7749
; %bb.7746:                             ;   in Loop: Header=BB4_7689 Depth=3
	v_and_b32_e32 v2, 0xff, v66
	s_mov_b32 s73, exec_lo
	s_delay_alu instid0(VALU_DEP_1) | instskip(NEXT) | instid1(VALU_DEP_1)
	v_bfe_u32 v2, v2, 2, 5
	v_cmpx_eq_u32_e32 0, v2
	s_cbranch_execz .LBB4_7748
; %bb.7747:                             ;   in Loop: Header=BB4_7689 Depth=3
	v_clz_i32_u32_e32 v2, v15
	s_delay_alu instid0(VALU_DEP_1) | instskip(SKIP_1) | instid1(VALU_DEP_2)
	v_min_u32_e32 v2, 32, v2
	v_mov_b32_e32 v67, v3
	v_subrev_nc_u32_e32 v15, 29, v2
	v_sub_nc_u32_e32 v2, 30, v2
	s_delay_alu instid0(VALU_DEP_2) | instskip(NEXT) | instid1(VALU_DEP_1)
	v_lshlrev_b64_e32 v[102:103], v15, v[66:67]
	v_and_b32_e32 v15, 3, v102
.LBB4_7748:                             ;   in Loop: Header=BB4_7689 Depth=3
	s_or_b32 exec_lo, exec_lo, s73
	v_bfe_i32 v17, v66, 0, 16
                                        ; implicit-def: $vgpr66
	s_delay_alu instid0(VALU_DEP_1) | instskip(NEXT) | instid1(VALU_DEP_1)
	v_and_b32_e32 v17, 0x80000000, v17
	v_lshl_add_u32 v2, v2, 23, v17
	s_delay_alu instid0(VALU_DEP_1) | instskip(NEXT) | instid1(VALU_DEP_1)
	v_lshl_or_b32 v2, v15, 21, v2
                                        ; implicit-def: $vgpr15
	v_add_nc_u32_e32 v2, 0x38000000, v2
.LBB4_7749:                             ;   in Loop: Header=BB4_7689 Depth=3
	s_and_not1_saveexec_b32 s72, s72
; %bb.7750:                             ;   in Loop: Header=BB4_7689 Depth=3
	v_cmp_lt_i16_e32 vcc_lo, -1, v66
	v_cndmask_b32_e32 v2, 0xff800000, v112, vcc_lo
	v_cmp_eq_u32_e32 vcc_lo, 0, v15
	s_delay_alu instid0(VALU_DEP_2)
	v_cndmask_b32_e32 v2, 0x7f800001, v2, vcc_lo
; %bb.7751:                             ;   in Loop: Header=BB4_7689 Depth=3
	s_or_b32 exec_lo, exec_lo, s72
.LBB4_7752:                             ;   in Loop: Header=BB4_7689 Depth=3
	s_delay_alu instid0(SALU_CYCLE_1)
	s_or_b32 exec_lo, exec_lo, s43
.LBB4_7753:                             ;   in Loop: Header=BB4_7689 Depth=3
	s_delay_alu instid0(SALU_CYCLE_1) | instskip(NEXT) | instid1(VALU_DEP_1)
	s_or_b32 exec_lo, exec_lo, s13
	v_dual_mul_f32 v15, v5, v2 :: v_dual_mov_b32 v67, v3
                                        ; implicit-def: $vgpr101
	s_mov_b32 s13, exec_lo
	s_delay_alu instid0(VALU_DEP_1) | instskip(SKIP_1) | instid1(VALU_DEP_2)
	v_and_b32_e32 v66, 0x7f800000, v15
	v_and_b32_e32 v2, 0x7fffff, v15
	v_cmpx_ne_u64_e32 0x7f800000, v[66:67]
	s_xor_b32 s43, exec_lo, s13
	s_cbranch_execz .LBB4_7771
; %bb.7754:                             ;   in Loop: Header=BB4_7689 Depth=3
	v_dual_mov_b32 v67, v3 :: v_dual_lshrrev_b32 v5, 24, v15
	v_and_b32_e32 v66, 0x7fffffff, v15
                                        ; implicit-def: $vgpr101
	s_mov_b32 s13, exec_lo
	s_delay_alu instid0(VALU_DEP_2) | instskip(NEXT) | instid1(VALU_DEP_2)
	v_and_b32_e32 v5, 0x80, v5
	v_cmpx_gt_u64_e32 0x47600001, v[66:67]
	s_xor_b32 s72, exec_lo, s13
	s_cbranch_execz .LBB4_7768
; %bb.7755:                             ;   in Loop: Header=BB4_7689 Depth=3
	v_mov_b32_e32 v101, 0
	s_mov_b32 s73, exec_lo
	v_cmpx_ne_u32_e32 0, v15
	s_cbranch_execz .LBB4_7767
; %bb.7756:                             ;   in Loop: Header=BB4_7689 Depth=3
	v_bfe_u32 v15, v15, 23, 8
	v_or_b32_e32 v19, 0x800000, v2
	v_mov_b32_e32 v67, v3
	s_delay_alu instid0(VALU_DEP_3) | instskip(SKIP_1) | instid1(VALU_DEP_4)
	v_cmp_eq_u32_e32 vcc_lo, 0, v15
	v_cmp_gt_u32_e64 s13, 0x72, v15
	v_dual_cndmask_b32 v66, v19, v2 :: v_dual_sub_nc_u32 v17, 0x71, v15
	s_delay_alu instid0(VALU_DEP_1) | instskip(NEXT) | instid1(VALU_DEP_1)
	v_cndmask_b32_e64 v17, 0, v17, s13
	v_cndmask_b32_e64 v17, v17, 0x70, vcc_lo
	s_delay_alu instid0(VALU_DEP_1) | instskip(NEXT) | instid1(VALU_DEP_1)
	v_add_nc_u32_e32 v2, 21, v17
	v_lshlrev_b64_e64 v[102:103], v2, -1
	v_add_nc_u32_e32 v2, 20, v17
	s_delay_alu instid0(VALU_DEP_1) | instskip(NEXT) | instid1(VALU_DEP_3)
	v_lshlrev_b64_e64 v[116:117], v2, 1
	v_bfi_b32 v102, v102, 0, v66
	v_lshrrev_b64 v[66:67], v17, v[66:67]
	v_bfi_b32 v103, v103, 0, 0
	s_delay_alu instid0(VALU_DEP_1) | instskip(NEXT) | instid1(VALU_DEP_3)
	v_cmp_eq_u64_e64 s13, v[102:103], v[116:117]
	v_mov_b64_e32 v[116:117], v[66:67]
	s_and_saveexec_b32 s74, s13
; %bb.7757:                             ;   in Loop: Header=BB4_7689 Depth=3
	v_bfe_u32 v102, v66, 21, 1
	v_mov_b32_e32 v103, v3
	s_delay_alu instid0(VALU_DEP_1) | instskip(NEXT) | instid1(VALU_DEP_1)
	v_add_nc_u64_e32 v[102:103], v[66:67], v[102:103]
	v_add_nc_u64_e32 v[116:117], -1, v[102:103]
; %bb.7758:                             ;   in Loop: Header=BB4_7689 Depth=3
	s_or_b32 exec_lo, exec_lo, s74
	v_add_nc_u32_e32 v2, 0xffffff81, v15
	v_lshrrev_b32_e32 v15, 23, v66
	s_mov_b32 s13, exec_lo
	s_delay_alu instid0(VALU_DEP_2) | instskip(NEXT) | instid1(VALU_DEP_1)
	v_cndmask_b32_e64 v2, v2, 0xffffff82, vcc_lo
	v_add3_u32 v17, v17, v2, v15
	v_and_b32_e32 v2, 0x1fffff, v116
                                        ; implicit-def: $vgpr15
	s_delay_alu instid0(VALU_DEP_1) | instskip(NEXT) | instid1(VALU_DEP_1)
	v_dual_add_nc_u32 v19, 14, v17 :: v_dual_add_nc_u32 v2, v2, v66
                                        ; implicit-def: $vgpr66_vgpr67
	v_cmpx_ne_u32_e32 0, v19
	s_xor_b32 s13, exec_lo, s13
; %bb.7759:                             ;   in Loop: Header=BB4_7689 Depth=3
	s_delay_alu instid0(VALU_DEP_2) | instskip(SKIP_2) | instid1(VALU_DEP_2)
	v_cmp_lt_u64_e32 vcc_lo, 0xffffff, v[2:3]
	v_add_nc_u32_e32 v15, 15, v17
	v_cndmask_b32_e64 v17, 0, 1, vcc_lo
	v_cndmask_b32_e32 v15, v19, v15, vcc_lo
	s_delay_alu instid0(VALU_DEP_2)
	v_lshrrev_b64 v[66:67], v17, v[2:3]
; %bb.7760:                             ;   in Loop: Header=BB4_7689 Depth=3
	s_and_not1_saveexec_b32 s13, s13
; %bb.7761:                             ;   in Loop: Header=BB4_7689 Depth=3
	v_mov_b64_e32 v[66:67], v[2:3]
	v_bfe_u32 v15, v2, 23, 1
; %bb.7762:                             ;   in Loop: Header=BB4_7689 Depth=3
	s_or_b32 exec_lo, exec_lo, s13
	s_delay_alu instid0(VALU_DEP_2) | instskip(NEXT) | instid1(VALU_DEP_2)
	v_lshrrev_b64 v[66:67], 21, v[66:67]
	v_cmp_gt_i32_e32 vcc_lo, 32, v15
	v_cmp_ne_u32_e64 s13, 0, v15
                                        ; implicit-def: $vgpr101
	s_delay_alu instid0(VALU_DEP_3) | instskip(NEXT) | instid1(VALU_DEP_1)
	v_dual_cndmask_b32 v67, 0, v67 :: v_dual_cndmask_b32 v66, 3, v66
	v_cmp_ne_u64_e32 vcc_lo, 0, v[66:67]
	s_or_b32 s13, s13, vcc_lo
	s_delay_alu instid0(SALU_CYCLE_1) | instskip(NEXT) | instid1(SALU_CYCLE_1)
	s_and_saveexec_b32 s74, s13
	s_xor_b32 s13, exec_lo, s74
; %bb.7763:                             ;   in Loop: Header=BB4_7689 Depth=3
	v_min_i32_e32 v2, 31, v15
	s_delay_alu instid0(VALU_DEP_1) | instskip(NEXT) | instid1(VALU_DEP_1)
	v_lshl_or_b32 v2, v2, 2, v5
                                        ; implicit-def: $vgpr5
	v_and_or_b32 v101, v66, 3, v2
; %bb.7764:                             ;   in Loop: Header=BB4_7689 Depth=3
	s_and_not1_saveexec_b32 s13, s13
; %bb.7765:                             ;   in Loop: Header=BB4_7689 Depth=3
	v_mov_b32_e32 v101, v5
; %bb.7766:                             ;   in Loop: Header=BB4_7689 Depth=3
	s_or_b32 exec_lo, exec_lo, s13
.LBB4_7767:                             ;   in Loop: Header=BB4_7689 Depth=3
	s_delay_alu instid0(SALU_CYCLE_1)
	s_or_b32 exec_lo, exec_lo, s73
                                        ; implicit-def: $vgpr5
.LBB4_7768:                             ;   in Loop: Header=BB4_7689 Depth=3
	s_and_not1_saveexec_b32 s13, s72
; %bb.7769:                             ;   in Loop: Header=BB4_7689 Depth=3
	v_or_b32_e32 v101, 0x7b, v5
; %bb.7770:                             ;   in Loop: Header=BB4_7689 Depth=3
	s_or_b32 exec_lo, exec_lo, s13
                                        ; implicit-def: $vgpr15
.LBB4_7771:                             ;   in Loop: Header=BB4_7689 Depth=3
	s_and_not1_saveexec_b32 s13, s43
	s_cbranch_execz .LBB4_7777
; %bb.7772:                             ;   in Loop: Header=BB4_7689 Depth=3
	s_mov_b32 s43, exec_lo
                                        ; implicit-def: $vgpr101
	v_cmpx_ne_u64_e32 0, v[2:3]
	s_xor_b32 s43, exec_lo, s43
; %bb.7773:                             ;   in Loop: Header=BB4_7689 Depth=3
	v_lshrrev_b32_e32 v2, 24, v15
                                        ; implicit-def: $vgpr15
	s_delay_alu instid0(VALU_DEP_1)
	v_or_b32_e32 v101, 0x7f, v2
; %bb.7774:                             ;   in Loop: Header=BB4_7689 Depth=3
	s_and_not1_saveexec_b32 s43, s43
; %bb.7775:                             ;   in Loop: Header=BB4_7689 Depth=3
	v_cmp_lt_i32_e32 vcc_lo, -1, v15
	v_cndmask_b32_e64 v101, -4, 0x7c, vcc_lo
; %bb.7776:                             ;   in Loop: Header=BB4_7689 Depth=3
	s_or_b32 exec_lo, exec_lo, s43
.LBB4_7777:                             ;   in Loop: Header=BB4_7689 Depth=3
	s_delay_alu instid0(SALU_CYCLE_1)
	s_or_b32 exec_lo, exec_lo, s13
	v_dual_mov_b32 v2, 0 :: v_dual_mov_b32 v5, 0
	s_mov_b32 s13, exec_lo
	v_cmpx_ne_u16_e32 0, v4
	s_cbranch_execz .LBB4_7787
; %bb.7778:                             ;   in Loop: Header=BB4_7689 Depth=3
	v_bfrev_b32_e32 v5, 1
	s_mov_b32 s43, exec_lo
	v_cmpx_ne_u16_e32 0xff80, v4
	s_cbranch_execz .LBB4_7786
; %bb.7779:                             ;   in Loop: Header=BB4_7689 Depth=3
	v_and_b32_e32 v5, 0x7c, v4
	v_and_b32_e32 v15, 3, v4
	s_delay_alu instid0(VALU_DEP_2) | instskip(SKIP_1) | instid1(SALU_CYCLE_1)
	v_cmp_ne_u32_e32 vcc_lo, 0x7c, v5
                                        ; implicit-def: $vgpr5
	s_and_saveexec_b32 s72, vcc_lo
	s_xor_b32 s72, exec_lo, s72
	s_cbranch_execz .LBB4_7783
; %bb.7780:                             ;   in Loop: Header=BB4_7689 Depth=3
	v_and_b32_e32 v5, 0xff, v4
	s_mov_b32 s73, exec_lo
	s_delay_alu instid0(VALU_DEP_1) | instskip(NEXT) | instid1(VALU_DEP_1)
	v_bfe_u32 v5, v5, 2, 5
	v_cmpx_eq_u32_e32 0, v5
; %bb.7781:                             ;   in Loop: Header=BB4_7689 Depth=3
	v_clz_i32_u32_e32 v5, v15
	s_delay_alu instid0(VALU_DEP_1) | instskip(SKIP_1) | instid1(VALU_DEP_2)
	v_min_u32_e32 v15, 32, v5
	v_mov_b32_e32 v5, v3
	v_subrev_nc_u32_e32 v17, 29, v15
	s_delay_alu instid0(VALU_DEP_1) | instskip(NEXT) | instid1(VALU_DEP_1)
	v_lshlrev_b64_e32 v[66:67], v17, v[4:5]
	v_dual_sub_nc_u32 v5, 30, v15 :: v_dual_bitop2_b32 v15, 3, v66 bitop3:0x40
; %bb.7782:                             ;   in Loop: Header=BB4_7689 Depth=3
	s_or_b32 exec_lo, exec_lo, s73
	v_bfe_i32 v4, v4, 0, 16
	s_delay_alu instid0(VALU_DEP_1) | instskip(NEXT) | instid1(VALU_DEP_1)
	v_and_b32_e32 v4, 0x80000000, v4
	v_lshl_add_u32 v4, v5, 23, v4
	s_delay_alu instid0(VALU_DEP_1) | instskip(NEXT) | instid1(VALU_DEP_1)
	v_lshl_or_b32 v4, v15, 21, v4
                                        ; implicit-def: $vgpr15
	v_add_nc_u32_e32 v5, 0x38000000, v4
                                        ; implicit-def: $vgpr4
.LBB4_7783:                             ;   in Loop: Header=BB4_7689 Depth=3
	s_and_not1_saveexec_b32 s72, s72
; %bb.7784:                             ;   in Loop: Header=BB4_7689 Depth=3
	v_cmp_lt_i16_e32 vcc_lo, -1, v4
	v_cndmask_b32_e32 v4, 0xff800000, v112, vcc_lo
	v_cmp_eq_u32_e32 vcc_lo, 0, v15
	s_delay_alu instid0(VALU_DEP_2)
	v_cndmask_b32_e32 v5, 0x7f800001, v4, vcc_lo
; %bb.7785:                             ;   in Loop: Header=BB4_7689 Depth=3
	s_or_b32 exec_lo, exec_lo, s72
.LBB4_7786:                             ;   in Loop: Header=BB4_7689 Depth=3
	s_delay_alu instid0(SALU_CYCLE_1)
	s_or_b32 exec_lo, exec_lo, s43
.LBB4_7787:                             ;   in Loop: Header=BB4_7689 Depth=3
	s_delay_alu instid0(SALU_CYCLE_1) | instskip(NEXT) | instid1(SALU_CYCLE_1)
	s_or_b32 exec_lo, exec_lo, s13
	s_mov_b32 s13, exec_lo
	s_wait_loadcnt_dscnt 0xd0d
	v_cmpx_ne_u16_e32 0, v84
	s_cbranch_execz .LBB4_7797
; %bb.7788:                             ;   in Loop: Header=BB4_7689 Depth=3
	v_bfrev_b32_e32 v2, 1
	s_mov_b32 s43, exec_lo
	v_cmpx_ne_u16_e32 0xff80, v84
	s_cbranch_execz .LBB4_7796
; %bb.7789:                             ;   in Loop: Header=BB4_7689 Depth=3
	v_and_b32_e32 v2, 0x7c, v84
	v_and_b32_e32 v4, 3, v84
	s_delay_alu instid0(VALU_DEP_2) | instskip(SKIP_1) | instid1(SALU_CYCLE_1)
	v_cmp_ne_u32_e32 vcc_lo, 0x7c, v2
                                        ; implicit-def: $vgpr2
	s_and_saveexec_b32 s72, vcc_lo
	s_xor_b32 s72, exec_lo, s72
	s_cbranch_execz .LBB4_7793
; %bb.7790:                             ;   in Loop: Header=BB4_7689 Depth=3
	v_and_b32_e32 v2, 0xff, v84
	s_mov_b32 s73, exec_lo
	s_delay_alu instid0(VALU_DEP_1) | instskip(NEXT) | instid1(VALU_DEP_1)
	v_bfe_u32 v2, v2, 2, 5
	v_cmpx_eq_u32_e32 0, v2
	s_cbranch_execz .LBB4_7792
; %bb.7791:                             ;   in Loop: Header=BB4_7689 Depth=3
	v_clz_i32_u32_e32 v2, v4
	s_delay_alu instid0(VALU_DEP_1) | instskip(SKIP_1) | instid1(VALU_DEP_2)
	v_min_u32_e32 v2, 32, v2
	v_mov_b32_e32 v85, v3
	v_subrev_nc_u32_e32 v4, 29, v2
	v_sub_nc_u32_e32 v2, 30, v2
	s_delay_alu instid0(VALU_DEP_2) | instskip(NEXT) | instid1(VALU_DEP_1)
	v_lshlrev_b64_e32 v[66:67], v4, v[84:85]
	v_and_b32_e32 v4, 3, v66
.LBB4_7792:                             ;   in Loop: Header=BB4_7689 Depth=3
	s_or_b32 exec_lo, exec_lo, s73
	v_bfe_i32 v15, v84, 0, 16
                                        ; implicit-def: $vgpr84
	s_delay_alu instid0(VALU_DEP_1) | instskip(NEXT) | instid1(VALU_DEP_1)
	v_and_b32_e32 v15, 0x80000000, v15
	v_lshl_add_u32 v2, v2, 23, v15
	s_delay_alu instid0(VALU_DEP_1) | instskip(NEXT) | instid1(VALU_DEP_1)
	v_lshl_or_b32 v2, v4, 21, v2
                                        ; implicit-def: $vgpr4
	v_add_nc_u32_e32 v2, 0x38000000, v2
.LBB4_7793:                             ;   in Loop: Header=BB4_7689 Depth=3
	s_and_not1_saveexec_b32 s72, s72
; %bb.7794:                             ;   in Loop: Header=BB4_7689 Depth=3
	v_cmp_lt_i16_e32 vcc_lo, -1, v84
	v_cndmask_b32_e32 v2, 0xff800000, v112, vcc_lo
	v_cmp_eq_u32_e32 vcc_lo, 0, v4
	s_delay_alu instid0(VALU_DEP_2)
	v_cndmask_b32_e32 v2, 0x7f800001, v2, vcc_lo
; %bb.7795:                             ;   in Loop: Header=BB4_7689 Depth=3
	s_or_b32 exec_lo, exec_lo, s72
.LBB4_7796:                             ;   in Loop: Header=BB4_7689 Depth=3
	s_delay_alu instid0(SALU_CYCLE_1)
	s_or_b32 exec_lo, exec_lo, s43
.LBB4_7797:                             ;   in Loop: Header=BB4_7689 Depth=3
	s_delay_alu instid0(SALU_CYCLE_1) | instskip(NEXT) | instid1(VALU_DEP_1)
	s_or_b32 exec_lo, exec_lo, s13
	v_dual_mul_f32 v4, v5, v2 :: v_dual_mov_b32 v67, v3
	s_delay_alu instid0(VALU_DEP_1) | instskip(SKIP_1) | instid1(VALU_DEP_2)
	v_and_b32_e32 v66, 0x7f800000, v4
	v_and_b32_e32 v2, 0x7fffff, v4
	v_cmp_ne_u64_e32 vcc_lo, 0x7f800000, v[66:67]
                                        ; implicit-def: $vgpr66
	s_and_saveexec_b32 s13, vcc_lo
	s_delay_alu instid0(SALU_CYCLE_1)
	s_xor_b32 s43, exec_lo, s13
	s_cbranch_execz .LBB4_7815
; %bb.7798:                             ;   in Loop: Header=BB4_7689 Depth=3
	v_and_b32_e32 v66, 0x7fffffff, v4
	v_dual_mov_b32 v67, v3 :: v_dual_lshrrev_b32 v5, 24, v4
	s_delay_alu instid0(VALU_DEP_1) | instskip(NEXT) | instid1(VALU_DEP_2)
	v_cmp_gt_u64_e32 vcc_lo, 0x47600001, v[66:67]
	v_and_b32_e32 v15, 0x80, v5
                                        ; implicit-def: $vgpr66
	s_and_saveexec_b32 s13, vcc_lo
	s_delay_alu instid0(SALU_CYCLE_1)
	s_xor_b32 s72, exec_lo, s13
	s_cbranch_execz .LBB4_7812
; %bb.7799:                             ;   in Loop: Header=BB4_7689 Depth=3
	v_mov_b32_e32 v66, 0
	s_mov_b32 s73, exec_lo
	v_cmpx_ne_u32_e32 0, v4
	s_cbranch_execz .LBB4_7811
; %bb.7800:                             ;   in Loop: Header=BB4_7689 Depth=3
	v_bfe_u32 v17, v4, 23, 8
	v_or_b32_e32 v21, 0x800000, v2
	s_mov_b32 s74, exec_lo
	s_delay_alu instid0(VALU_DEP_2) | instskip(SKIP_1) | instid1(VALU_DEP_2)
	v_dual_mov_b32 v67, v3 :: v_dual_sub_nc_u32 v4, 0x71, v17
	v_cmp_gt_u32_e32 vcc_lo, 0x72, v17
	v_cndmask_b32_e32 v4, 0, v4, vcc_lo
	v_cmp_eq_u32_e32 vcc_lo, 0, v17
	s_delay_alu instid0(VALU_DEP_2) | instskip(NEXT) | instid1(VALU_DEP_1)
	v_cndmask_b32_e64 v19, v4, 0x70, vcc_lo
	v_dual_cndmask_b32 v66, v21, v2, vcc_lo :: v_dual_add_nc_u32 v4, 21, v19
	v_add_nc_u32_e32 v23, 20, v19
	s_delay_alu instid0(VALU_DEP_2) | instskip(NEXT) | instid1(VALU_DEP_2)
	v_lshlrev_b64_e64 v[4:5], v4, -1
	v_lshlrev_b64_e64 v[84:85], v23, 1
	s_delay_alu instid0(VALU_DEP_2) | instskip(NEXT) | instid1(VALU_DEP_3)
	v_bfi_b32 v103, v5, 0, 0
	v_bfi_b32 v102, v4, 0, v66
	v_lshrrev_b64 v[4:5], v19, v[66:67]
	s_delay_alu instid0(VALU_DEP_1) | instskip(NEXT) | instid1(VALU_DEP_3)
	v_mov_b64_e32 v[66:67], v[4:5]
	v_cmpx_eq_u64_e64 v[102:103], v[84:85]
; %bb.7801:                             ;   in Loop: Header=BB4_7689 Depth=3
	v_bfe_u32 v66, v4, 21, 1
	v_mov_b32_e32 v67, v3
	s_delay_alu instid0(VALU_DEP_1) | instskip(NEXT) | instid1(VALU_DEP_1)
	v_add_nc_u64_e32 v[66:67], v[4:5], v[66:67]
	v_add_nc_u64_e32 v[66:67], -1, v[66:67]
; %bb.7802:                             ;   in Loop: Header=BB4_7689 Depth=3
	s_or_b32 exec_lo, exec_lo, s74
	v_add_nc_u32_e32 v2, 0xffffff81, v17
	v_lshrrev_b32_e32 v5, 23, v4
	s_mov_b32 s13, exec_lo
                                        ; implicit-def: $vgpr17
	s_delay_alu instid0(VALU_DEP_2) | instskip(NEXT) | instid1(VALU_DEP_1)
	v_cndmask_b32_e64 v2, v2, 0xffffff82, vcc_lo
	v_add3_u32 v19, v19, v2, v5
	v_and_b32_e32 v2, 0x1fffff, v66
	s_delay_alu instid0(VALU_DEP_1) | instskip(NEXT) | instid1(VALU_DEP_1)
	v_dual_add_nc_u32 v21, 14, v19 :: v_dual_add_nc_u32 v2, v2, v4
                                        ; implicit-def: $vgpr4_vgpr5
	v_cmpx_ne_u32_e32 0, v21
	s_xor_b32 s13, exec_lo, s13
; %bb.7803:                             ;   in Loop: Header=BB4_7689 Depth=3
	s_delay_alu instid0(VALU_DEP_2) | instskip(SKIP_1) | instid1(VALU_DEP_1)
	v_cmp_lt_u64_e32 vcc_lo, 0xffffff, v[2:3]
	v_add_nc_u32_e32 v4, 15, v19
	v_cndmask_b32_e32 v17, v21, v4, vcc_lo
	v_cndmask_b32_e64 v4, 0, 1, vcc_lo
	s_delay_alu instid0(VALU_DEP_1)
	v_lshrrev_b64 v[4:5], v4, v[2:3]
; %bb.7804:                             ;   in Loop: Header=BB4_7689 Depth=3
	s_and_not1_saveexec_b32 s13, s13
; %bb.7805:                             ;   in Loop: Header=BB4_7689 Depth=3
	v_mov_b64_e32 v[4:5], v[2:3]
	v_bfe_u32 v17, v2, 23, 1
; %bb.7806:                             ;   in Loop: Header=BB4_7689 Depth=3
	s_or_b32 exec_lo, exec_lo, s13
	s_delay_alu instid0(VALU_DEP_2) | instskip(NEXT) | instid1(VALU_DEP_2)
	v_lshrrev_b64 v[4:5], 21, v[4:5]
	v_cmp_gt_i32_e32 vcc_lo, 32, v17
	v_cmp_ne_u32_e64 s13, 0, v17
                                        ; implicit-def: $vgpr66
	s_delay_alu instid0(VALU_DEP_3) | instskip(NEXT) | instid1(VALU_DEP_1)
	v_dual_cndmask_b32 v5, 0, v5 :: v_dual_cndmask_b32 v4, 3, v4
	v_cmp_ne_u64_e32 vcc_lo, 0, v[4:5]
	s_or_b32 s13, s13, vcc_lo
	s_delay_alu instid0(SALU_CYCLE_1) | instskip(NEXT) | instid1(SALU_CYCLE_1)
	s_and_saveexec_b32 s74, s13
	s_xor_b32 s13, exec_lo, s74
; %bb.7807:                             ;   in Loop: Header=BB4_7689 Depth=3
	v_min_i32_e32 v2, 31, v17
	s_delay_alu instid0(VALU_DEP_1) | instskip(NEXT) | instid1(VALU_DEP_1)
	v_lshl_or_b32 v2, v2, 2, v15
                                        ; implicit-def: $vgpr15
	v_and_or_b32 v66, v4, 3, v2
; %bb.7808:                             ;   in Loop: Header=BB4_7689 Depth=3
	s_and_not1_saveexec_b32 s13, s13
; %bb.7809:                             ;   in Loop: Header=BB4_7689 Depth=3
	v_mov_b32_e32 v66, v15
; %bb.7810:                             ;   in Loop: Header=BB4_7689 Depth=3
	s_or_b32 exec_lo, exec_lo, s13
.LBB4_7811:                             ;   in Loop: Header=BB4_7689 Depth=3
	s_delay_alu instid0(SALU_CYCLE_1)
	s_or_b32 exec_lo, exec_lo, s73
                                        ; implicit-def: $vgpr15
.LBB4_7812:                             ;   in Loop: Header=BB4_7689 Depth=3
	s_and_not1_saveexec_b32 s13, s72
; %bb.7813:                             ;   in Loop: Header=BB4_7689 Depth=3
	v_or_b32_e32 v66, 0x7b, v15
; %bb.7814:                             ;   in Loop: Header=BB4_7689 Depth=3
	s_or_b32 exec_lo, exec_lo, s13
                                        ; implicit-def: $vgpr4
.LBB4_7815:                             ;   in Loop: Header=BB4_7689 Depth=3
	s_and_not1_saveexec_b32 s13, s43
	s_cbranch_execz .LBB4_7821
; %bb.7816:                             ;   in Loop: Header=BB4_7689 Depth=3
	s_mov_b32 s43, exec_lo
                                        ; implicit-def: $vgpr66
	v_cmpx_ne_u64_e32 0, v[2:3]
	s_xor_b32 s43, exec_lo, s43
; %bb.7817:                             ;   in Loop: Header=BB4_7689 Depth=3
	v_lshrrev_b32_e32 v2, 24, v4
                                        ; implicit-def: $vgpr4
	s_delay_alu instid0(VALU_DEP_1)
	v_or_b32_e32 v66, 0x7f, v2
; %bb.7818:                             ;   in Loop: Header=BB4_7689 Depth=3
	s_and_not1_saveexec_b32 s43, s43
; %bb.7819:                             ;   in Loop: Header=BB4_7689 Depth=3
	v_cmp_lt_i32_e32 vcc_lo, -1, v4
	v_cndmask_b32_e64 v66, -4, 0x7c, vcc_lo
; %bb.7820:                             ;   in Loop: Header=BB4_7689 Depth=3
	s_or_b32 exec_lo, exec_lo, s43
.LBB4_7821:                             ;   in Loop: Header=BB4_7689 Depth=3
	s_delay_alu instid0(SALU_CYCLE_1)
	s_or_b32 exec_lo, exec_lo, s13
	v_dual_mov_b32 v2, 0 :: v_dual_mov_b32 v4, 0
	s_mov_b32 s13, exec_lo
	v_cmpx_ne_u16_e32 0, v24
	s_cbranch_execz .LBB4_7831
; %bb.7822:                             ;   in Loop: Header=BB4_7689 Depth=3
	v_bfrev_b32_e32 v4, 1
	s_mov_b32 s43, exec_lo
	v_cmpx_ne_u16_e32 0xff80, v24
	s_cbranch_execz .LBB4_7830
; %bb.7823:                             ;   in Loop: Header=BB4_7689 Depth=3
	v_and_b32_e32 v4, 0x7c, v24
	v_and_b32_e32 v5, 3, v24
	s_delay_alu instid0(VALU_DEP_2) | instskip(SKIP_1) | instid1(SALU_CYCLE_1)
	v_cmp_ne_u32_e32 vcc_lo, 0x7c, v4
                                        ; implicit-def: $vgpr4
	s_and_saveexec_b32 s72, vcc_lo
	s_xor_b32 s72, exec_lo, s72
	s_cbranch_execz .LBB4_7827
; %bb.7824:                             ;   in Loop: Header=BB4_7689 Depth=3
	v_and_b32_e32 v4, 0xff, v24
	s_mov_b32 s73, exec_lo
	s_delay_alu instid0(VALU_DEP_1) | instskip(NEXT) | instid1(VALU_DEP_1)
	v_bfe_u32 v4, v4, 2, 5
	v_cmpx_eq_u32_e32 0, v4
	s_cbranch_execz .LBB4_7826
; %bb.7825:                             ;   in Loop: Header=BB4_7689 Depth=3
	v_clz_i32_u32_e32 v4, v5
	s_delay_alu instid0(VALU_DEP_1) | instskip(SKIP_1) | instid1(VALU_DEP_2)
	v_min_u32_e32 v4, 32, v4
	v_mov_b32_e32 v25, v3
	v_subrev_nc_u32_e32 v5, 29, v4
	v_sub_nc_u32_e32 v4, 30, v4
	s_delay_alu instid0(VALU_DEP_2) | instskip(NEXT) | instid1(VALU_DEP_1)
	v_lshlrev_b64_e32 v[84:85], v5, v[24:25]
	v_and_b32_e32 v5, 3, v84
.LBB4_7826:                             ;   in Loop: Header=BB4_7689 Depth=3
	s_or_b32 exec_lo, exec_lo, s73
	v_bfe_i32 v15, v24, 0, 16
                                        ; implicit-def: $vgpr24
	s_delay_alu instid0(VALU_DEP_1) | instskip(NEXT) | instid1(VALU_DEP_1)
	v_and_b32_e32 v15, 0x80000000, v15
	v_lshl_add_u32 v4, v4, 23, v15
	s_delay_alu instid0(VALU_DEP_1) | instskip(NEXT) | instid1(VALU_DEP_1)
	v_lshl_or_b32 v4, v5, 21, v4
                                        ; implicit-def: $vgpr5
	v_add_nc_u32_e32 v4, 0x38000000, v4
.LBB4_7827:                             ;   in Loop: Header=BB4_7689 Depth=3
	s_and_not1_saveexec_b32 s72, s72
; %bb.7828:                             ;   in Loop: Header=BB4_7689 Depth=3
	v_cmp_lt_i16_e32 vcc_lo, -1, v24
	v_cndmask_b32_e32 v4, 0xff800000, v112, vcc_lo
	v_cmp_eq_u32_e32 vcc_lo, 0, v5
	s_delay_alu instid0(VALU_DEP_2)
	v_cndmask_b32_e32 v4, 0x7f800001, v4, vcc_lo
; %bb.7829:                             ;   in Loop: Header=BB4_7689 Depth=3
	s_or_b32 exec_lo, exec_lo, s72
.LBB4_7830:                             ;   in Loop: Header=BB4_7689 Depth=3
	s_delay_alu instid0(SALU_CYCLE_1)
	s_or_b32 exec_lo, exec_lo, s43
.LBB4_7831:                             ;   in Loop: Header=BB4_7689 Depth=3
	s_delay_alu instid0(SALU_CYCLE_1) | instskip(NEXT) | instid1(SALU_CYCLE_1)
	s_or_b32 exec_lo, exec_lo, s13
	s_mov_b32 s13, exec_lo
	s_wait_loadcnt_dscnt 0xc0c
	v_cmpx_ne_u16_e32 0, v30
	s_cbranch_execz .LBB4_7841
; %bb.7832:                             ;   in Loop: Header=BB4_7689 Depth=3
	v_bfrev_b32_e32 v2, 1
	s_mov_b32 s43, exec_lo
	v_cmpx_ne_u16_e32 0xff80, v30
	s_cbranch_execz .LBB4_7840
; %bb.7833:                             ;   in Loop: Header=BB4_7689 Depth=3
	v_and_b32_e32 v2, 0x7c, v30
	v_and_b32_e32 v5, 3, v30
	s_delay_alu instid0(VALU_DEP_2) | instskip(SKIP_1) | instid1(SALU_CYCLE_1)
	v_cmp_ne_u32_e32 vcc_lo, 0x7c, v2
                                        ; implicit-def: $vgpr2
	s_and_saveexec_b32 s72, vcc_lo
	s_xor_b32 s72, exec_lo, s72
	s_cbranch_execz .LBB4_7837
; %bb.7834:                             ;   in Loop: Header=BB4_7689 Depth=3
	v_and_b32_e32 v2, 0xff, v30
	s_mov_b32 s73, exec_lo
	s_delay_alu instid0(VALU_DEP_1) | instskip(NEXT) | instid1(VALU_DEP_1)
	v_bfe_u32 v2, v2, 2, 5
	v_cmpx_eq_u32_e32 0, v2
	s_cbranch_execz .LBB4_7836
; %bb.7835:                             ;   in Loop: Header=BB4_7689 Depth=3
	v_clz_i32_u32_e32 v2, v5
	s_delay_alu instid0(VALU_DEP_1) | instskip(SKIP_1) | instid1(VALU_DEP_2)
	v_min_u32_e32 v2, 32, v2
	v_mov_b32_e32 v31, v3
	v_subrev_nc_u32_e32 v5, 29, v2
	v_sub_nc_u32_e32 v2, 30, v2
	s_delay_alu instid0(VALU_DEP_2) | instskip(NEXT) | instid1(VALU_DEP_1)
	v_lshlrev_b64_e32 v[24:25], v5, v[30:31]
	v_and_b32_e32 v5, 3, v24
.LBB4_7836:                             ;   in Loop: Header=BB4_7689 Depth=3
	s_or_b32 exec_lo, exec_lo, s73
	v_bfe_i32 v15, v30, 0, 16
                                        ; implicit-def: $vgpr30
	s_delay_alu instid0(VALU_DEP_1) | instskip(NEXT) | instid1(VALU_DEP_1)
	v_and_b32_e32 v15, 0x80000000, v15
	v_lshl_add_u32 v2, v2, 23, v15
	s_delay_alu instid0(VALU_DEP_1) | instskip(NEXT) | instid1(VALU_DEP_1)
	v_lshl_or_b32 v2, v5, 21, v2
                                        ; implicit-def: $vgpr5
	v_add_nc_u32_e32 v2, 0x38000000, v2
.LBB4_7837:                             ;   in Loop: Header=BB4_7689 Depth=3
	s_and_not1_saveexec_b32 s72, s72
; %bb.7838:                             ;   in Loop: Header=BB4_7689 Depth=3
	v_cmp_lt_i16_e32 vcc_lo, -1, v30
	v_cndmask_b32_e32 v2, 0xff800000, v112, vcc_lo
	v_cmp_eq_u32_e32 vcc_lo, 0, v5
	s_delay_alu instid0(VALU_DEP_2)
	v_cndmask_b32_e32 v2, 0x7f800001, v2, vcc_lo
; %bb.7839:                             ;   in Loop: Header=BB4_7689 Depth=3
	s_or_b32 exec_lo, exec_lo, s72
.LBB4_7840:                             ;   in Loop: Header=BB4_7689 Depth=3
	s_delay_alu instid0(SALU_CYCLE_1)
	s_or_b32 exec_lo, exec_lo, s43
.LBB4_7841:                             ;   in Loop: Header=BB4_7689 Depth=3
	s_delay_alu instid0(SALU_CYCLE_1) | instskip(NEXT) | instid1(VALU_DEP_1)
	s_or_b32 exec_lo, exec_lo, s13
	v_dual_mul_f32 v4, v4, v2 :: v_dual_mov_b32 v25, v3
                                        ; implicit-def: $vgpr30
	s_mov_b32 s13, exec_lo
	s_delay_alu instid0(VALU_DEP_1) | instskip(SKIP_1) | instid1(VALU_DEP_2)
	v_and_b32_e32 v24, 0x7f800000, v4
	v_and_b32_e32 v2, 0x7fffff, v4
	v_cmpx_ne_u64_e32 0x7f800000, v[24:25]
	s_xor_b32 s43, exec_lo, s13
	s_cbranch_execz .LBB4_7859
; %bb.7842:                             ;   in Loop: Header=BB4_7689 Depth=3
	v_dual_mov_b32 v25, v3 :: v_dual_lshrrev_b32 v5, 24, v4
	v_and_b32_e32 v24, 0x7fffffff, v4
                                        ; implicit-def: $vgpr30
	s_mov_b32 s13, exec_lo
	s_delay_alu instid0(VALU_DEP_2) | instskip(NEXT) | instid1(VALU_DEP_2)
	v_and_b32_e32 v15, 0x80, v5
	v_cmpx_gt_u64_e32 0x47600001, v[24:25]
	s_xor_b32 s72, exec_lo, s13
	s_cbranch_execz .LBB4_7856
; %bb.7843:                             ;   in Loop: Header=BB4_7689 Depth=3
	v_mov_b32_e32 v30, 0
	s_mov_b32 s73, exec_lo
	v_cmpx_ne_u32_e32 0, v4
	s_cbranch_execz .LBB4_7855
; %bb.7844:                             ;   in Loop: Header=BB4_7689 Depth=3
	v_bfe_u32 v17, v4, 23, 8
	v_or_b32_e32 v21, 0x800000, v2
	s_mov_b32 s74, exec_lo
	s_delay_alu instid0(VALU_DEP_2) | instskip(SKIP_1) | instid1(VALU_DEP_2)
	v_dual_mov_b32 v25, v3 :: v_dual_sub_nc_u32 v4, 0x71, v17
	v_cmp_gt_u32_e32 vcc_lo, 0x72, v17
	v_cndmask_b32_e32 v4, 0, v4, vcc_lo
	v_cmp_eq_u32_e32 vcc_lo, 0, v17
	s_delay_alu instid0(VALU_DEP_2) | instskip(NEXT) | instid1(VALU_DEP_1)
	v_cndmask_b32_e64 v19, v4, 0x70, vcc_lo
	v_dual_cndmask_b32 v24, v21, v2, vcc_lo :: v_dual_add_nc_u32 v4, 21, v19
	v_add_nc_u32_e32 v23, 20, v19
	s_delay_alu instid0(VALU_DEP_2) | instskip(NEXT) | instid1(VALU_DEP_2)
	v_lshlrev_b64_e64 v[4:5], v4, -1
	v_lshlrev_b64_e64 v[30:31], v23, 1
	s_delay_alu instid0(VALU_DEP_2) | instskip(NEXT) | instid1(VALU_DEP_3)
	v_bfi_b32 v85, v5, 0, 0
	v_bfi_b32 v84, v4, 0, v24
	v_lshrrev_b64 v[4:5], v19, v[24:25]
	s_delay_alu instid0(VALU_DEP_1) | instskip(NEXT) | instid1(VALU_DEP_3)
	v_mov_b64_e32 v[24:25], v[4:5]
	v_cmpx_eq_u64_e64 v[84:85], v[30:31]
; %bb.7845:                             ;   in Loop: Header=BB4_7689 Depth=3
	v_bfe_u32 v24, v4, 21, 1
	v_mov_b32_e32 v25, v3
	s_delay_alu instid0(VALU_DEP_1) | instskip(NEXT) | instid1(VALU_DEP_1)
	v_add_nc_u64_e32 v[24:25], v[4:5], v[24:25]
	v_add_nc_u64_e32 v[24:25], -1, v[24:25]
; %bb.7846:                             ;   in Loop: Header=BB4_7689 Depth=3
	s_or_b32 exec_lo, exec_lo, s74
	v_add_nc_u32_e32 v2, 0xffffff81, v17
	v_lshrrev_b32_e32 v5, 23, v4
	s_mov_b32 s13, exec_lo
                                        ; implicit-def: $vgpr17
	s_delay_alu instid0(VALU_DEP_2) | instskip(NEXT) | instid1(VALU_DEP_1)
	v_cndmask_b32_e64 v2, v2, 0xffffff82, vcc_lo
	v_add3_u32 v19, v19, v2, v5
	v_and_b32_e32 v2, 0x1fffff, v24
	s_delay_alu instid0(VALU_DEP_1) | instskip(NEXT) | instid1(VALU_DEP_1)
	v_dual_add_nc_u32 v21, 14, v19 :: v_dual_add_nc_u32 v2, v2, v4
                                        ; implicit-def: $vgpr4_vgpr5
	v_cmpx_ne_u32_e32 0, v21
	s_xor_b32 s13, exec_lo, s13
; %bb.7847:                             ;   in Loop: Header=BB4_7689 Depth=3
	s_delay_alu instid0(VALU_DEP_2) | instskip(SKIP_1) | instid1(VALU_DEP_1)
	v_cmp_lt_u64_e32 vcc_lo, 0xffffff, v[2:3]
	v_add_nc_u32_e32 v4, 15, v19
	v_cndmask_b32_e32 v17, v21, v4, vcc_lo
	v_cndmask_b32_e64 v4, 0, 1, vcc_lo
	s_delay_alu instid0(VALU_DEP_1)
	v_lshrrev_b64 v[4:5], v4, v[2:3]
; %bb.7848:                             ;   in Loop: Header=BB4_7689 Depth=3
	s_and_not1_saveexec_b32 s13, s13
; %bb.7849:                             ;   in Loop: Header=BB4_7689 Depth=3
	v_mov_b64_e32 v[4:5], v[2:3]
	v_bfe_u32 v17, v2, 23, 1
; %bb.7850:                             ;   in Loop: Header=BB4_7689 Depth=3
	s_or_b32 exec_lo, exec_lo, s13
	s_delay_alu instid0(VALU_DEP_2) | instskip(NEXT) | instid1(VALU_DEP_2)
	v_lshrrev_b64 v[4:5], 21, v[4:5]
	v_cmp_gt_i32_e32 vcc_lo, 32, v17
	v_cmp_ne_u32_e64 s13, 0, v17
                                        ; implicit-def: $vgpr30
	s_delay_alu instid0(VALU_DEP_3) | instskip(NEXT) | instid1(VALU_DEP_1)
	v_dual_cndmask_b32 v5, 0, v5 :: v_dual_cndmask_b32 v4, 3, v4
	v_cmp_ne_u64_e32 vcc_lo, 0, v[4:5]
	s_or_b32 s13, s13, vcc_lo
	s_delay_alu instid0(SALU_CYCLE_1) | instskip(NEXT) | instid1(SALU_CYCLE_1)
	s_and_saveexec_b32 s74, s13
	s_xor_b32 s13, exec_lo, s74
; %bb.7851:                             ;   in Loop: Header=BB4_7689 Depth=3
	v_min_i32_e32 v2, 31, v17
	s_delay_alu instid0(VALU_DEP_1) | instskip(NEXT) | instid1(VALU_DEP_1)
	v_lshl_or_b32 v2, v2, 2, v15
                                        ; implicit-def: $vgpr15
	v_and_or_b32 v30, v4, 3, v2
; %bb.7852:                             ;   in Loop: Header=BB4_7689 Depth=3
	s_and_not1_saveexec_b32 s13, s13
; %bb.7853:                             ;   in Loop: Header=BB4_7689 Depth=3
	v_mov_b32_e32 v30, v15
; %bb.7854:                             ;   in Loop: Header=BB4_7689 Depth=3
	s_or_b32 exec_lo, exec_lo, s13
.LBB4_7855:                             ;   in Loop: Header=BB4_7689 Depth=3
	s_delay_alu instid0(SALU_CYCLE_1)
	s_or_b32 exec_lo, exec_lo, s73
                                        ; implicit-def: $vgpr15
.LBB4_7856:                             ;   in Loop: Header=BB4_7689 Depth=3
	s_and_not1_saveexec_b32 s13, s72
; %bb.7857:                             ;   in Loop: Header=BB4_7689 Depth=3
	v_or_b32_e32 v30, 0x7b, v15
; %bb.7858:                             ;   in Loop: Header=BB4_7689 Depth=3
	s_or_b32 exec_lo, exec_lo, s13
                                        ; implicit-def: $vgpr4
.LBB4_7859:                             ;   in Loop: Header=BB4_7689 Depth=3
	s_and_not1_saveexec_b32 s13, s43
	s_cbranch_execz .LBB4_7865
; %bb.7860:                             ;   in Loop: Header=BB4_7689 Depth=3
	s_mov_b32 s43, exec_lo
                                        ; implicit-def: $vgpr30
	v_cmpx_ne_u64_e32 0, v[2:3]
	s_xor_b32 s43, exec_lo, s43
; %bb.7861:                             ;   in Loop: Header=BB4_7689 Depth=3
	v_lshrrev_b32_e32 v2, 24, v4
                                        ; implicit-def: $vgpr4
	s_delay_alu instid0(VALU_DEP_1)
	v_or_b32_e32 v30, 0x7f, v2
; %bb.7862:                             ;   in Loop: Header=BB4_7689 Depth=3
	s_and_not1_saveexec_b32 s43, s43
; %bb.7863:                             ;   in Loop: Header=BB4_7689 Depth=3
	v_cmp_lt_i32_e32 vcc_lo, -1, v4
	v_cndmask_b32_e64 v30, -4, 0x7c, vcc_lo
; %bb.7864:                             ;   in Loop: Header=BB4_7689 Depth=3
	s_or_b32 exec_lo, exec_lo, s43
.LBB4_7865:                             ;   in Loop: Header=BB4_7689 Depth=3
	s_delay_alu instid0(SALU_CYCLE_1)
	s_or_b32 exec_lo, exec_lo, s13
	v_dual_mov_b32 v2, 0 :: v_dual_mov_b32 v4, 0
	s_mov_b32 s13, exec_lo
	v_cmpx_ne_u16_e32 0, v28
	s_cbranch_execz .LBB4_7875
; %bb.7866:                             ;   in Loop: Header=BB4_7689 Depth=3
	v_bfrev_b32_e32 v4, 1
	s_mov_b32 s43, exec_lo
	v_cmpx_ne_u16_e32 0xff80, v28
	s_cbranch_execz .LBB4_7874
; %bb.7867:                             ;   in Loop: Header=BB4_7689 Depth=3
	v_and_b32_e32 v4, 0x7c, v28
	v_and_b32_e32 v5, 3, v28
	s_delay_alu instid0(VALU_DEP_2) | instskip(SKIP_1) | instid1(SALU_CYCLE_1)
	v_cmp_ne_u32_e32 vcc_lo, 0x7c, v4
                                        ; implicit-def: $vgpr4
	s_and_saveexec_b32 s72, vcc_lo
	s_xor_b32 s72, exec_lo, s72
	s_cbranch_execz .LBB4_7871
; %bb.7868:                             ;   in Loop: Header=BB4_7689 Depth=3
	v_and_b32_e32 v4, 0xff, v28
	s_mov_b32 s73, exec_lo
	s_delay_alu instid0(VALU_DEP_1) | instskip(NEXT) | instid1(VALU_DEP_1)
	v_bfe_u32 v4, v4, 2, 5
	v_cmpx_eq_u32_e32 0, v4
	s_cbranch_execz .LBB4_7870
; %bb.7869:                             ;   in Loop: Header=BB4_7689 Depth=3
	v_clz_i32_u32_e32 v4, v5
	s_delay_alu instid0(VALU_DEP_1) | instskip(SKIP_1) | instid1(VALU_DEP_2)
	v_min_u32_e32 v4, 32, v4
	v_mov_b32_e32 v29, v3
	v_subrev_nc_u32_e32 v5, 29, v4
	v_sub_nc_u32_e32 v4, 30, v4
	s_delay_alu instid0(VALU_DEP_2) | instskip(NEXT) | instid1(VALU_DEP_1)
	v_lshlrev_b64_e32 v[24:25], v5, v[28:29]
	v_and_b32_e32 v5, 3, v24
.LBB4_7870:                             ;   in Loop: Header=BB4_7689 Depth=3
	s_or_b32 exec_lo, exec_lo, s73
	v_bfe_i32 v15, v28, 0, 16
                                        ; implicit-def: $vgpr28
	s_delay_alu instid0(VALU_DEP_1) | instskip(NEXT) | instid1(VALU_DEP_1)
	v_and_b32_e32 v15, 0x80000000, v15
	v_lshl_add_u32 v4, v4, 23, v15
	s_delay_alu instid0(VALU_DEP_1) | instskip(NEXT) | instid1(VALU_DEP_1)
	v_lshl_or_b32 v4, v5, 21, v4
                                        ; implicit-def: $vgpr5
	v_add_nc_u32_e32 v4, 0x38000000, v4
.LBB4_7871:                             ;   in Loop: Header=BB4_7689 Depth=3
	s_and_not1_saveexec_b32 s72, s72
; %bb.7872:                             ;   in Loop: Header=BB4_7689 Depth=3
	v_cmp_lt_i16_e32 vcc_lo, -1, v28
	v_cndmask_b32_e32 v4, 0xff800000, v112, vcc_lo
	v_cmp_eq_u32_e32 vcc_lo, 0, v5
	s_delay_alu instid0(VALU_DEP_2)
	v_cndmask_b32_e32 v4, 0x7f800001, v4, vcc_lo
; %bb.7873:                             ;   in Loop: Header=BB4_7689 Depth=3
	s_or_b32 exec_lo, exec_lo, s72
.LBB4_7874:                             ;   in Loop: Header=BB4_7689 Depth=3
	s_delay_alu instid0(SALU_CYCLE_1)
	s_or_b32 exec_lo, exec_lo, s43
.LBB4_7875:                             ;   in Loop: Header=BB4_7689 Depth=3
	s_delay_alu instid0(SALU_CYCLE_1) | instskip(NEXT) | instid1(SALU_CYCLE_1)
	s_or_b32 exec_lo, exec_lo, s13
	s_mov_b32 s13, exec_lo
	s_wait_loadcnt_dscnt 0xb0b
	v_cmpx_ne_u16_e32 0, v26
	s_cbranch_execz .LBB4_7885
; %bb.7876:                             ;   in Loop: Header=BB4_7689 Depth=3
	v_bfrev_b32_e32 v2, 1
	s_mov_b32 s43, exec_lo
	v_cmpx_ne_u16_e32 0xff80, v26
	s_cbranch_execz .LBB4_7884
; %bb.7877:                             ;   in Loop: Header=BB4_7689 Depth=3
	v_and_b32_e32 v2, 0x7c, v26
	v_and_b32_e32 v5, 3, v26
	s_delay_alu instid0(VALU_DEP_2) | instskip(SKIP_1) | instid1(SALU_CYCLE_1)
	v_cmp_ne_u32_e32 vcc_lo, 0x7c, v2
                                        ; implicit-def: $vgpr2
	s_and_saveexec_b32 s72, vcc_lo
	s_xor_b32 s72, exec_lo, s72
	s_cbranch_execz .LBB4_7881
; %bb.7878:                             ;   in Loop: Header=BB4_7689 Depth=3
	v_and_b32_e32 v2, 0xff, v26
	s_mov_b32 s73, exec_lo
	s_delay_alu instid0(VALU_DEP_1) | instskip(NEXT) | instid1(VALU_DEP_1)
	v_bfe_u32 v2, v2, 2, 5
	v_cmpx_eq_u32_e32 0, v2
	s_cbranch_execz .LBB4_7880
; %bb.7879:                             ;   in Loop: Header=BB4_7689 Depth=3
	v_clz_i32_u32_e32 v2, v5
	s_delay_alu instid0(VALU_DEP_1) | instskip(SKIP_1) | instid1(VALU_DEP_2)
	v_min_u32_e32 v2, 32, v2
	v_mov_b32_e32 v27, v3
	v_subrev_nc_u32_e32 v5, 29, v2
	v_sub_nc_u32_e32 v2, 30, v2
	s_delay_alu instid0(VALU_DEP_2) | instskip(NEXT) | instid1(VALU_DEP_1)
	v_lshlrev_b64_e32 v[24:25], v5, v[26:27]
	v_and_b32_e32 v5, 3, v24
.LBB4_7880:                             ;   in Loop: Header=BB4_7689 Depth=3
	s_or_b32 exec_lo, exec_lo, s73
	v_bfe_i32 v15, v26, 0, 16
                                        ; implicit-def: $vgpr26
	s_delay_alu instid0(VALU_DEP_1) | instskip(NEXT) | instid1(VALU_DEP_1)
	v_and_b32_e32 v15, 0x80000000, v15
	v_lshl_add_u32 v2, v2, 23, v15
	s_delay_alu instid0(VALU_DEP_1) | instskip(NEXT) | instid1(VALU_DEP_1)
	v_lshl_or_b32 v2, v5, 21, v2
                                        ; implicit-def: $vgpr5
	v_add_nc_u32_e32 v2, 0x38000000, v2
.LBB4_7881:                             ;   in Loop: Header=BB4_7689 Depth=3
	s_and_not1_saveexec_b32 s72, s72
; %bb.7882:                             ;   in Loop: Header=BB4_7689 Depth=3
	v_cmp_lt_i16_e32 vcc_lo, -1, v26
	v_cndmask_b32_e32 v2, 0xff800000, v112, vcc_lo
	v_cmp_eq_u32_e32 vcc_lo, 0, v5
	s_delay_alu instid0(VALU_DEP_2)
	v_cndmask_b32_e32 v2, 0x7f800001, v2, vcc_lo
; %bb.7883:                             ;   in Loop: Header=BB4_7689 Depth=3
	s_or_b32 exec_lo, exec_lo, s72
.LBB4_7884:                             ;   in Loop: Header=BB4_7689 Depth=3
	s_delay_alu instid0(SALU_CYCLE_1)
	s_or_b32 exec_lo, exec_lo, s43
.LBB4_7885:                             ;   in Loop: Header=BB4_7689 Depth=3
	s_delay_alu instid0(SALU_CYCLE_1) | instskip(NEXT) | instid1(VALU_DEP_1)
	s_or_b32 exec_lo, exec_lo, s13
	v_dual_mul_f32 v4, v4, v2 :: v_dual_mov_b32 v25, v3
                                        ; implicit-def: $vgpr26
	s_mov_b32 s13, exec_lo
	s_delay_alu instid0(VALU_DEP_1) | instskip(SKIP_1) | instid1(VALU_DEP_2)
	v_and_b32_e32 v24, 0x7f800000, v4
	v_and_b32_e32 v2, 0x7fffff, v4
	v_cmpx_ne_u64_e32 0x7f800000, v[24:25]
	s_xor_b32 s43, exec_lo, s13
	s_cbranch_execz .LBB4_7903
; %bb.7886:                             ;   in Loop: Header=BB4_7689 Depth=3
	v_dual_mov_b32 v25, v3 :: v_dual_lshrrev_b32 v5, 24, v4
	v_and_b32_e32 v24, 0x7fffffff, v4
                                        ; implicit-def: $vgpr26
	s_mov_b32 s13, exec_lo
	s_delay_alu instid0(VALU_DEP_2) | instskip(NEXT) | instid1(VALU_DEP_2)
	v_and_b32_e32 v15, 0x80, v5
	v_cmpx_gt_u64_e32 0x47600001, v[24:25]
	s_xor_b32 s72, exec_lo, s13
	s_cbranch_execz .LBB4_7900
; %bb.7887:                             ;   in Loop: Header=BB4_7689 Depth=3
	v_mov_b32_e32 v26, 0
	s_mov_b32 s73, exec_lo
	v_cmpx_ne_u32_e32 0, v4
	s_cbranch_execz .LBB4_7899
; %bb.7888:                             ;   in Loop: Header=BB4_7689 Depth=3
	v_bfe_u32 v17, v4, 23, 8
	v_or_b32_e32 v21, 0x800000, v2
	s_mov_b32 s74, exec_lo
	s_delay_alu instid0(VALU_DEP_2) | instskip(SKIP_1) | instid1(VALU_DEP_2)
	v_dual_mov_b32 v25, v3 :: v_dual_sub_nc_u32 v4, 0x71, v17
	v_cmp_gt_u32_e32 vcc_lo, 0x72, v17
	v_cndmask_b32_e32 v4, 0, v4, vcc_lo
	v_cmp_eq_u32_e32 vcc_lo, 0, v17
	s_delay_alu instid0(VALU_DEP_2) | instskip(NEXT) | instid1(VALU_DEP_1)
	v_cndmask_b32_e64 v19, v4, 0x70, vcc_lo
	v_dual_cndmask_b32 v24, v21, v2, vcc_lo :: v_dual_add_nc_u32 v4, 21, v19
	v_add_nc_u32_e32 v23, 20, v19
	s_delay_alu instid0(VALU_DEP_2) | instskip(NEXT) | instid1(VALU_DEP_2)
	v_lshlrev_b64_e64 v[4:5], v4, -1
	v_lshlrev_b64_e64 v[26:27], v23, 1
	s_delay_alu instid0(VALU_DEP_2) | instskip(NEXT) | instid1(VALU_DEP_3)
	v_bfi_b32 v29, v5, 0, 0
	v_bfi_b32 v28, v4, 0, v24
	v_lshrrev_b64 v[4:5], v19, v[24:25]
	s_delay_alu instid0(VALU_DEP_1) | instskip(NEXT) | instid1(VALU_DEP_3)
	v_mov_b64_e32 v[24:25], v[4:5]
	v_cmpx_eq_u64_e64 v[28:29], v[26:27]
; %bb.7889:                             ;   in Loop: Header=BB4_7689 Depth=3
	v_bfe_u32 v24, v4, 21, 1
	v_mov_b32_e32 v25, v3
	s_delay_alu instid0(VALU_DEP_1) | instskip(NEXT) | instid1(VALU_DEP_1)
	v_add_nc_u64_e32 v[24:25], v[4:5], v[24:25]
	v_add_nc_u64_e32 v[24:25], -1, v[24:25]
; %bb.7890:                             ;   in Loop: Header=BB4_7689 Depth=3
	s_or_b32 exec_lo, exec_lo, s74
	v_add_nc_u32_e32 v2, 0xffffff81, v17
	v_lshrrev_b32_e32 v5, 23, v4
	s_mov_b32 s13, exec_lo
                                        ; implicit-def: $vgpr17
	s_delay_alu instid0(VALU_DEP_2) | instskip(NEXT) | instid1(VALU_DEP_1)
	v_cndmask_b32_e64 v2, v2, 0xffffff82, vcc_lo
	v_add3_u32 v19, v19, v2, v5
	v_and_b32_e32 v2, 0x1fffff, v24
	s_delay_alu instid0(VALU_DEP_1) | instskip(NEXT) | instid1(VALU_DEP_1)
	v_dual_add_nc_u32 v21, 14, v19 :: v_dual_add_nc_u32 v2, v2, v4
                                        ; implicit-def: $vgpr4_vgpr5
	v_cmpx_ne_u32_e32 0, v21
	s_xor_b32 s13, exec_lo, s13
; %bb.7891:                             ;   in Loop: Header=BB4_7689 Depth=3
	s_delay_alu instid0(VALU_DEP_2) | instskip(SKIP_1) | instid1(VALU_DEP_1)
	v_cmp_lt_u64_e32 vcc_lo, 0xffffff, v[2:3]
	v_add_nc_u32_e32 v4, 15, v19
	v_cndmask_b32_e32 v17, v21, v4, vcc_lo
	v_cndmask_b32_e64 v4, 0, 1, vcc_lo
	s_delay_alu instid0(VALU_DEP_1)
	v_lshrrev_b64 v[4:5], v4, v[2:3]
; %bb.7892:                             ;   in Loop: Header=BB4_7689 Depth=3
	s_and_not1_saveexec_b32 s13, s13
; %bb.7893:                             ;   in Loop: Header=BB4_7689 Depth=3
	v_mov_b64_e32 v[4:5], v[2:3]
	v_bfe_u32 v17, v2, 23, 1
; %bb.7894:                             ;   in Loop: Header=BB4_7689 Depth=3
	s_or_b32 exec_lo, exec_lo, s13
	s_delay_alu instid0(VALU_DEP_2) | instskip(NEXT) | instid1(VALU_DEP_2)
	v_lshrrev_b64 v[4:5], 21, v[4:5]
	v_cmp_gt_i32_e32 vcc_lo, 32, v17
	v_cmp_ne_u32_e64 s13, 0, v17
                                        ; implicit-def: $vgpr26
	s_delay_alu instid0(VALU_DEP_3) | instskip(NEXT) | instid1(VALU_DEP_1)
	v_dual_cndmask_b32 v5, 0, v5 :: v_dual_cndmask_b32 v4, 3, v4
	v_cmp_ne_u64_e32 vcc_lo, 0, v[4:5]
	s_or_b32 s13, s13, vcc_lo
	s_delay_alu instid0(SALU_CYCLE_1) | instskip(NEXT) | instid1(SALU_CYCLE_1)
	s_and_saveexec_b32 s74, s13
	s_xor_b32 s13, exec_lo, s74
; %bb.7895:                             ;   in Loop: Header=BB4_7689 Depth=3
	v_min_i32_e32 v2, 31, v17
	s_delay_alu instid0(VALU_DEP_1) | instskip(NEXT) | instid1(VALU_DEP_1)
	v_lshl_or_b32 v2, v2, 2, v15
                                        ; implicit-def: $vgpr15
	v_and_or_b32 v26, v4, 3, v2
; %bb.7896:                             ;   in Loop: Header=BB4_7689 Depth=3
	s_and_not1_saveexec_b32 s13, s13
; %bb.7897:                             ;   in Loop: Header=BB4_7689 Depth=3
	v_mov_b32_e32 v26, v15
; %bb.7898:                             ;   in Loop: Header=BB4_7689 Depth=3
	s_or_b32 exec_lo, exec_lo, s13
.LBB4_7899:                             ;   in Loop: Header=BB4_7689 Depth=3
	s_delay_alu instid0(SALU_CYCLE_1)
	s_or_b32 exec_lo, exec_lo, s73
                                        ; implicit-def: $vgpr15
.LBB4_7900:                             ;   in Loop: Header=BB4_7689 Depth=3
	s_and_not1_saveexec_b32 s13, s72
; %bb.7901:                             ;   in Loop: Header=BB4_7689 Depth=3
	v_or_b32_e32 v26, 0x7b, v15
; %bb.7902:                             ;   in Loop: Header=BB4_7689 Depth=3
	s_or_b32 exec_lo, exec_lo, s13
                                        ; implicit-def: $vgpr4
.LBB4_7903:                             ;   in Loop: Header=BB4_7689 Depth=3
	s_and_not1_saveexec_b32 s13, s43
	s_cbranch_execz .LBB4_7909
; %bb.7904:                             ;   in Loop: Header=BB4_7689 Depth=3
	s_mov_b32 s43, exec_lo
                                        ; implicit-def: $vgpr26
	v_cmpx_ne_u64_e32 0, v[2:3]
	s_xor_b32 s43, exec_lo, s43
; %bb.7905:                             ;   in Loop: Header=BB4_7689 Depth=3
	v_lshrrev_b32_e32 v2, 24, v4
                                        ; implicit-def: $vgpr4
	s_delay_alu instid0(VALU_DEP_1)
	v_or_b32_e32 v26, 0x7f, v2
; %bb.7906:                             ;   in Loop: Header=BB4_7689 Depth=3
	s_and_not1_saveexec_b32 s43, s43
; %bb.7907:                             ;   in Loop: Header=BB4_7689 Depth=3
	v_cmp_lt_i32_e32 vcc_lo, -1, v4
	v_cndmask_b32_e64 v26, -4, 0x7c, vcc_lo
; %bb.7908:                             ;   in Loop: Header=BB4_7689 Depth=3
	s_or_b32 exec_lo, exec_lo, s43
.LBB4_7909:                             ;   in Loop: Header=BB4_7689 Depth=3
	s_delay_alu instid0(SALU_CYCLE_1)
	s_or_b32 exec_lo, exec_lo, s13
	v_dual_mov_b32 v2, 0 :: v_dual_mov_b32 v4, 0
	s_mov_b32 s13, exec_lo
	v_cmpx_ne_u16_e32 0, v110
	s_cbranch_execz .LBB4_7919
; %bb.7910:                             ;   in Loop: Header=BB4_7689 Depth=3
	v_bfrev_b32_e32 v4, 1
	s_mov_b32 s43, exec_lo
	v_cmpx_ne_u16_e32 0xff80, v110
	s_cbranch_execz .LBB4_7918
; %bb.7911:                             ;   in Loop: Header=BB4_7689 Depth=3
	v_and_b32_e32 v4, 0x7c, v110
	v_and_b32_e32 v5, 3, v110
	s_delay_alu instid0(VALU_DEP_2) | instskip(SKIP_1) | instid1(SALU_CYCLE_1)
	v_cmp_ne_u32_e32 vcc_lo, 0x7c, v4
                                        ; implicit-def: $vgpr4
	s_and_saveexec_b32 s72, vcc_lo
	s_xor_b32 s72, exec_lo, s72
	s_cbranch_execz .LBB4_7915
; %bb.7912:                             ;   in Loop: Header=BB4_7689 Depth=3
	v_and_b32_e32 v4, 0xff, v110
	s_mov_b32 s73, exec_lo
	s_delay_alu instid0(VALU_DEP_1) | instskip(NEXT) | instid1(VALU_DEP_1)
	v_bfe_u32 v4, v4, 2, 5
	v_cmpx_eq_u32_e32 0, v4
	s_cbranch_execz .LBB4_7914
; %bb.7913:                             ;   in Loop: Header=BB4_7689 Depth=3
	v_clz_i32_u32_e32 v4, v5
	s_delay_alu instid0(VALU_DEP_1) | instskip(SKIP_1) | instid1(VALU_DEP_2)
	v_min_u32_e32 v4, 32, v4
	v_mov_b32_e32 v111, v3
	v_subrev_nc_u32_e32 v5, 29, v4
	v_sub_nc_u32_e32 v4, 30, v4
	s_delay_alu instid0(VALU_DEP_2) | instskip(NEXT) | instid1(VALU_DEP_1)
	v_lshlrev_b64_e32 v[24:25], v5, v[110:111]
	v_and_b32_e32 v5, 3, v24
.LBB4_7914:                             ;   in Loop: Header=BB4_7689 Depth=3
	s_or_b32 exec_lo, exec_lo, s73
	v_bfe_i32 v15, v110, 0, 16
                                        ; implicit-def: $vgpr110
	s_delay_alu instid0(VALU_DEP_1) | instskip(NEXT) | instid1(VALU_DEP_1)
	v_and_b32_e32 v15, 0x80000000, v15
	v_lshl_add_u32 v4, v4, 23, v15
	s_delay_alu instid0(VALU_DEP_1) | instskip(NEXT) | instid1(VALU_DEP_1)
	v_lshl_or_b32 v4, v5, 21, v4
                                        ; implicit-def: $vgpr5
	v_add_nc_u32_e32 v4, 0x38000000, v4
.LBB4_7915:                             ;   in Loop: Header=BB4_7689 Depth=3
	s_and_not1_saveexec_b32 s72, s72
; %bb.7916:                             ;   in Loop: Header=BB4_7689 Depth=3
	v_cmp_lt_i16_e32 vcc_lo, -1, v110
	v_cndmask_b32_e32 v4, 0xff800000, v112, vcc_lo
	v_cmp_eq_u32_e32 vcc_lo, 0, v5
	s_delay_alu instid0(VALU_DEP_2)
	v_cndmask_b32_e32 v4, 0x7f800001, v4, vcc_lo
; %bb.7917:                             ;   in Loop: Header=BB4_7689 Depth=3
	s_or_b32 exec_lo, exec_lo, s72
.LBB4_7918:                             ;   in Loop: Header=BB4_7689 Depth=3
	s_delay_alu instid0(SALU_CYCLE_1)
	s_or_b32 exec_lo, exec_lo, s43
.LBB4_7919:                             ;   in Loop: Header=BB4_7689 Depth=3
	s_delay_alu instid0(SALU_CYCLE_1) | instskip(NEXT) | instid1(SALU_CYCLE_1)
	s_or_b32 exec_lo, exec_lo, s13
	s_mov_b32 s13, exec_lo
	s_wait_loadcnt_dscnt 0xa0a
	v_cmpx_ne_u16_e32 0, v108
	s_cbranch_execz .LBB4_7929
; %bb.7920:                             ;   in Loop: Header=BB4_7689 Depth=3
	v_bfrev_b32_e32 v2, 1
	s_mov_b32 s43, exec_lo
	v_cmpx_ne_u16_e32 0xff80, v108
	s_cbranch_execz .LBB4_7928
; %bb.7921:                             ;   in Loop: Header=BB4_7689 Depth=3
	v_and_b32_e32 v2, 0x7c, v108
	v_and_b32_e32 v5, 3, v108
	s_delay_alu instid0(VALU_DEP_2) | instskip(SKIP_1) | instid1(SALU_CYCLE_1)
	v_cmp_ne_u32_e32 vcc_lo, 0x7c, v2
                                        ; implicit-def: $vgpr2
	s_and_saveexec_b32 s72, vcc_lo
	s_xor_b32 s72, exec_lo, s72
	s_cbranch_execz .LBB4_7925
; %bb.7922:                             ;   in Loop: Header=BB4_7689 Depth=3
	v_and_b32_e32 v2, 0xff, v108
	s_mov_b32 s73, exec_lo
	s_delay_alu instid0(VALU_DEP_1) | instskip(NEXT) | instid1(VALU_DEP_1)
	v_bfe_u32 v2, v2, 2, 5
	v_cmpx_eq_u32_e32 0, v2
	s_cbranch_execz .LBB4_7924
; %bb.7923:                             ;   in Loop: Header=BB4_7689 Depth=3
	v_clz_i32_u32_e32 v2, v5
	s_delay_alu instid0(VALU_DEP_1) | instskip(SKIP_1) | instid1(VALU_DEP_2)
	v_min_u32_e32 v2, 32, v2
	v_mov_b32_e32 v109, v3
	v_subrev_nc_u32_e32 v5, 29, v2
	v_sub_nc_u32_e32 v2, 30, v2
	s_delay_alu instid0(VALU_DEP_2) | instskip(NEXT) | instid1(VALU_DEP_1)
	v_lshlrev_b64_e32 v[24:25], v5, v[108:109]
	v_and_b32_e32 v5, 3, v24
.LBB4_7924:                             ;   in Loop: Header=BB4_7689 Depth=3
	s_or_b32 exec_lo, exec_lo, s73
	v_bfe_i32 v15, v108, 0, 16
                                        ; implicit-def: $vgpr108
	s_delay_alu instid0(VALU_DEP_1) | instskip(NEXT) | instid1(VALU_DEP_1)
	v_and_b32_e32 v15, 0x80000000, v15
	v_lshl_add_u32 v2, v2, 23, v15
	s_delay_alu instid0(VALU_DEP_1) | instskip(NEXT) | instid1(VALU_DEP_1)
	v_lshl_or_b32 v2, v5, 21, v2
                                        ; implicit-def: $vgpr5
	v_add_nc_u32_e32 v2, 0x38000000, v2
.LBB4_7925:                             ;   in Loop: Header=BB4_7689 Depth=3
	s_and_not1_saveexec_b32 s72, s72
; %bb.7926:                             ;   in Loop: Header=BB4_7689 Depth=3
	v_cmp_lt_i16_e32 vcc_lo, -1, v108
	v_cndmask_b32_e32 v2, 0xff800000, v112, vcc_lo
	v_cmp_eq_u32_e32 vcc_lo, 0, v5
	s_delay_alu instid0(VALU_DEP_2)
	v_cndmask_b32_e32 v2, 0x7f800001, v2, vcc_lo
; %bb.7927:                             ;   in Loop: Header=BB4_7689 Depth=3
	s_or_b32 exec_lo, exec_lo, s72
.LBB4_7928:                             ;   in Loop: Header=BB4_7689 Depth=3
	s_delay_alu instid0(SALU_CYCLE_1)
	s_or_b32 exec_lo, exec_lo, s43
.LBB4_7929:                             ;   in Loop: Header=BB4_7689 Depth=3
	s_delay_alu instid0(SALU_CYCLE_1) | instskip(NEXT) | instid1(VALU_DEP_1)
	s_or_b32 exec_lo, exec_lo, s13
	v_dual_mul_f32 v4, v4, v2 :: v_dual_mov_b32 v25, v3
                                        ; implicit-def: $vgpr27
	s_mov_b32 s13, exec_lo
	s_delay_alu instid0(VALU_DEP_1) | instskip(SKIP_1) | instid1(VALU_DEP_2)
	v_and_b32_e32 v24, 0x7f800000, v4
	v_and_b32_e32 v2, 0x7fffff, v4
	v_cmpx_ne_u64_e32 0x7f800000, v[24:25]
	s_xor_b32 s43, exec_lo, s13
	s_cbranch_execz .LBB4_7947
; %bb.7930:                             ;   in Loop: Header=BB4_7689 Depth=3
	v_dual_mov_b32 v25, v3 :: v_dual_lshrrev_b32 v5, 24, v4
	v_and_b32_e32 v24, 0x7fffffff, v4
                                        ; implicit-def: $vgpr27
	s_mov_b32 s13, exec_lo
	s_delay_alu instid0(VALU_DEP_2) | instskip(NEXT) | instid1(VALU_DEP_2)
	v_and_b32_e32 v15, 0x80, v5
	v_cmpx_gt_u64_e32 0x47600001, v[24:25]
	s_xor_b32 s72, exec_lo, s13
	s_cbranch_execz .LBB4_7944
; %bb.7931:                             ;   in Loop: Header=BB4_7689 Depth=3
	v_mov_b32_e32 v27, 0
	s_mov_b32 s73, exec_lo
	v_cmpx_ne_u32_e32 0, v4
	s_cbranch_execz .LBB4_7943
; %bb.7932:                             ;   in Loop: Header=BB4_7689 Depth=3
	v_bfe_u32 v17, v4, 23, 8
	v_or_b32_e32 v21, 0x800000, v2
	s_mov_b32 s74, exec_lo
	s_delay_alu instid0(VALU_DEP_2) | instskip(SKIP_1) | instid1(VALU_DEP_2)
	v_dual_mov_b32 v25, v3 :: v_dual_sub_nc_u32 v4, 0x71, v17
	v_cmp_gt_u32_e32 vcc_lo, 0x72, v17
	v_cndmask_b32_e32 v4, 0, v4, vcc_lo
	v_cmp_eq_u32_e32 vcc_lo, 0, v17
	s_delay_alu instid0(VALU_DEP_2) | instskip(NEXT) | instid1(VALU_DEP_1)
	v_cndmask_b32_e64 v19, v4, 0x70, vcc_lo
	v_dual_cndmask_b32 v24, v21, v2, vcc_lo :: v_dual_add_nc_u32 v4, 21, v19
	v_add_nc_u32_e32 v23, 20, v19
	s_delay_alu instid0(VALU_DEP_2) | instskip(NEXT) | instid1(VALU_DEP_2)
	v_lshlrev_b64_e64 v[4:5], v4, -1
	v_lshlrev_b64_e64 v[28:29], v23, 1
	s_delay_alu instid0(VALU_DEP_2) | instskip(NEXT) | instid1(VALU_DEP_3)
	v_bfi_b32 v85, v5, 0, 0
	v_bfi_b32 v84, v4, 0, v24
	v_lshrrev_b64 v[4:5], v19, v[24:25]
	s_delay_alu instid0(VALU_DEP_1) | instskip(NEXT) | instid1(VALU_DEP_3)
	v_mov_b64_e32 v[24:25], v[4:5]
	v_cmpx_eq_u64_e64 v[84:85], v[28:29]
; %bb.7933:                             ;   in Loop: Header=BB4_7689 Depth=3
	v_bfe_u32 v24, v4, 21, 1
	v_mov_b32_e32 v25, v3
	s_delay_alu instid0(VALU_DEP_1) | instskip(NEXT) | instid1(VALU_DEP_1)
	v_add_nc_u64_e32 v[24:25], v[4:5], v[24:25]
	v_add_nc_u64_e32 v[24:25], -1, v[24:25]
; %bb.7934:                             ;   in Loop: Header=BB4_7689 Depth=3
	s_or_b32 exec_lo, exec_lo, s74
	v_add_nc_u32_e32 v2, 0xffffff81, v17
	v_lshrrev_b32_e32 v5, 23, v4
	s_mov_b32 s13, exec_lo
                                        ; implicit-def: $vgpr17
	s_delay_alu instid0(VALU_DEP_2) | instskip(NEXT) | instid1(VALU_DEP_1)
	v_cndmask_b32_e64 v2, v2, 0xffffff82, vcc_lo
	v_add3_u32 v19, v19, v2, v5
	v_and_b32_e32 v2, 0x1fffff, v24
	s_delay_alu instid0(VALU_DEP_1) | instskip(NEXT) | instid1(VALU_DEP_1)
	v_dual_add_nc_u32 v21, 14, v19 :: v_dual_add_nc_u32 v2, v2, v4
                                        ; implicit-def: $vgpr4_vgpr5
	v_cmpx_ne_u32_e32 0, v21
	s_xor_b32 s13, exec_lo, s13
; %bb.7935:                             ;   in Loop: Header=BB4_7689 Depth=3
	s_delay_alu instid0(VALU_DEP_2) | instskip(SKIP_1) | instid1(VALU_DEP_1)
	v_cmp_lt_u64_e32 vcc_lo, 0xffffff, v[2:3]
	v_add_nc_u32_e32 v4, 15, v19
	v_cndmask_b32_e32 v17, v21, v4, vcc_lo
	v_cndmask_b32_e64 v4, 0, 1, vcc_lo
	s_delay_alu instid0(VALU_DEP_1)
	v_lshrrev_b64 v[4:5], v4, v[2:3]
; %bb.7936:                             ;   in Loop: Header=BB4_7689 Depth=3
	s_and_not1_saveexec_b32 s13, s13
; %bb.7937:                             ;   in Loop: Header=BB4_7689 Depth=3
	v_mov_b64_e32 v[4:5], v[2:3]
	v_bfe_u32 v17, v2, 23, 1
; %bb.7938:                             ;   in Loop: Header=BB4_7689 Depth=3
	s_or_b32 exec_lo, exec_lo, s13
	s_delay_alu instid0(VALU_DEP_2) | instskip(NEXT) | instid1(VALU_DEP_2)
	v_lshrrev_b64 v[4:5], 21, v[4:5]
	v_cmp_gt_i32_e32 vcc_lo, 32, v17
	v_cmp_ne_u32_e64 s13, 0, v17
                                        ; implicit-def: $vgpr27
	s_delay_alu instid0(VALU_DEP_3) | instskip(NEXT) | instid1(VALU_DEP_1)
	v_dual_cndmask_b32 v5, 0, v5 :: v_dual_cndmask_b32 v4, 3, v4
	v_cmp_ne_u64_e32 vcc_lo, 0, v[4:5]
	s_or_b32 s13, s13, vcc_lo
	s_delay_alu instid0(SALU_CYCLE_1) | instskip(NEXT) | instid1(SALU_CYCLE_1)
	s_and_saveexec_b32 s74, s13
	s_xor_b32 s13, exec_lo, s74
; %bb.7939:                             ;   in Loop: Header=BB4_7689 Depth=3
	v_min_i32_e32 v2, 31, v17
	s_delay_alu instid0(VALU_DEP_1) | instskip(NEXT) | instid1(VALU_DEP_1)
	v_lshl_or_b32 v2, v2, 2, v15
                                        ; implicit-def: $vgpr15
	v_and_or_b32 v27, v4, 3, v2
; %bb.7940:                             ;   in Loop: Header=BB4_7689 Depth=3
	s_and_not1_saveexec_b32 s13, s13
; %bb.7941:                             ;   in Loop: Header=BB4_7689 Depth=3
	v_mov_b32_e32 v27, v15
; %bb.7942:                             ;   in Loop: Header=BB4_7689 Depth=3
	s_or_b32 exec_lo, exec_lo, s13
.LBB4_7943:                             ;   in Loop: Header=BB4_7689 Depth=3
	s_delay_alu instid0(SALU_CYCLE_1)
	s_or_b32 exec_lo, exec_lo, s73
                                        ; implicit-def: $vgpr15
.LBB4_7944:                             ;   in Loop: Header=BB4_7689 Depth=3
	s_and_not1_saveexec_b32 s13, s72
; %bb.7945:                             ;   in Loop: Header=BB4_7689 Depth=3
	v_or_b32_e32 v27, 0x7b, v15
; %bb.7946:                             ;   in Loop: Header=BB4_7689 Depth=3
	s_or_b32 exec_lo, exec_lo, s13
                                        ; implicit-def: $vgpr4
.LBB4_7947:                             ;   in Loop: Header=BB4_7689 Depth=3
	s_and_not1_saveexec_b32 s13, s43
	s_cbranch_execz .LBB4_7953
; %bb.7948:                             ;   in Loop: Header=BB4_7689 Depth=3
	s_mov_b32 s43, exec_lo
                                        ; implicit-def: $vgpr27
	v_cmpx_ne_u64_e32 0, v[2:3]
	s_xor_b32 s43, exec_lo, s43
; %bb.7949:                             ;   in Loop: Header=BB4_7689 Depth=3
	v_lshrrev_b32_e32 v2, 24, v4
                                        ; implicit-def: $vgpr4
	s_delay_alu instid0(VALU_DEP_1)
	v_or_b32_e32 v27, 0x7f, v2
; %bb.7950:                             ;   in Loop: Header=BB4_7689 Depth=3
	s_and_not1_saveexec_b32 s43, s43
; %bb.7951:                             ;   in Loop: Header=BB4_7689 Depth=3
	v_cmp_lt_i32_e32 vcc_lo, -1, v4
	v_cndmask_b32_e64 v27, -4, 0x7c, vcc_lo
; %bb.7952:                             ;   in Loop: Header=BB4_7689 Depth=3
	s_or_b32 exec_lo, exec_lo, s43
.LBB4_7953:                             ;   in Loop: Header=BB4_7689 Depth=3
	s_delay_alu instid0(SALU_CYCLE_1)
	s_or_b32 exec_lo, exec_lo, s13
	v_dual_mov_b32 v2, 0 :: v_dual_mov_b32 v4, 0
	s_mov_b32 s13, exec_lo
	v_cmpx_ne_u16_e32 0, v106
	s_cbranch_execz .LBB4_7963
; %bb.7954:                             ;   in Loop: Header=BB4_7689 Depth=3
	v_bfrev_b32_e32 v4, 1
	s_mov_b32 s43, exec_lo
	v_cmpx_ne_u16_e32 0xff80, v106
	s_cbranch_execz .LBB4_7962
; %bb.7955:                             ;   in Loop: Header=BB4_7689 Depth=3
	v_and_b32_e32 v4, 0x7c, v106
	v_and_b32_e32 v5, 3, v106
	s_delay_alu instid0(VALU_DEP_2) | instskip(SKIP_1) | instid1(SALU_CYCLE_1)
	v_cmp_ne_u32_e32 vcc_lo, 0x7c, v4
                                        ; implicit-def: $vgpr4
	s_and_saveexec_b32 s72, vcc_lo
	s_xor_b32 s72, exec_lo, s72
	s_cbranch_execz .LBB4_7959
; %bb.7956:                             ;   in Loop: Header=BB4_7689 Depth=3
	v_and_b32_e32 v4, 0xff, v106
	s_mov_b32 s73, exec_lo
	s_delay_alu instid0(VALU_DEP_1) | instskip(NEXT) | instid1(VALU_DEP_1)
	v_bfe_u32 v4, v4, 2, 5
	v_cmpx_eq_u32_e32 0, v4
	s_cbranch_execz .LBB4_7958
; %bb.7957:                             ;   in Loop: Header=BB4_7689 Depth=3
	v_clz_i32_u32_e32 v4, v5
	s_delay_alu instid0(VALU_DEP_1) | instskip(SKIP_1) | instid1(VALU_DEP_2)
	v_min_u32_e32 v4, 32, v4
	v_mov_b32_e32 v107, v3
	v_subrev_nc_u32_e32 v5, 29, v4
	v_sub_nc_u32_e32 v4, 30, v4
	s_delay_alu instid0(VALU_DEP_2) | instskip(NEXT) | instid1(VALU_DEP_1)
	v_lshlrev_b64_e32 v[24:25], v5, v[106:107]
	v_and_b32_e32 v5, 3, v24
.LBB4_7958:                             ;   in Loop: Header=BB4_7689 Depth=3
	s_or_b32 exec_lo, exec_lo, s73
	v_bfe_i32 v15, v106, 0, 16
                                        ; implicit-def: $vgpr106
	s_delay_alu instid0(VALU_DEP_1) | instskip(NEXT) | instid1(VALU_DEP_1)
	v_and_b32_e32 v15, 0x80000000, v15
	v_lshl_add_u32 v4, v4, 23, v15
	s_delay_alu instid0(VALU_DEP_1) | instskip(NEXT) | instid1(VALU_DEP_1)
	v_lshl_or_b32 v4, v5, 21, v4
                                        ; implicit-def: $vgpr5
	v_add_nc_u32_e32 v4, 0x38000000, v4
.LBB4_7959:                             ;   in Loop: Header=BB4_7689 Depth=3
	s_and_not1_saveexec_b32 s72, s72
; %bb.7960:                             ;   in Loop: Header=BB4_7689 Depth=3
	v_cmp_lt_i16_e32 vcc_lo, -1, v106
	v_cndmask_b32_e32 v4, 0xff800000, v112, vcc_lo
	v_cmp_eq_u32_e32 vcc_lo, 0, v5
	s_delay_alu instid0(VALU_DEP_2)
	v_cndmask_b32_e32 v4, 0x7f800001, v4, vcc_lo
; %bb.7961:                             ;   in Loop: Header=BB4_7689 Depth=3
	s_or_b32 exec_lo, exec_lo, s72
.LBB4_7962:                             ;   in Loop: Header=BB4_7689 Depth=3
	s_delay_alu instid0(SALU_CYCLE_1)
	s_or_b32 exec_lo, exec_lo, s43
.LBB4_7963:                             ;   in Loop: Header=BB4_7689 Depth=3
	s_delay_alu instid0(SALU_CYCLE_1) | instskip(NEXT) | instid1(SALU_CYCLE_1)
	s_or_b32 exec_lo, exec_lo, s13
	s_mov_b32 s13, exec_lo
	s_wait_loadcnt_dscnt 0x909
	v_cmpx_ne_u16_e32 0, v104
	s_cbranch_execz .LBB4_7973
; %bb.7964:                             ;   in Loop: Header=BB4_7689 Depth=3
	v_bfrev_b32_e32 v2, 1
	s_mov_b32 s43, exec_lo
	v_cmpx_ne_u16_e32 0xff80, v104
	s_cbranch_execz .LBB4_7972
; %bb.7965:                             ;   in Loop: Header=BB4_7689 Depth=3
	v_and_b32_e32 v2, 0x7c, v104
	v_and_b32_e32 v5, 3, v104
	s_delay_alu instid0(VALU_DEP_2) | instskip(SKIP_1) | instid1(SALU_CYCLE_1)
	v_cmp_ne_u32_e32 vcc_lo, 0x7c, v2
                                        ; implicit-def: $vgpr2
	s_and_saveexec_b32 s72, vcc_lo
	s_xor_b32 s72, exec_lo, s72
	s_cbranch_execz .LBB4_7969
; %bb.7966:                             ;   in Loop: Header=BB4_7689 Depth=3
	v_and_b32_e32 v2, 0xff, v104
	s_mov_b32 s73, exec_lo
	s_delay_alu instid0(VALU_DEP_1) | instskip(NEXT) | instid1(VALU_DEP_1)
	v_bfe_u32 v2, v2, 2, 5
	v_cmpx_eq_u32_e32 0, v2
	s_cbranch_execz .LBB4_7968
; %bb.7967:                             ;   in Loop: Header=BB4_7689 Depth=3
	v_clz_i32_u32_e32 v2, v5
	s_delay_alu instid0(VALU_DEP_1) | instskip(SKIP_1) | instid1(VALU_DEP_2)
	v_min_u32_e32 v2, 32, v2
	v_mov_b32_e32 v105, v3
	v_subrev_nc_u32_e32 v5, 29, v2
	v_sub_nc_u32_e32 v2, 30, v2
	s_delay_alu instid0(VALU_DEP_2) | instskip(NEXT) | instid1(VALU_DEP_1)
	v_lshlrev_b64_e32 v[24:25], v5, v[104:105]
	v_and_b32_e32 v5, 3, v24
.LBB4_7968:                             ;   in Loop: Header=BB4_7689 Depth=3
	s_or_b32 exec_lo, exec_lo, s73
	v_bfe_i32 v15, v104, 0, 16
                                        ; implicit-def: $vgpr104
	s_delay_alu instid0(VALU_DEP_1) | instskip(NEXT) | instid1(VALU_DEP_1)
	v_and_b32_e32 v15, 0x80000000, v15
	v_lshl_add_u32 v2, v2, 23, v15
	s_delay_alu instid0(VALU_DEP_1) | instskip(NEXT) | instid1(VALU_DEP_1)
	v_lshl_or_b32 v2, v5, 21, v2
                                        ; implicit-def: $vgpr5
	v_add_nc_u32_e32 v2, 0x38000000, v2
.LBB4_7969:                             ;   in Loop: Header=BB4_7689 Depth=3
	s_and_not1_saveexec_b32 s72, s72
; %bb.7970:                             ;   in Loop: Header=BB4_7689 Depth=3
	v_cmp_lt_i16_e32 vcc_lo, -1, v104
	v_cndmask_b32_e32 v2, 0xff800000, v112, vcc_lo
	v_cmp_eq_u32_e32 vcc_lo, 0, v5
	s_delay_alu instid0(VALU_DEP_2)
	v_cndmask_b32_e32 v2, 0x7f800001, v2, vcc_lo
; %bb.7971:                             ;   in Loop: Header=BB4_7689 Depth=3
	s_or_b32 exec_lo, exec_lo, s72
.LBB4_7972:                             ;   in Loop: Header=BB4_7689 Depth=3
	s_delay_alu instid0(SALU_CYCLE_1)
	s_or_b32 exec_lo, exec_lo, s43
.LBB4_7973:                             ;   in Loop: Header=BB4_7689 Depth=3
	s_delay_alu instid0(SALU_CYCLE_1) | instskip(NEXT) | instid1(VALU_DEP_1)
	s_or_b32 exec_lo, exec_lo, s13
	v_dual_mul_f32 v4, v4, v2 :: v_dual_mov_b32 v25, v3
                                        ; implicit-def: $vgpr28
	s_mov_b32 s13, exec_lo
	s_delay_alu instid0(VALU_DEP_1) | instskip(SKIP_1) | instid1(VALU_DEP_2)
	v_and_b32_e32 v24, 0x7f800000, v4
	v_and_b32_e32 v2, 0x7fffff, v4
	v_cmpx_ne_u64_e32 0x7f800000, v[24:25]
	s_xor_b32 s43, exec_lo, s13
	s_cbranch_execz .LBB4_7991
; %bb.7974:                             ;   in Loop: Header=BB4_7689 Depth=3
	v_dual_mov_b32 v25, v3 :: v_dual_lshrrev_b32 v5, 24, v4
	v_and_b32_e32 v24, 0x7fffffff, v4
                                        ; implicit-def: $vgpr28
	s_mov_b32 s13, exec_lo
	s_delay_alu instid0(VALU_DEP_2) | instskip(NEXT) | instid1(VALU_DEP_2)
	v_and_b32_e32 v15, 0x80, v5
	v_cmpx_gt_u64_e32 0x47600001, v[24:25]
	s_xor_b32 s72, exec_lo, s13
	s_cbranch_execz .LBB4_7988
; %bb.7975:                             ;   in Loop: Header=BB4_7689 Depth=3
	v_mov_b32_e32 v28, 0
	s_mov_b32 s73, exec_lo
	v_cmpx_ne_u32_e32 0, v4
	s_cbranch_execz .LBB4_7987
; %bb.7976:                             ;   in Loop: Header=BB4_7689 Depth=3
	v_bfe_u32 v17, v4, 23, 8
	v_or_b32_e32 v21, 0x800000, v2
	s_mov_b32 s74, exec_lo
	s_delay_alu instid0(VALU_DEP_2) | instskip(SKIP_1) | instid1(VALU_DEP_2)
	v_dual_mov_b32 v25, v3 :: v_dual_sub_nc_u32 v4, 0x71, v17
	v_cmp_gt_u32_e32 vcc_lo, 0x72, v17
	v_cndmask_b32_e32 v4, 0, v4, vcc_lo
	v_cmp_eq_u32_e32 vcc_lo, 0, v17
	s_delay_alu instid0(VALU_DEP_2) | instskip(NEXT) | instid1(VALU_DEP_1)
	v_cndmask_b32_e64 v19, v4, 0x70, vcc_lo
	v_dual_cndmask_b32 v24, v21, v2, vcc_lo :: v_dual_add_nc_u32 v4, 21, v19
	v_add_nc_u32_e32 v23, 20, v19
	s_delay_alu instid0(VALU_DEP_2) | instskip(NEXT) | instid1(VALU_DEP_2)
	v_lshlrev_b64_e64 v[4:5], v4, -1
	v_lshlrev_b64_e64 v[28:29], v23, 1
	s_delay_alu instid0(VALU_DEP_2) | instskip(NEXT) | instid1(VALU_DEP_3)
	v_bfi_b32 v85, v5, 0, 0
	v_bfi_b32 v84, v4, 0, v24
	v_lshrrev_b64 v[4:5], v19, v[24:25]
	s_delay_alu instid0(VALU_DEP_1) | instskip(NEXT) | instid1(VALU_DEP_3)
	v_mov_b64_e32 v[24:25], v[4:5]
	v_cmpx_eq_u64_e64 v[84:85], v[28:29]
; %bb.7977:                             ;   in Loop: Header=BB4_7689 Depth=3
	v_bfe_u32 v24, v4, 21, 1
	v_mov_b32_e32 v25, v3
	s_delay_alu instid0(VALU_DEP_1) | instskip(NEXT) | instid1(VALU_DEP_1)
	v_add_nc_u64_e32 v[24:25], v[4:5], v[24:25]
	v_add_nc_u64_e32 v[24:25], -1, v[24:25]
; %bb.7978:                             ;   in Loop: Header=BB4_7689 Depth=3
	s_or_b32 exec_lo, exec_lo, s74
	v_add_nc_u32_e32 v2, 0xffffff81, v17
	v_lshrrev_b32_e32 v5, 23, v4
	s_mov_b32 s13, exec_lo
                                        ; implicit-def: $vgpr17
	s_delay_alu instid0(VALU_DEP_2) | instskip(NEXT) | instid1(VALU_DEP_1)
	v_cndmask_b32_e64 v2, v2, 0xffffff82, vcc_lo
	v_add3_u32 v19, v19, v2, v5
	v_and_b32_e32 v2, 0x1fffff, v24
	s_delay_alu instid0(VALU_DEP_1) | instskip(NEXT) | instid1(VALU_DEP_1)
	v_dual_add_nc_u32 v21, 14, v19 :: v_dual_add_nc_u32 v2, v2, v4
                                        ; implicit-def: $vgpr4_vgpr5
	v_cmpx_ne_u32_e32 0, v21
	s_xor_b32 s13, exec_lo, s13
; %bb.7979:                             ;   in Loop: Header=BB4_7689 Depth=3
	s_delay_alu instid0(VALU_DEP_2) | instskip(SKIP_1) | instid1(VALU_DEP_1)
	v_cmp_lt_u64_e32 vcc_lo, 0xffffff, v[2:3]
	v_add_nc_u32_e32 v4, 15, v19
	v_cndmask_b32_e32 v17, v21, v4, vcc_lo
	v_cndmask_b32_e64 v4, 0, 1, vcc_lo
	s_delay_alu instid0(VALU_DEP_1)
	v_lshrrev_b64 v[4:5], v4, v[2:3]
; %bb.7980:                             ;   in Loop: Header=BB4_7689 Depth=3
	s_and_not1_saveexec_b32 s13, s13
; %bb.7981:                             ;   in Loop: Header=BB4_7689 Depth=3
	v_mov_b64_e32 v[4:5], v[2:3]
	v_bfe_u32 v17, v2, 23, 1
; %bb.7982:                             ;   in Loop: Header=BB4_7689 Depth=3
	s_or_b32 exec_lo, exec_lo, s13
	s_delay_alu instid0(VALU_DEP_2) | instskip(NEXT) | instid1(VALU_DEP_2)
	v_lshrrev_b64 v[4:5], 21, v[4:5]
	v_cmp_gt_i32_e32 vcc_lo, 32, v17
	v_cmp_ne_u32_e64 s13, 0, v17
                                        ; implicit-def: $vgpr28
	s_delay_alu instid0(VALU_DEP_3) | instskip(NEXT) | instid1(VALU_DEP_1)
	v_dual_cndmask_b32 v5, 0, v5 :: v_dual_cndmask_b32 v4, 3, v4
	v_cmp_ne_u64_e32 vcc_lo, 0, v[4:5]
	s_or_b32 s13, s13, vcc_lo
	s_delay_alu instid0(SALU_CYCLE_1) | instskip(NEXT) | instid1(SALU_CYCLE_1)
	s_and_saveexec_b32 s74, s13
	s_xor_b32 s13, exec_lo, s74
; %bb.7983:                             ;   in Loop: Header=BB4_7689 Depth=3
	v_min_i32_e32 v2, 31, v17
	s_delay_alu instid0(VALU_DEP_1) | instskip(NEXT) | instid1(VALU_DEP_1)
	v_lshl_or_b32 v2, v2, 2, v15
                                        ; implicit-def: $vgpr15
	v_and_or_b32 v28, v4, 3, v2
; %bb.7984:                             ;   in Loop: Header=BB4_7689 Depth=3
	s_and_not1_saveexec_b32 s13, s13
; %bb.7985:                             ;   in Loop: Header=BB4_7689 Depth=3
	v_mov_b32_e32 v28, v15
; %bb.7986:                             ;   in Loop: Header=BB4_7689 Depth=3
	s_or_b32 exec_lo, exec_lo, s13
.LBB4_7987:                             ;   in Loop: Header=BB4_7689 Depth=3
	s_delay_alu instid0(SALU_CYCLE_1)
	s_or_b32 exec_lo, exec_lo, s73
                                        ; implicit-def: $vgpr15
.LBB4_7988:                             ;   in Loop: Header=BB4_7689 Depth=3
	s_and_not1_saveexec_b32 s13, s72
; %bb.7989:                             ;   in Loop: Header=BB4_7689 Depth=3
	v_or_b32_e32 v28, 0x7b, v15
; %bb.7990:                             ;   in Loop: Header=BB4_7689 Depth=3
	s_or_b32 exec_lo, exec_lo, s13
                                        ; implicit-def: $vgpr4
.LBB4_7991:                             ;   in Loop: Header=BB4_7689 Depth=3
	s_and_not1_saveexec_b32 s13, s43
	s_cbranch_execz .LBB4_7997
; %bb.7992:                             ;   in Loop: Header=BB4_7689 Depth=3
	s_mov_b32 s43, exec_lo
                                        ; implicit-def: $vgpr28
	v_cmpx_ne_u64_e32 0, v[2:3]
	s_xor_b32 s43, exec_lo, s43
; %bb.7993:                             ;   in Loop: Header=BB4_7689 Depth=3
	v_lshrrev_b32_e32 v2, 24, v4
                                        ; implicit-def: $vgpr4
	s_delay_alu instid0(VALU_DEP_1)
	v_or_b32_e32 v28, 0x7f, v2
; %bb.7994:                             ;   in Loop: Header=BB4_7689 Depth=3
	s_and_not1_saveexec_b32 s43, s43
; %bb.7995:                             ;   in Loop: Header=BB4_7689 Depth=3
	v_cmp_lt_i32_e32 vcc_lo, -1, v4
	v_cndmask_b32_e64 v28, -4, 0x7c, vcc_lo
; %bb.7996:                             ;   in Loop: Header=BB4_7689 Depth=3
	s_or_b32 exec_lo, exec_lo, s43
.LBB4_7997:                             ;   in Loop: Header=BB4_7689 Depth=3
	s_delay_alu instid0(SALU_CYCLE_1)
	s_or_b32 exec_lo, exec_lo, s13
	v_dual_mov_b32 v2, 0 :: v_dual_mov_b32 v4, 0
	s_mov_b32 s13, exec_lo
	v_cmpx_ne_u16_e32 0, v94
	s_cbranch_execz .LBB4_8007
; %bb.7998:                             ;   in Loop: Header=BB4_7689 Depth=3
	v_bfrev_b32_e32 v4, 1
	s_mov_b32 s43, exec_lo
	v_cmpx_ne_u16_e32 0xff80, v94
	s_cbranch_execz .LBB4_8006
; %bb.7999:                             ;   in Loop: Header=BB4_7689 Depth=3
	v_and_b32_e32 v4, 0x7c, v94
	v_and_b32_e32 v5, 3, v94
	s_delay_alu instid0(VALU_DEP_2) | instskip(SKIP_1) | instid1(SALU_CYCLE_1)
	v_cmp_ne_u32_e32 vcc_lo, 0x7c, v4
                                        ; implicit-def: $vgpr4
	s_and_saveexec_b32 s72, vcc_lo
	s_xor_b32 s72, exec_lo, s72
	s_cbranch_execz .LBB4_8003
; %bb.8000:                             ;   in Loop: Header=BB4_7689 Depth=3
	v_and_b32_e32 v4, 0xff, v94
	s_mov_b32 s73, exec_lo
	s_delay_alu instid0(VALU_DEP_1) | instskip(NEXT) | instid1(VALU_DEP_1)
	v_bfe_u32 v4, v4, 2, 5
	v_cmpx_eq_u32_e32 0, v4
	s_cbranch_execz .LBB4_8002
; %bb.8001:                             ;   in Loop: Header=BB4_7689 Depth=3
	v_clz_i32_u32_e32 v4, v5
	s_delay_alu instid0(VALU_DEP_1) | instskip(SKIP_1) | instid1(VALU_DEP_2)
	v_min_u32_e32 v4, 32, v4
	v_mov_b32_e32 v95, v3
	v_subrev_nc_u32_e32 v5, 29, v4
	v_sub_nc_u32_e32 v4, 30, v4
	s_delay_alu instid0(VALU_DEP_2) | instskip(NEXT) | instid1(VALU_DEP_1)
	v_lshlrev_b64_e32 v[24:25], v5, v[94:95]
	v_and_b32_e32 v5, 3, v24
.LBB4_8002:                             ;   in Loop: Header=BB4_7689 Depth=3
	s_or_b32 exec_lo, exec_lo, s73
	v_bfe_i32 v15, v94, 0, 16
                                        ; implicit-def: $vgpr94
	s_delay_alu instid0(VALU_DEP_1) | instskip(NEXT) | instid1(VALU_DEP_1)
	v_and_b32_e32 v15, 0x80000000, v15
	v_lshl_add_u32 v4, v4, 23, v15
	s_delay_alu instid0(VALU_DEP_1) | instskip(NEXT) | instid1(VALU_DEP_1)
	v_lshl_or_b32 v4, v5, 21, v4
                                        ; implicit-def: $vgpr5
	v_add_nc_u32_e32 v4, 0x38000000, v4
.LBB4_8003:                             ;   in Loop: Header=BB4_7689 Depth=3
	s_and_not1_saveexec_b32 s72, s72
; %bb.8004:                             ;   in Loop: Header=BB4_7689 Depth=3
	v_cmp_lt_i16_e32 vcc_lo, -1, v94
	v_cndmask_b32_e32 v4, 0xff800000, v112, vcc_lo
	v_cmp_eq_u32_e32 vcc_lo, 0, v5
	s_delay_alu instid0(VALU_DEP_2)
	v_cndmask_b32_e32 v4, 0x7f800001, v4, vcc_lo
; %bb.8005:                             ;   in Loop: Header=BB4_7689 Depth=3
	s_or_b32 exec_lo, exec_lo, s72
.LBB4_8006:                             ;   in Loop: Header=BB4_7689 Depth=3
	s_delay_alu instid0(SALU_CYCLE_1)
	s_or_b32 exec_lo, exec_lo, s43
.LBB4_8007:                             ;   in Loop: Header=BB4_7689 Depth=3
	s_delay_alu instid0(SALU_CYCLE_1) | instskip(NEXT) | instid1(SALU_CYCLE_1)
	s_or_b32 exec_lo, exec_lo, s13
	s_mov_b32 s13, exec_lo
	s_wait_loadcnt_dscnt 0x808
	v_cmpx_ne_u16_e32 0, v92
	s_cbranch_execz .LBB4_8017
; %bb.8008:                             ;   in Loop: Header=BB4_7689 Depth=3
	v_bfrev_b32_e32 v2, 1
	s_mov_b32 s43, exec_lo
	v_cmpx_ne_u16_e32 0xff80, v92
	s_cbranch_execz .LBB4_8016
; %bb.8009:                             ;   in Loop: Header=BB4_7689 Depth=3
	v_and_b32_e32 v2, 0x7c, v92
	v_and_b32_e32 v5, 3, v92
	s_delay_alu instid0(VALU_DEP_2) | instskip(SKIP_1) | instid1(SALU_CYCLE_1)
	v_cmp_ne_u32_e32 vcc_lo, 0x7c, v2
                                        ; implicit-def: $vgpr2
	s_and_saveexec_b32 s72, vcc_lo
	s_xor_b32 s72, exec_lo, s72
	s_cbranch_execz .LBB4_8013
; %bb.8010:                             ;   in Loop: Header=BB4_7689 Depth=3
	v_and_b32_e32 v2, 0xff, v92
	s_mov_b32 s73, exec_lo
	s_delay_alu instid0(VALU_DEP_1) | instskip(NEXT) | instid1(VALU_DEP_1)
	v_bfe_u32 v2, v2, 2, 5
	v_cmpx_eq_u32_e32 0, v2
	s_cbranch_execz .LBB4_8012
; %bb.8011:                             ;   in Loop: Header=BB4_7689 Depth=3
	v_clz_i32_u32_e32 v2, v5
	s_delay_alu instid0(VALU_DEP_1) | instskip(SKIP_1) | instid1(VALU_DEP_2)
	v_min_u32_e32 v2, 32, v2
	v_mov_b32_e32 v93, v3
	v_subrev_nc_u32_e32 v5, 29, v2
	v_sub_nc_u32_e32 v2, 30, v2
	s_delay_alu instid0(VALU_DEP_2) | instskip(NEXT) | instid1(VALU_DEP_1)
	v_lshlrev_b64_e32 v[24:25], v5, v[92:93]
	v_and_b32_e32 v5, 3, v24
.LBB4_8012:                             ;   in Loop: Header=BB4_7689 Depth=3
	s_or_b32 exec_lo, exec_lo, s73
	v_bfe_i32 v15, v92, 0, 16
                                        ; implicit-def: $vgpr92
	s_delay_alu instid0(VALU_DEP_1) | instskip(NEXT) | instid1(VALU_DEP_1)
	v_and_b32_e32 v15, 0x80000000, v15
	v_lshl_add_u32 v2, v2, 23, v15
	s_delay_alu instid0(VALU_DEP_1) | instskip(NEXT) | instid1(VALU_DEP_1)
	v_lshl_or_b32 v2, v5, 21, v2
                                        ; implicit-def: $vgpr5
	v_add_nc_u32_e32 v2, 0x38000000, v2
.LBB4_8013:                             ;   in Loop: Header=BB4_7689 Depth=3
	s_and_not1_saveexec_b32 s72, s72
; %bb.8014:                             ;   in Loop: Header=BB4_7689 Depth=3
	v_cmp_lt_i16_e32 vcc_lo, -1, v92
	v_cndmask_b32_e32 v2, 0xff800000, v112, vcc_lo
	v_cmp_eq_u32_e32 vcc_lo, 0, v5
	s_delay_alu instid0(VALU_DEP_2)
	v_cndmask_b32_e32 v2, 0x7f800001, v2, vcc_lo
; %bb.8015:                             ;   in Loop: Header=BB4_7689 Depth=3
	s_or_b32 exec_lo, exec_lo, s72
.LBB4_8016:                             ;   in Loop: Header=BB4_7689 Depth=3
	s_delay_alu instid0(SALU_CYCLE_1)
	s_or_b32 exec_lo, exec_lo, s43
.LBB4_8017:                             ;   in Loop: Header=BB4_7689 Depth=3
	s_delay_alu instid0(SALU_CYCLE_1) | instskip(NEXT) | instid1(VALU_DEP_1)
	s_or_b32 exec_lo, exec_lo, s13
	v_dual_mul_f32 v4, v4, v2 :: v_dual_mov_b32 v25, v3
                                        ; implicit-def: $vgpr29
	s_mov_b32 s13, exec_lo
	s_delay_alu instid0(VALU_DEP_1) | instskip(SKIP_1) | instid1(VALU_DEP_2)
	v_and_b32_e32 v24, 0x7f800000, v4
	v_and_b32_e32 v2, 0x7fffff, v4
	v_cmpx_ne_u64_e32 0x7f800000, v[24:25]
	s_xor_b32 s43, exec_lo, s13
	s_cbranch_execz .LBB4_8035
; %bb.8018:                             ;   in Loop: Header=BB4_7689 Depth=3
	v_dual_mov_b32 v25, v3 :: v_dual_lshrrev_b32 v5, 24, v4
	v_and_b32_e32 v24, 0x7fffffff, v4
                                        ; implicit-def: $vgpr29
	s_mov_b32 s13, exec_lo
	s_delay_alu instid0(VALU_DEP_2) | instskip(NEXT) | instid1(VALU_DEP_2)
	v_and_b32_e32 v15, 0x80, v5
	v_cmpx_gt_u64_e32 0x47600001, v[24:25]
	s_xor_b32 s72, exec_lo, s13
	s_cbranch_execz .LBB4_8032
; %bb.8019:                             ;   in Loop: Header=BB4_7689 Depth=3
	v_mov_b32_e32 v29, 0
	s_mov_b32 s73, exec_lo
	v_cmpx_ne_u32_e32 0, v4
	s_cbranch_execz .LBB4_8031
; %bb.8020:                             ;   in Loop: Header=BB4_7689 Depth=3
	v_bfe_u32 v17, v4, 23, 8
	v_or_b32_e32 v21, 0x800000, v2
	s_mov_b32 s74, exec_lo
	s_delay_alu instid0(VALU_DEP_2) | instskip(SKIP_1) | instid1(VALU_DEP_2)
	v_dual_mov_b32 v25, v3 :: v_dual_sub_nc_u32 v4, 0x71, v17
	v_cmp_gt_u32_e32 vcc_lo, 0x72, v17
	v_cndmask_b32_e32 v4, 0, v4, vcc_lo
	v_cmp_eq_u32_e32 vcc_lo, 0, v17
	s_delay_alu instid0(VALU_DEP_2) | instskip(NEXT) | instid1(VALU_DEP_1)
	v_cndmask_b32_e64 v19, v4, 0x70, vcc_lo
	v_dual_cndmask_b32 v24, v21, v2, vcc_lo :: v_dual_add_nc_u32 v4, 21, v19
	v_add_nc_u32_e32 v23, 20, v19
	s_delay_alu instid0(VALU_DEP_2) | instskip(NEXT) | instid1(VALU_DEP_2)
	v_lshlrev_b64_e64 v[4:5], v4, -1
	v_lshlrev_b64_e64 v[84:85], v23, 1
	s_delay_alu instid0(VALU_DEP_2) | instskip(NEXT) | instid1(VALU_DEP_3)
	v_bfi_b32 v103, v5, 0, 0
	v_bfi_b32 v102, v4, 0, v24
	v_lshrrev_b64 v[4:5], v19, v[24:25]
	s_delay_alu instid0(VALU_DEP_1) | instskip(NEXT) | instid1(VALU_DEP_3)
	v_mov_b64_e32 v[24:25], v[4:5]
	v_cmpx_eq_u64_e64 v[102:103], v[84:85]
; %bb.8021:                             ;   in Loop: Header=BB4_7689 Depth=3
	v_bfe_u32 v24, v4, 21, 1
	v_mov_b32_e32 v25, v3
	s_delay_alu instid0(VALU_DEP_1) | instskip(NEXT) | instid1(VALU_DEP_1)
	v_add_nc_u64_e32 v[24:25], v[4:5], v[24:25]
	v_add_nc_u64_e32 v[24:25], -1, v[24:25]
; %bb.8022:                             ;   in Loop: Header=BB4_7689 Depth=3
	s_or_b32 exec_lo, exec_lo, s74
	v_add_nc_u32_e32 v2, 0xffffff81, v17
	v_lshrrev_b32_e32 v5, 23, v4
	s_mov_b32 s13, exec_lo
                                        ; implicit-def: $vgpr17
	s_delay_alu instid0(VALU_DEP_2) | instskip(NEXT) | instid1(VALU_DEP_1)
	v_cndmask_b32_e64 v2, v2, 0xffffff82, vcc_lo
	v_add3_u32 v19, v19, v2, v5
	v_and_b32_e32 v2, 0x1fffff, v24
	s_delay_alu instid0(VALU_DEP_1) | instskip(NEXT) | instid1(VALU_DEP_1)
	v_dual_add_nc_u32 v21, 14, v19 :: v_dual_add_nc_u32 v2, v2, v4
                                        ; implicit-def: $vgpr4_vgpr5
	v_cmpx_ne_u32_e32 0, v21
	s_xor_b32 s13, exec_lo, s13
; %bb.8023:                             ;   in Loop: Header=BB4_7689 Depth=3
	s_delay_alu instid0(VALU_DEP_2) | instskip(SKIP_1) | instid1(VALU_DEP_1)
	v_cmp_lt_u64_e32 vcc_lo, 0xffffff, v[2:3]
	v_add_nc_u32_e32 v4, 15, v19
	v_cndmask_b32_e32 v17, v21, v4, vcc_lo
	v_cndmask_b32_e64 v4, 0, 1, vcc_lo
	s_delay_alu instid0(VALU_DEP_1)
	v_lshrrev_b64 v[4:5], v4, v[2:3]
; %bb.8024:                             ;   in Loop: Header=BB4_7689 Depth=3
	s_and_not1_saveexec_b32 s13, s13
; %bb.8025:                             ;   in Loop: Header=BB4_7689 Depth=3
	v_mov_b64_e32 v[4:5], v[2:3]
	v_bfe_u32 v17, v2, 23, 1
; %bb.8026:                             ;   in Loop: Header=BB4_7689 Depth=3
	s_or_b32 exec_lo, exec_lo, s13
	s_delay_alu instid0(VALU_DEP_2) | instskip(NEXT) | instid1(VALU_DEP_2)
	v_lshrrev_b64 v[4:5], 21, v[4:5]
	v_cmp_gt_i32_e32 vcc_lo, 32, v17
	v_cmp_ne_u32_e64 s13, 0, v17
                                        ; implicit-def: $vgpr29
	s_delay_alu instid0(VALU_DEP_3) | instskip(NEXT) | instid1(VALU_DEP_1)
	v_dual_cndmask_b32 v5, 0, v5 :: v_dual_cndmask_b32 v4, 3, v4
	v_cmp_ne_u64_e32 vcc_lo, 0, v[4:5]
	s_or_b32 s13, s13, vcc_lo
	s_delay_alu instid0(SALU_CYCLE_1) | instskip(NEXT) | instid1(SALU_CYCLE_1)
	s_and_saveexec_b32 s74, s13
	s_xor_b32 s13, exec_lo, s74
; %bb.8027:                             ;   in Loop: Header=BB4_7689 Depth=3
	v_min_i32_e32 v2, 31, v17
	s_delay_alu instid0(VALU_DEP_1) | instskip(NEXT) | instid1(VALU_DEP_1)
	v_lshl_or_b32 v2, v2, 2, v15
                                        ; implicit-def: $vgpr15
	v_and_or_b32 v29, v4, 3, v2
; %bb.8028:                             ;   in Loop: Header=BB4_7689 Depth=3
	s_and_not1_saveexec_b32 s13, s13
; %bb.8029:                             ;   in Loop: Header=BB4_7689 Depth=3
	v_mov_b32_e32 v29, v15
; %bb.8030:                             ;   in Loop: Header=BB4_7689 Depth=3
	s_or_b32 exec_lo, exec_lo, s13
.LBB4_8031:                             ;   in Loop: Header=BB4_7689 Depth=3
	s_delay_alu instid0(SALU_CYCLE_1)
	s_or_b32 exec_lo, exec_lo, s73
                                        ; implicit-def: $vgpr15
.LBB4_8032:                             ;   in Loop: Header=BB4_7689 Depth=3
	s_and_not1_saveexec_b32 s13, s72
; %bb.8033:                             ;   in Loop: Header=BB4_7689 Depth=3
	v_or_b32_e32 v29, 0x7b, v15
; %bb.8034:                             ;   in Loop: Header=BB4_7689 Depth=3
	s_or_b32 exec_lo, exec_lo, s13
                                        ; implicit-def: $vgpr4
.LBB4_8035:                             ;   in Loop: Header=BB4_7689 Depth=3
	s_and_not1_saveexec_b32 s13, s43
	s_cbranch_execz .LBB4_8041
; %bb.8036:                             ;   in Loop: Header=BB4_7689 Depth=3
	s_mov_b32 s43, exec_lo
                                        ; implicit-def: $vgpr29
	v_cmpx_ne_u64_e32 0, v[2:3]
	s_xor_b32 s43, exec_lo, s43
; %bb.8037:                             ;   in Loop: Header=BB4_7689 Depth=3
	v_lshrrev_b32_e32 v2, 24, v4
                                        ; implicit-def: $vgpr4
	s_delay_alu instid0(VALU_DEP_1)
	v_or_b32_e32 v29, 0x7f, v2
; %bb.8038:                             ;   in Loop: Header=BB4_7689 Depth=3
	s_and_not1_saveexec_b32 s43, s43
; %bb.8039:                             ;   in Loop: Header=BB4_7689 Depth=3
	v_cmp_lt_i32_e32 vcc_lo, -1, v4
	v_cndmask_b32_e64 v29, -4, 0x7c, vcc_lo
; %bb.8040:                             ;   in Loop: Header=BB4_7689 Depth=3
	s_or_b32 exec_lo, exec_lo, s43
.LBB4_8041:                             ;   in Loop: Header=BB4_7689 Depth=3
	s_delay_alu instid0(SALU_CYCLE_1)
	s_or_b32 exec_lo, exec_lo, s13
	v_dual_mov_b32 v2, 0 :: v_dual_mov_b32 v4, 0
	s_mov_b32 s13, exec_lo
	v_cmpx_ne_u16_e32 0, v90
	s_cbranch_execz .LBB4_8051
; %bb.8042:                             ;   in Loop: Header=BB4_7689 Depth=3
	v_bfrev_b32_e32 v4, 1
	s_mov_b32 s43, exec_lo
	v_cmpx_ne_u16_e32 0xff80, v90
	s_cbranch_execz .LBB4_8050
; %bb.8043:                             ;   in Loop: Header=BB4_7689 Depth=3
	v_and_b32_e32 v4, 0x7c, v90
	v_and_b32_e32 v5, 3, v90
	s_delay_alu instid0(VALU_DEP_2) | instskip(SKIP_1) | instid1(SALU_CYCLE_1)
	v_cmp_ne_u32_e32 vcc_lo, 0x7c, v4
                                        ; implicit-def: $vgpr4
	s_and_saveexec_b32 s72, vcc_lo
	s_xor_b32 s72, exec_lo, s72
	s_cbranch_execz .LBB4_8047
; %bb.8044:                             ;   in Loop: Header=BB4_7689 Depth=3
	v_and_b32_e32 v4, 0xff, v90
	s_mov_b32 s73, exec_lo
	s_delay_alu instid0(VALU_DEP_1) | instskip(NEXT) | instid1(VALU_DEP_1)
	v_bfe_u32 v4, v4, 2, 5
	v_cmpx_eq_u32_e32 0, v4
	s_cbranch_execz .LBB4_8046
; %bb.8045:                             ;   in Loop: Header=BB4_7689 Depth=3
	v_clz_i32_u32_e32 v4, v5
	s_delay_alu instid0(VALU_DEP_1) | instskip(SKIP_1) | instid1(VALU_DEP_2)
	v_min_u32_e32 v4, 32, v4
	v_mov_b32_e32 v91, v3
	v_subrev_nc_u32_e32 v5, 29, v4
	v_sub_nc_u32_e32 v4, 30, v4
	s_delay_alu instid0(VALU_DEP_2) | instskip(NEXT) | instid1(VALU_DEP_1)
	v_lshlrev_b64_e32 v[24:25], v5, v[90:91]
	v_and_b32_e32 v5, 3, v24
.LBB4_8046:                             ;   in Loop: Header=BB4_7689 Depth=3
	s_or_b32 exec_lo, exec_lo, s73
	v_bfe_i32 v15, v90, 0, 16
                                        ; implicit-def: $vgpr90
	s_delay_alu instid0(VALU_DEP_1) | instskip(NEXT) | instid1(VALU_DEP_1)
	v_and_b32_e32 v15, 0x80000000, v15
	v_lshl_add_u32 v4, v4, 23, v15
	s_delay_alu instid0(VALU_DEP_1) | instskip(NEXT) | instid1(VALU_DEP_1)
	v_lshl_or_b32 v4, v5, 21, v4
                                        ; implicit-def: $vgpr5
	v_add_nc_u32_e32 v4, 0x38000000, v4
.LBB4_8047:                             ;   in Loop: Header=BB4_7689 Depth=3
	s_and_not1_saveexec_b32 s72, s72
; %bb.8048:                             ;   in Loop: Header=BB4_7689 Depth=3
	v_cmp_lt_i16_e32 vcc_lo, -1, v90
	v_cndmask_b32_e32 v4, 0xff800000, v112, vcc_lo
	v_cmp_eq_u32_e32 vcc_lo, 0, v5
	s_delay_alu instid0(VALU_DEP_2)
	v_cndmask_b32_e32 v4, 0x7f800001, v4, vcc_lo
; %bb.8049:                             ;   in Loop: Header=BB4_7689 Depth=3
	s_or_b32 exec_lo, exec_lo, s72
.LBB4_8050:                             ;   in Loop: Header=BB4_7689 Depth=3
	s_delay_alu instid0(SALU_CYCLE_1)
	s_or_b32 exec_lo, exec_lo, s43
.LBB4_8051:                             ;   in Loop: Header=BB4_7689 Depth=3
	s_delay_alu instid0(SALU_CYCLE_1) | instskip(NEXT) | instid1(SALU_CYCLE_1)
	s_or_b32 exec_lo, exec_lo, s13
	s_mov_b32 s13, exec_lo
	s_wait_loadcnt_dscnt 0x707
	v_cmpx_ne_u16_e32 0, v88
	s_cbranch_execz .LBB4_8061
; %bb.8052:                             ;   in Loop: Header=BB4_7689 Depth=3
	v_bfrev_b32_e32 v2, 1
	s_mov_b32 s43, exec_lo
	v_cmpx_ne_u16_e32 0xff80, v88
	s_cbranch_execz .LBB4_8060
; %bb.8053:                             ;   in Loop: Header=BB4_7689 Depth=3
	v_and_b32_e32 v2, 0x7c, v88
	v_and_b32_e32 v5, 3, v88
	s_delay_alu instid0(VALU_DEP_2) | instskip(SKIP_1) | instid1(SALU_CYCLE_1)
	v_cmp_ne_u32_e32 vcc_lo, 0x7c, v2
                                        ; implicit-def: $vgpr2
	s_and_saveexec_b32 s72, vcc_lo
	s_xor_b32 s72, exec_lo, s72
	s_cbranch_execz .LBB4_8057
; %bb.8054:                             ;   in Loop: Header=BB4_7689 Depth=3
	v_and_b32_e32 v2, 0xff, v88
	s_mov_b32 s73, exec_lo
	s_delay_alu instid0(VALU_DEP_1) | instskip(NEXT) | instid1(VALU_DEP_1)
	v_bfe_u32 v2, v2, 2, 5
	v_cmpx_eq_u32_e32 0, v2
	s_cbranch_execz .LBB4_8056
; %bb.8055:                             ;   in Loop: Header=BB4_7689 Depth=3
	v_clz_i32_u32_e32 v2, v5
	s_delay_alu instid0(VALU_DEP_1) | instskip(SKIP_1) | instid1(VALU_DEP_2)
	v_min_u32_e32 v2, 32, v2
	v_mov_b32_e32 v89, v3
	v_subrev_nc_u32_e32 v5, 29, v2
	v_sub_nc_u32_e32 v2, 30, v2
	s_delay_alu instid0(VALU_DEP_2) | instskip(NEXT) | instid1(VALU_DEP_1)
	v_lshlrev_b64_e32 v[24:25], v5, v[88:89]
	v_and_b32_e32 v5, 3, v24
.LBB4_8056:                             ;   in Loop: Header=BB4_7689 Depth=3
	s_or_b32 exec_lo, exec_lo, s73
	v_bfe_i32 v15, v88, 0, 16
                                        ; implicit-def: $vgpr88
	s_delay_alu instid0(VALU_DEP_1) | instskip(NEXT) | instid1(VALU_DEP_1)
	v_and_b32_e32 v15, 0x80000000, v15
	v_lshl_add_u32 v2, v2, 23, v15
	s_delay_alu instid0(VALU_DEP_1) | instskip(NEXT) | instid1(VALU_DEP_1)
	v_lshl_or_b32 v2, v5, 21, v2
                                        ; implicit-def: $vgpr5
	v_add_nc_u32_e32 v2, 0x38000000, v2
.LBB4_8057:                             ;   in Loop: Header=BB4_7689 Depth=3
	s_and_not1_saveexec_b32 s72, s72
; %bb.8058:                             ;   in Loop: Header=BB4_7689 Depth=3
	v_cmp_lt_i16_e32 vcc_lo, -1, v88
	v_cndmask_b32_e32 v2, 0xff800000, v112, vcc_lo
	v_cmp_eq_u32_e32 vcc_lo, 0, v5
	s_delay_alu instid0(VALU_DEP_2)
	v_cndmask_b32_e32 v2, 0x7f800001, v2, vcc_lo
; %bb.8059:                             ;   in Loop: Header=BB4_7689 Depth=3
	s_or_b32 exec_lo, exec_lo, s72
.LBB4_8060:                             ;   in Loop: Header=BB4_7689 Depth=3
	s_delay_alu instid0(SALU_CYCLE_1)
	s_or_b32 exec_lo, exec_lo, s43
.LBB4_8061:                             ;   in Loop: Header=BB4_7689 Depth=3
	s_delay_alu instid0(SALU_CYCLE_1) | instskip(NEXT) | instid1(VALU_DEP_1)
	s_or_b32 exec_lo, exec_lo, s13
	v_dual_mul_f32 v4, v4, v2 :: v_dual_mov_b32 v25, v3
                                        ; implicit-def: $vgpr31
	s_mov_b32 s13, exec_lo
	s_delay_alu instid0(VALU_DEP_1) | instskip(SKIP_1) | instid1(VALU_DEP_2)
	v_and_b32_e32 v24, 0x7f800000, v4
	v_and_b32_e32 v2, 0x7fffff, v4
	v_cmpx_ne_u64_e32 0x7f800000, v[24:25]
	s_xor_b32 s43, exec_lo, s13
	s_cbranch_execz .LBB4_8079
; %bb.8062:                             ;   in Loop: Header=BB4_7689 Depth=3
	v_dual_mov_b32 v25, v3 :: v_dual_lshrrev_b32 v5, 24, v4
	v_and_b32_e32 v24, 0x7fffffff, v4
                                        ; implicit-def: $vgpr31
	s_mov_b32 s13, exec_lo
	s_delay_alu instid0(VALU_DEP_2) | instskip(NEXT) | instid1(VALU_DEP_2)
	v_and_b32_e32 v15, 0x80, v5
	v_cmpx_gt_u64_e32 0x47600001, v[24:25]
	s_xor_b32 s72, exec_lo, s13
	s_cbranch_execz .LBB4_8076
; %bb.8063:                             ;   in Loop: Header=BB4_7689 Depth=3
	v_mov_b32_e32 v31, 0
	s_mov_b32 s73, exec_lo
	v_cmpx_ne_u32_e32 0, v4
	s_cbranch_execz .LBB4_8075
; %bb.8064:                             ;   in Loop: Header=BB4_7689 Depth=3
	v_bfe_u32 v17, v4, 23, 8
	v_or_b32_e32 v21, 0x800000, v2
	s_mov_b32 s74, exec_lo
	s_delay_alu instid0(VALU_DEP_2) | instskip(SKIP_1) | instid1(VALU_DEP_2)
	v_dual_mov_b32 v25, v3 :: v_dual_sub_nc_u32 v4, 0x71, v17
	v_cmp_gt_u32_e32 vcc_lo, 0x72, v17
	v_cndmask_b32_e32 v4, 0, v4, vcc_lo
	v_cmp_eq_u32_e32 vcc_lo, 0, v17
	s_delay_alu instid0(VALU_DEP_2) | instskip(NEXT) | instid1(VALU_DEP_1)
	v_cndmask_b32_e64 v19, v4, 0x70, vcc_lo
	v_dual_cndmask_b32 v24, v21, v2, vcc_lo :: v_dual_add_nc_u32 v4, 21, v19
	v_add_nc_u32_e32 v23, 20, v19
	s_delay_alu instid0(VALU_DEP_2) | instskip(NEXT) | instid1(VALU_DEP_2)
	v_lshlrev_b64_e64 v[4:5], v4, -1
	v_lshlrev_b64_e64 v[84:85], v23, 1
	s_delay_alu instid0(VALU_DEP_2) | instskip(NEXT) | instid1(VALU_DEP_3)
	v_bfi_b32 v103, v5, 0, 0
	v_bfi_b32 v102, v4, 0, v24
	v_lshrrev_b64 v[4:5], v19, v[24:25]
	s_delay_alu instid0(VALU_DEP_1) | instskip(NEXT) | instid1(VALU_DEP_3)
	v_mov_b64_e32 v[24:25], v[4:5]
	v_cmpx_eq_u64_e64 v[102:103], v[84:85]
; %bb.8065:                             ;   in Loop: Header=BB4_7689 Depth=3
	v_bfe_u32 v24, v4, 21, 1
	v_mov_b32_e32 v25, v3
	s_delay_alu instid0(VALU_DEP_1) | instskip(NEXT) | instid1(VALU_DEP_1)
	v_add_nc_u64_e32 v[24:25], v[4:5], v[24:25]
	v_add_nc_u64_e32 v[24:25], -1, v[24:25]
; %bb.8066:                             ;   in Loop: Header=BB4_7689 Depth=3
	s_or_b32 exec_lo, exec_lo, s74
	v_add_nc_u32_e32 v2, 0xffffff81, v17
	v_lshrrev_b32_e32 v5, 23, v4
	s_mov_b32 s13, exec_lo
                                        ; implicit-def: $vgpr17
	s_delay_alu instid0(VALU_DEP_2) | instskip(NEXT) | instid1(VALU_DEP_1)
	v_cndmask_b32_e64 v2, v2, 0xffffff82, vcc_lo
	v_add3_u32 v19, v19, v2, v5
	v_and_b32_e32 v2, 0x1fffff, v24
	s_delay_alu instid0(VALU_DEP_1) | instskip(NEXT) | instid1(VALU_DEP_1)
	v_dual_add_nc_u32 v21, 14, v19 :: v_dual_add_nc_u32 v2, v2, v4
                                        ; implicit-def: $vgpr4_vgpr5
	v_cmpx_ne_u32_e32 0, v21
	s_xor_b32 s13, exec_lo, s13
; %bb.8067:                             ;   in Loop: Header=BB4_7689 Depth=3
	s_delay_alu instid0(VALU_DEP_2) | instskip(SKIP_1) | instid1(VALU_DEP_1)
	v_cmp_lt_u64_e32 vcc_lo, 0xffffff, v[2:3]
	v_add_nc_u32_e32 v4, 15, v19
	v_cndmask_b32_e32 v17, v21, v4, vcc_lo
	v_cndmask_b32_e64 v4, 0, 1, vcc_lo
	s_delay_alu instid0(VALU_DEP_1)
	v_lshrrev_b64 v[4:5], v4, v[2:3]
; %bb.8068:                             ;   in Loop: Header=BB4_7689 Depth=3
	s_and_not1_saveexec_b32 s13, s13
; %bb.8069:                             ;   in Loop: Header=BB4_7689 Depth=3
	v_mov_b64_e32 v[4:5], v[2:3]
	v_bfe_u32 v17, v2, 23, 1
; %bb.8070:                             ;   in Loop: Header=BB4_7689 Depth=3
	s_or_b32 exec_lo, exec_lo, s13
	s_delay_alu instid0(VALU_DEP_2) | instskip(NEXT) | instid1(VALU_DEP_2)
	v_lshrrev_b64 v[4:5], 21, v[4:5]
	v_cmp_gt_i32_e32 vcc_lo, 32, v17
	v_cmp_ne_u32_e64 s13, 0, v17
                                        ; implicit-def: $vgpr31
	s_delay_alu instid0(VALU_DEP_3) | instskip(NEXT) | instid1(VALU_DEP_1)
	v_dual_cndmask_b32 v5, 0, v5 :: v_dual_cndmask_b32 v4, 3, v4
	v_cmp_ne_u64_e32 vcc_lo, 0, v[4:5]
	s_or_b32 s13, s13, vcc_lo
	s_delay_alu instid0(SALU_CYCLE_1) | instskip(NEXT) | instid1(SALU_CYCLE_1)
	s_and_saveexec_b32 s74, s13
	s_xor_b32 s13, exec_lo, s74
; %bb.8071:                             ;   in Loop: Header=BB4_7689 Depth=3
	v_min_i32_e32 v2, 31, v17
	s_delay_alu instid0(VALU_DEP_1) | instskip(NEXT) | instid1(VALU_DEP_1)
	v_lshl_or_b32 v2, v2, 2, v15
                                        ; implicit-def: $vgpr15
	v_and_or_b32 v31, v4, 3, v2
; %bb.8072:                             ;   in Loop: Header=BB4_7689 Depth=3
	s_and_not1_saveexec_b32 s13, s13
; %bb.8073:                             ;   in Loop: Header=BB4_7689 Depth=3
	v_mov_b32_e32 v31, v15
; %bb.8074:                             ;   in Loop: Header=BB4_7689 Depth=3
	s_or_b32 exec_lo, exec_lo, s13
.LBB4_8075:                             ;   in Loop: Header=BB4_7689 Depth=3
	s_delay_alu instid0(SALU_CYCLE_1)
	s_or_b32 exec_lo, exec_lo, s73
                                        ; implicit-def: $vgpr15
.LBB4_8076:                             ;   in Loop: Header=BB4_7689 Depth=3
	s_and_not1_saveexec_b32 s13, s72
; %bb.8077:                             ;   in Loop: Header=BB4_7689 Depth=3
	v_or_b32_e32 v31, 0x7b, v15
; %bb.8078:                             ;   in Loop: Header=BB4_7689 Depth=3
	s_or_b32 exec_lo, exec_lo, s13
                                        ; implicit-def: $vgpr4
.LBB4_8079:                             ;   in Loop: Header=BB4_7689 Depth=3
	s_and_not1_saveexec_b32 s13, s43
	s_cbranch_execz .LBB4_8085
; %bb.8080:                             ;   in Loop: Header=BB4_7689 Depth=3
	s_mov_b32 s43, exec_lo
                                        ; implicit-def: $vgpr31
	v_cmpx_ne_u64_e32 0, v[2:3]
	s_xor_b32 s43, exec_lo, s43
; %bb.8081:                             ;   in Loop: Header=BB4_7689 Depth=3
	v_lshrrev_b32_e32 v2, 24, v4
                                        ; implicit-def: $vgpr4
	s_delay_alu instid0(VALU_DEP_1)
	v_or_b32_e32 v31, 0x7f, v2
; %bb.8082:                             ;   in Loop: Header=BB4_7689 Depth=3
	s_and_not1_saveexec_b32 s43, s43
; %bb.8083:                             ;   in Loop: Header=BB4_7689 Depth=3
	v_cmp_lt_i32_e32 vcc_lo, -1, v4
	v_cndmask_b32_e64 v31, -4, 0x7c, vcc_lo
; %bb.8084:                             ;   in Loop: Header=BB4_7689 Depth=3
	s_or_b32 exec_lo, exec_lo, s43
.LBB4_8085:                             ;   in Loop: Header=BB4_7689 Depth=3
	s_delay_alu instid0(SALU_CYCLE_1)
	s_or_b32 exec_lo, exec_lo, s13
	v_dual_mov_b32 v2, 0 :: v_dual_mov_b32 v4, 0
	s_mov_b32 s13, exec_lo
	v_cmpx_ne_u16_e32 0, v78
	s_cbranch_execz .LBB4_8095
; %bb.8086:                             ;   in Loop: Header=BB4_7689 Depth=3
	v_bfrev_b32_e32 v4, 1
	s_mov_b32 s43, exec_lo
	v_cmpx_ne_u16_e32 0xff80, v78
	s_cbranch_execz .LBB4_8094
; %bb.8087:                             ;   in Loop: Header=BB4_7689 Depth=3
	v_and_b32_e32 v4, 0x7c, v78
	v_and_b32_e32 v5, 3, v78
	s_delay_alu instid0(VALU_DEP_2) | instskip(SKIP_1) | instid1(SALU_CYCLE_1)
	v_cmp_ne_u32_e32 vcc_lo, 0x7c, v4
                                        ; implicit-def: $vgpr4
	s_and_saveexec_b32 s72, vcc_lo
	s_xor_b32 s72, exec_lo, s72
	s_cbranch_execz .LBB4_8091
; %bb.8088:                             ;   in Loop: Header=BB4_7689 Depth=3
	v_and_b32_e32 v4, 0xff, v78
	s_mov_b32 s73, exec_lo
	s_delay_alu instid0(VALU_DEP_1) | instskip(NEXT) | instid1(VALU_DEP_1)
	v_bfe_u32 v4, v4, 2, 5
	v_cmpx_eq_u32_e32 0, v4
	s_cbranch_execz .LBB4_8090
; %bb.8089:                             ;   in Loop: Header=BB4_7689 Depth=3
	v_clz_i32_u32_e32 v4, v5
	s_delay_alu instid0(VALU_DEP_1) | instskip(SKIP_1) | instid1(VALU_DEP_2)
	v_min_u32_e32 v4, 32, v4
	v_mov_b32_e32 v79, v3
	v_subrev_nc_u32_e32 v5, 29, v4
	v_sub_nc_u32_e32 v4, 30, v4
	s_delay_alu instid0(VALU_DEP_2) | instskip(NEXT) | instid1(VALU_DEP_1)
	v_lshlrev_b64_e32 v[24:25], v5, v[78:79]
	v_and_b32_e32 v5, 3, v24
.LBB4_8090:                             ;   in Loop: Header=BB4_7689 Depth=3
	s_or_b32 exec_lo, exec_lo, s73
	v_bfe_i32 v15, v78, 0, 16
                                        ; implicit-def: $vgpr78
	s_delay_alu instid0(VALU_DEP_1) | instskip(NEXT) | instid1(VALU_DEP_1)
	v_and_b32_e32 v15, 0x80000000, v15
	v_lshl_add_u32 v4, v4, 23, v15
	s_delay_alu instid0(VALU_DEP_1) | instskip(NEXT) | instid1(VALU_DEP_1)
	v_lshl_or_b32 v4, v5, 21, v4
                                        ; implicit-def: $vgpr5
	v_add_nc_u32_e32 v4, 0x38000000, v4
.LBB4_8091:                             ;   in Loop: Header=BB4_7689 Depth=3
	s_and_not1_saveexec_b32 s72, s72
; %bb.8092:                             ;   in Loop: Header=BB4_7689 Depth=3
	v_cmp_lt_i16_e32 vcc_lo, -1, v78
	v_cndmask_b32_e32 v4, 0xff800000, v112, vcc_lo
	v_cmp_eq_u32_e32 vcc_lo, 0, v5
	s_delay_alu instid0(VALU_DEP_2)
	v_cndmask_b32_e32 v4, 0x7f800001, v4, vcc_lo
; %bb.8093:                             ;   in Loop: Header=BB4_7689 Depth=3
	s_or_b32 exec_lo, exec_lo, s72
.LBB4_8094:                             ;   in Loop: Header=BB4_7689 Depth=3
	s_delay_alu instid0(SALU_CYCLE_1)
	s_or_b32 exec_lo, exec_lo, s43
.LBB4_8095:                             ;   in Loop: Header=BB4_7689 Depth=3
	s_delay_alu instid0(SALU_CYCLE_1) | instskip(NEXT) | instid1(SALU_CYCLE_1)
	s_or_b32 exec_lo, exec_lo, s13
	s_mov_b32 s13, exec_lo
	s_wait_loadcnt_dscnt 0x606
	v_cmpx_ne_u16_e32 0, v76
	s_cbranch_execz .LBB4_8105
; %bb.8096:                             ;   in Loop: Header=BB4_7689 Depth=3
	v_bfrev_b32_e32 v2, 1
	s_mov_b32 s43, exec_lo
	v_cmpx_ne_u16_e32 0xff80, v76
	s_cbranch_execz .LBB4_8104
; %bb.8097:                             ;   in Loop: Header=BB4_7689 Depth=3
	v_and_b32_e32 v2, 0x7c, v76
	v_and_b32_e32 v5, 3, v76
	s_delay_alu instid0(VALU_DEP_2) | instskip(SKIP_1) | instid1(SALU_CYCLE_1)
	v_cmp_ne_u32_e32 vcc_lo, 0x7c, v2
                                        ; implicit-def: $vgpr2
	s_and_saveexec_b32 s72, vcc_lo
	s_xor_b32 s72, exec_lo, s72
	s_cbranch_execz .LBB4_8101
; %bb.8098:                             ;   in Loop: Header=BB4_7689 Depth=3
	v_and_b32_e32 v2, 0xff, v76
	s_mov_b32 s73, exec_lo
	s_delay_alu instid0(VALU_DEP_1) | instskip(NEXT) | instid1(VALU_DEP_1)
	v_bfe_u32 v2, v2, 2, 5
	v_cmpx_eq_u32_e32 0, v2
	s_cbranch_execz .LBB4_8100
; %bb.8099:                             ;   in Loop: Header=BB4_7689 Depth=3
	v_clz_i32_u32_e32 v2, v5
	s_delay_alu instid0(VALU_DEP_1) | instskip(SKIP_1) | instid1(VALU_DEP_2)
	v_min_u32_e32 v2, 32, v2
	v_mov_b32_e32 v77, v3
	v_subrev_nc_u32_e32 v5, 29, v2
	v_sub_nc_u32_e32 v2, 30, v2
	s_delay_alu instid0(VALU_DEP_2) | instskip(NEXT) | instid1(VALU_DEP_1)
	v_lshlrev_b64_e32 v[24:25], v5, v[76:77]
	v_and_b32_e32 v5, 3, v24
.LBB4_8100:                             ;   in Loop: Header=BB4_7689 Depth=3
	s_or_b32 exec_lo, exec_lo, s73
	v_bfe_i32 v15, v76, 0, 16
                                        ; implicit-def: $vgpr76
	s_delay_alu instid0(VALU_DEP_1) | instskip(NEXT) | instid1(VALU_DEP_1)
	v_and_b32_e32 v15, 0x80000000, v15
	v_lshl_add_u32 v2, v2, 23, v15
	s_delay_alu instid0(VALU_DEP_1) | instskip(NEXT) | instid1(VALU_DEP_1)
	v_lshl_or_b32 v2, v5, 21, v2
                                        ; implicit-def: $vgpr5
	v_add_nc_u32_e32 v2, 0x38000000, v2
.LBB4_8101:                             ;   in Loop: Header=BB4_7689 Depth=3
	s_and_not1_saveexec_b32 s72, s72
; %bb.8102:                             ;   in Loop: Header=BB4_7689 Depth=3
	v_cmp_lt_i16_e32 vcc_lo, -1, v76
	v_cndmask_b32_e32 v2, 0xff800000, v112, vcc_lo
	v_cmp_eq_u32_e32 vcc_lo, 0, v5
	s_delay_alu instid0(VALU_DEP_2)
	v_cndmask_b32_e32 v2, 0x7f800001, v2, vcc_lo
; %bb.8103:                             ;   in Loop: Header=BB4_7689 Depth=3
	s_or_b32 exec_lo, exec_lo, s72
.LBB4_8104:                             ;   in Loop: Header=BB4_7689 Depth=3
	s_delay_alu instid0(SALU_CYCLE_1)
	s_or_b32 exec_lo, exec_lo, s43
.LBB4_8105:                             ;   in Loop: Header=BB4_7689 Depth=3
	s_delay_alu instid0(SALU_CYCLE_1) | instskip(NEXT) | instid1(VALU_DEP_1)
	s_or_b32 exec_lo, exec_lo, s13
	v_dual_mul_f32 v4, v4, v2 :: v_dual_mov_b32 v25, v3
                                        ; implicit-def: $vgpr67
	s_mov_b32 s13, exec_lo
	s_delay_alu instid0(VALU_DEP_1) | instskip(SKIP_1) | instid1(VALU_DEP_2)
	v_and_b32_e32 v24, 0x7f800000, v4
	v_and_b32_e32 v2, 0x7fffff, v4
	v_cmpx_ne_u64_e32 0x7f800000, v[24:25]
	s_xor_b32 s43, exec_lo, s13
	s_cbranch_execz .LBB4_8123
; %bb.8106:                             ;   in Loop: Header=BB4_7689 Depth=3
	v_dual_mov_b32 v25, v3 :: v_dual_lshrrev_b32 v5, 24, v4
	v_and_b32_e32 v24, 0x7fffffff, v4
                                        ; implicit-def: $vgpr67
	s_mov_b32 s13, exec_lo
	s_delay_alu instid0(VALU_DEP_2) | instskip(NEXT) | instid1(VALU_DEP_2)
	v_and_b32_e32 v15, 0x80, v5
	v_cmpx_gt_u64_e32 0x47600001, v[24:25]
	s_xor_b32 s72, exec_lo, s13
	s_cbranch_execz .LBB4_8120
; %bb.8107:                             ;   in Loop: Header=BB4_7689 Depth=3
	v_mov_b32_e32 v67, 0
	s_mov_b32 s73, exec_lo
	v_cmpx_ne_u32_e32 0, v4
	s_cbranch_execz .LBB4_8119
; %bb.8108:                             ;   in Loop: Header=BB4_7689 Depth=3
	v_bfe_u32 v17, v4, 23, 8
	v_or_b32_e32 v21, 0x800000, v2
	s_mov_b32 s74, exec_lo
	s_delay_alu instid0(VALU_DEP_2) | instskip(SKIP_1) | instid1(VALU_DEP_2)
	v_dual_mov_b32 v25, v3 :: v_dual_sub_nc_u32 v4, 0x71, v17
	v_cmp_gt_u32_e32 vcc_lo, 0x72, v17
	v_cndmask_b32_e32 v4, 0, v4, vcc_lo
	v_cmp_eq_u32_e32 vcc_lo, 0, v17
	s_delay_alu instid0(VALU_DEP_2) | instskip(NEXT) | instid1(VALU_DEP_1)
	v_cndmask_b32_e64 v19, v4, 0x70, vcc_lo
	v_dual_cndmask_b32 v24, v21, v2, vcc_lo :: v_dual_add_nc_u32 v4, 21, v19
	v_add_nc_u32_e32 v23, 20, v19
	s_delay_alu instid0(VALU_DEP_2) | instskip(NEXT) | instid1(VALU_DEP_2)
	v_lshlrev_b64_e64 v[4:5], v4, -1
	v_lshlrev_b64_e64 v[84:85], v23, 1
	s_delay_alu instid0(VALU_DEP_2) | instskip(NEXT) | instid1(VALU_DEP_3)
	v_bfi_b32 v103, v5, 0, 0
	v_bfi_b32 v102, v4, 0, v24
	v_lshrrev_b64 v[4:5], v19, v[24:25]
	s_delay_alu instid0(VALU_DEP_1) | instskip(NEXT) | instid1(VALU_DEP_3)
	v_mov_b64_e32 v[24:25], v[4:5]
	v_cmpx_eq_u64_e64 v[102:103], v[84:85]
; %bb.8109:                             ;   in Loop: Header=BB4_7689 Depth=3
	v_bfe_u32 v24, v4, 21, 1
	v_mov_b32_e32 v25, v3
	s_delay_alu instid0(VALU_DEP_1) | instskip(NEXT) | instid1(VALU_DEP_1)
	v_add_nc_u64_e32 v[24:25], v[4:5], v[24:25]
	v_add_nc_u64_e32 v[24:25], -1, v[24:25]
; %bb.8110:                             ;   in Loop: Header=BB4_7689 Depth=3
	s_or_b32 exec_lo, exec_lo, s74
	v_add_nc_u32_e32 v2, 0xffffff81, v17
	v_lshrrev_b32_e32 v5, 23, v4
	s_mov_b32 s13, exec_lo
                                        ; implicit-def: $vgpr17
	s_delay_alu instid0(VALU_DEP_2) | instskip(NEXT) | instid1(VALU_DEP_1)
	v_cndmask_b32_e64 v2, v2, 0xffffff82, vcc_lo
	v_add3_u32 v19, v19, v2, v5
	v_and_b32_e32 v2, 0x1fffff, v24
	s_delay_alu instid0(VALU_DEP_1) | instskip(NEXT) | instid1(VALU_DEP_1)
	v_dual_add_nc_u32 v21, 14, v19 :: v_dual_add_nc_u32 v2, v2, v4
                                        ; implicit-def: $vgpr4_vgpr5
	v_cmpx_ne_u32_e32 0, v21
	s_xor_b32 s13, exec_lo, s13
; %bb.8111:                             ;   in Loop: Header=BB4_7689 Depth=3
	s_delay_alu instid0(VALU_DEP_2) | instskip(SKIP_1) | instid1(VALU_DEP_1)
	v_cmp_lt_u64_e32 vcc_lo, 0xffffff, v[2:3]
	v_add_nc_u32_e32 v4, 15, v19
	v_cndmask_b32_e32 v17, v21, v4, vcc_lo
	v_cndmask_b32_e64 v4, 0, 1, vcc_lo
	s_delay_alu instid0(VALU_DEP_1)
	v_lshrrev_b64 v[4:5], v4, v[2:3]
; %bb.8112:                             ;   in Loop: Header=BB4_7689 Depth=3
	s_and_not1_saveexec_b32 s13, s13
; %bb.8113:                             ;   in Loop: Header=BB4_7689 Depth=3
	v_mov_b64_e32 v[4:5], v[2:3]
	v_bfe_u32 v17, v2, 23, 1
; %bb.8114:                             ;   in Loop: Header=BB4_7689 Depth=3
	s_or_b32 exec_lo, exec_lo, s13
	s_delay_alu instid0(VALU_DEP_2) | instskip(NEXT) | instid1(VALU_DEP_2)
	v_lshrrev_b64 v[4:5], 21, v[4:5]
	v_cmp_gt_i32_e32 vcc_lo, 32, v17
	v_cmp_ne_u32_e64 s13, 0, v17
                                        ; implicit-def: $vgpr67
	s_delay_alu instid0(VALU_DEP_3) | instskip(NEXT) | instid1(VALU_DEP_1)
	v_dual_cndmask_b32 v5, 0, v5 :: v_dual_cndmask_b32 v4, 3, v4
	v_cmp_ne_u64_e32 vcc_lo, 0, v[4:5]
	s_or_b32 s13, s13, vcc_lo
	s_delay_alu instid0(SALU_CYCLE_1) | instskip(NEXT) | instid1(SALU_CYCLE_1)
	s_and_saveexec_b32 s74, s13
	s_xor_b32 s13, exec_lo, s74
; %bb.8115:                             ;   in Loop: Header=BB4_7689 Depth=3
	v_min_i32_e32 v2, 31, v17
	s_delay_alu instid0(VALU_DEP_1) | instskip(NEXT) | instid1(VALU_DEP_1)
	v_lshl_or_b32 v2, v2, 2, v15
                                        ; implicit-def: $vgpr15
	v_and_or_b32 v67, v4, 3, v2
; %bb.8116:                             ;   in Loop: Header=BB4_7689 Depth=3
	s_and_not1_saveexec_b32 s13, s13
; %bb.8117:                             ;   in Loop: Header=BB4_7689 Depth=3
	v_mov_b32_e32 v67, v15
; %bb.8118:                             ;   in Loop: Header=BB4_7689 Depth=3
	s_or_b32 exec_lo, exec_lo, s13
.LBB4_8119:                             ;   in Loop: Header=BB4_7689 Depth=3
	s_delay_alu instid0(SALU_CYCLE_1)
	s_or_b32 exec_lo, exec_lo, s73
                                        ; implicit-def: $vgpr15
.LBB4_8120:                             ;   in Loop: Header=BB4_7689 Depth=3
	s_and_not1_saveexec_b32 s13, s72
; %bb.8121:                             ;   in Loop: Header=BB4_7689 Depth=3
	v_or_b32_e32 v67, 0x7b, v15
; %bb.8122:                             ;   in Loop: Header=BB4_7689 Depth=3
	s_or_b32 exec_lo, exec_lo, s13
                                        ; implicit-def: $vgpr4
.LBB4_8123:                             ;   in Loop: Header=BB4_7689 Depth=3
	s_and_not1_saveexec_b32 s13, s43
	s_cbranch_execz .LBB4_8129
; %bb.8124:                             ;   in Loop: Header=BB4_7689 Depth=3
	s_mov_b32 s43, exec_lo
                                        ; implicit-def: $vgpr67
	v_cmpx_ne_u64_e32 0, v[2:3]
	s_xor_b32 s43, exec_lo, s43
; %bb.8125:                             ;   in Loop: Header=BB4_7689 Depth=3
	v_lshrrev_b32_e32 v2, 24, v4
                                        ; implicit-def: $vgpr4
	s_delay_alu instid0(VALU_DEP_1)
	v_or_b32_e32 v67, 0x7f, v2
; %bb.8126:                             ;   in Loop: Header=BB4_7689 Depth=3
	s_and_not1_saveexec_b32 s43, s43
; %bb.8127:                             ;   in Loop: Header=BB4_7689 Depth=3
	v_cmp_lt_i32_e32 vcc_lo, -1, v4
	v_cndmask_b32_e64 v67, -4, 0x7c, vcc_lo
; %bb.8128:                             ;   in Loop: Header=BB4_7689 Depth=3
	s_or_b32 exec_lo, exec_lo, s43
.LBB4_8129:                             ;   in Loop: Header=BB4_7689 Depth=3
	s_delay_alu instid0(SALU_CYCLE_1)
	s_or_b32 exec_lo, exec_lo, s13
	v_dual_mov_b32 v2, 0 :: v_dual_mov_b32 v4, 0
	s_mov_b32 s13, exec_lo
	v_cmpx_ne_u16_e32 0, v74
	s_cbranch_execz .LBB4_8139
; %bb.8130:                             ;   in Loop: Header=BB4_7689 Depth=3
	v_bfrev_b32_e32 v4, 1
	s_mov_b32 s43, exec_lo
	v_cmpx_ne_u16_e32 0xff80, v74
	s_cbranch_execz .LBB4_8138
; %bb.8131:                             ;   in Loop: Header=BB4_7689 Depth=3
	v_and_b32_e32 v4, 0x7c, v74
	v_and_b32_e32 v5, 3, v74
	s_delay_alu instid0(VALU_DEP_2) | instskip(SKIP_1) | instid1(SALU_CYCLE_1)
	v_cmp_ne_u32_e32 vcc_lo, 0x7c, v4
                                        ; implicit-def: $vgpr4
	s_and_saveexec_b32 s72, vcc_lo
	s_xor_b32 s72, exec_lo, s72
	s_cbranch_execz .LBB4_8135
; %bb.8132:                             ;   in Loop: Header=BB4_7689 Depth=3
	v_and_b32_e32 v4, 0xff, v74
	s_mov_b32 s73, exec_lo
	s_delay_alu instid0(VALU_DEP_1) | instskip(NEXT) | instid1(VALU_DEP_1)
	v_bfe_u32 v4, v4, 2, 5
	v_cmpx_eq_u32_e32 0, v4
	s_cbranch_execz .LBB4_8134
; %bb.8133:                             ;   in Loop: Header=BB4_7689 Depth=3
	v_clz_i32_u32_e32 v4, v5
	s_delay_alu instid0(VALU_DEP_1) | instskip(SKIP_1) | instid1(VALU_DEP_2)
	v_min_u32_e32 v4, 32, v4
	v_mov_b32_e32 v75, v3
	v_subrev_nc_u32_e32 v5, 29, v4
	v_sub_nc_u32_e32 v4, 30, v4
	s_delay_alu instid0(VALU_DEP_2) | instskip(NEXT) | instid1(VALU_DEP_1)
	v_lshlrev_b64_e32 v[24:25], v5, v[74:75]
	v_and_b32_e32 v5, 3, v24
.LBB4_8134:                             ;   in Loop: Header=BB4_7689 Depth=3
	s_or_b32 exec_lo, exec_lo, s73
	v_bfe_i32 v15, v74, 0, 16
                                        ; implicit-def: $vgpr74
	s_delay_alu instid0(VALU_DEP_1) | instskip(NEXT) | instid1(VALU_DEP_1)
	v_and_b32_e32 v15, 0x80000000, v15
	v_lshl_add_u32 v4, v4, 23, v15
	s_delay_alu instid0(VALU_DEP_1) | instskip(NEXT) | instid1(VALU_DEP_1)
	v_lshl_or_b32 v4, v5, 21, v4
                                        ; implicit-def: $vgpr5
	v_add_nc_u32_e32 v4, 0x38000000, v4
.LBB4_8135:                             ;   in Loop: Header=BB4_7689 Depth=3
	s_and_not1_saveexec_b32 s72, s72
; %bb.8136:                             ;   in Loop: Header=BB4_7689 Depth=3
	v_cmp_lt_i16_e32 vcc_lo, -1, v74
	v_cndmask_b32_e32 v4, 0xff800000, v112, vcc_lo
	v_cmp_eq_u32_e32 vcc_lo, 0, v5
	s_delay_alu instid0(VALU_DEP_2)
	v_cndmask_b32_e32 v4, 0x7f800001, v4, vcc_lo
; %bb.8137:                             ;   in Loop: Header=BB4_7689 Depth=3
	s_or_b32 exec_lo, exec_lo, s72
.LBB4_8138:                             ;   in Loop: Header=BB4_7689 Depth=3
	s_delay_alu instid0(SALU_CYCLE_1)
	s_or_b32 exec_lo, exec_lo, s43
.LBB4_8139:                             ;   in Loop: Header=BB4_7689 Depth=3
	s_delay_alu instid0(SALU_CYCLE_1) | instskip(NEXT) | instid1(SALU_CYCLE_1)
	s_or_b32 exec_lo, exec_lo, s13
	s_mov_b32 s13, exec_lo
	s_wait_loadcnt_dscnt 0x505
	v_cmpx_ne_u16_e32 0, v72
	s_cbranch_execz .LBB4_8149
; %bb.8140:                             ;   in Loop: Header=BB4_7689 Depth=3
	v_bfrev_b32_e32 v2, 1
	s_mov_b32 s43, exec_lo
	v_cmpx_ne_u16_e32 0xff80, v72
	s_cbranch_execz .LBB4_8148
; %bb.8141:                             ;   in Loop: Header=BB4_7689 Depth=3
	v_and_b32_e32 v2, 0x7c, v72
	v_and_b32_e32 v5, 3, v72
	s_delay_alu instid0(VALU_DEP_2) | instskip(SKIP_1) | instid1(SALU_CYCLE_1)
	v_cmp_ne_u32_e32 vcc_lo, 0x7c, v2
                                        ; implicit-def: $vgpr2
	s_and_saveexec_b32 s72, vcc_lo
	s_xor_b32 s72, exec_lo, s72
	s_cbranch_execz .LBB4_8145
; %bb.8142:                             ;   in Loop: Header=BB4_7689 Depth=3
	v_and_b32_e32 v2, 0xff, v72
	s_mov_b32 s73, exec_lo
	s_delay_alu instid0(VALU_DEP_1) | instskip(NEXT) | instid1(VALU_DEP_1)
	v_bfe_u32 v2, v2, 2, 5
	v_cmpx_eq_u32_e32 0, v2
	s_cbranch_execz .LBB4_8144
; %bb.8143:                             ;   in Loop: Header=BB4_7689 Depth=3
	v_clz_i32_u32_e32 v2, v5
	s_delay_alu instid0(VALU_DEP_1) | instskip(SKIP_1) | instid1(VALU_DEP_2)
	v_min_u32_e32 v2, 32, v2
	v_mov_b32_e32 v73, v3
	v_subrev_nc_u32_e32 v5, 29, v2
	v_sub_nc_u32_e32 v2, 30, v2
	s_delay_alu instid0(VALU_DEP_2) | instskip(NEXT) | instid1(VALU_DEP_1)
	v_lshlrev_b64_e32 v[24:25], v5, v[72:73]
	v_and_b32_e32 v5, 3, v24
.LBB4_8144:                             ;   in Loop: Header=BB4_7689 Depth=3
	s_or_b32 exec_lo, exec_lo, s73
	v_bfe_i32 v15, v72, 0, 16
                                        ; implicit-def: $vgpr72
	s_delay_alu instid0(VALU_DEP_1) | instskip(NEXT) | instid1(VALU_DEP_1)
	v_and_b32_e32 v15, 0x80000000, v15
	v_lshl_add_u32 v2, v2, 23, v15
	s_delay_alu instid0(VALU_DEP_1) | instskip(NEXT) | instid1(VALU_DEP_1)
	v_lshl_or_b32 v2, v5, 21, v2
                                        ; implicit-def: $vgpr5
	v_add_nc_u32_e32 v2, 0x38000000, v2
.LBB4_8145:                             ;   in Loop: Header=BB4_7689 Depth=3
	s_and_not1_saveexec_b32 s72, s72
; %bb.8146:                             ;   in Loop: Header=BB4_7689 Depth=3
	v_cmp_lt_i16_e32 vcc_lo, -1, v72
	v_cndmask_b32_e32 v2, 0xff800000, v112, vcc_lo
	v_cmp_eq_u32_e32 vcc_lo, 0, v5
	s_delay_alu instid0(VALU_DEP_2)
	v_cndmask_b32_e32 v2, 0x7f800001, v2, vcc_lo
; %bb.8147:                             ;   in Loop: Header=BB4_7689 Depth=3
	s_or_b32 exec_lo, exec_lo, s72
.LBB4_8148:                             ;   in Loop: Header=BB4_7689 Depth=3
	s_delay_alu instid0(SALU_CYCLE_1)
	s_or_b32 exec_lo, exec_lo, s43
.LBB4_8149:                             ;   in Loop: Header=BB4_7689 Depth=3
	s_delay_alu instid0(SALU_CYCLE_1) | instskip(NEXT) | instid1(VALU_DEP_1)
	s_or_b32 exec_lo, exec_lo, s13
	v_dual_mul_f32 v4, v4, v2 :: v_dual_mov_b32 v25, v3
                                        ; implicit-def: $vgpr84
	s_mov_b32 s13, exec_lo
	s_delay_alu instid0(VALU_DEP_1) | instskip(SKIP_1) | instid1(VALU_DEP_2)
	v_and_b32_e32 v24, 0x7f800000, v4
	v_and_b32_e32 v2, 0x7fffff, v4
	v_cmpx_ne_u64_e32 0x7f800000, v[24:25]
	s_xor_b32 s43, exec_lo, s13
	s_cbranch_execz .LBB4_8167
; %bb.8150:                             ;   in Loop: Header=BB4_7689 Depth=3
	v_dual_mov_b32 v25, v3 :: v_dual_lshrrev_b32 v5, 24, v4
	v_and_b32_e32 v24, 0x7fffffff, v4
                                        ; implicit-def: $vgpr84
	s_mov_b32 s13, exec_lo
	s_delay_alu instid0(VALU_DEP_2) | instskip(NEXT) | instid1(VALU_DEP_2)
	v_and_b32_e32 v15, 0x80, v5
	v_cmpx_gt_u64_e32 0x47600001, v[24:25]
	s_xor_b32 s72, exec_lo, s13
	s_cbranch_execz .LBB4_8164
; %bb.8151:                             ;   in Loop: Header=BB4_7689 Depth=3
	v_mov_b32_e32 v84, 0
	s_mov_b32 s73, exec_lo
	v_cmpx_ne_u32_e32 0, v4
	s_cbranch_execz .LBB4_8163
; %bb.8152:                             ;   in Loop: Header=BB4_7689 Depth=3
	v_bfe_u32 v17, v4, 23, 8
	v_or_b32_e32 v21, 0x800000, v2
	s_mov_b32 s74, exec_lo
	s_delay_alu instid0(VALU_DEP_2) | instskip(SKIP_1) | instid1(VALU_DEP_2)
	v_dual_mov_b32 v25, v3 :: v_dual_sub_nc_u32 v4, 0x71, v17
	v_cmp_gt_u32_e32 vcc_lo, 0x72, v17
	v_cndmask_b32_e32 v4, 0, v4, vcc_lo
	v_cmp_eq_u32_e32 vcc_lo, 0, v17
	s_delay_alu instid0(VALU_DEP_2) | instskip(NEXT) | instid1(VALU_DEP_1)
	v_cndmask_b32_e64 v19, v4, 0x70, vcc_lo
	v_dual_cndmask_b32 v24, v21, v2, vcc_lo :: v_dual_add_nc_u32 v4, 21, v19
	v_add_nc_u32_e32 v23, 20, v19
	s_delay_alu instid0(VALU_DEP_2) | instskip(NEXT) | instid1(VALU_DEP_2)
	v_lshlrev_b64_e64 v[4:5], v4, -1
	v_lshlrev_b64_e64 v[84:85], v23, 1
	s_delay_alu instid0(VALU_DEP_2) | instskip(NEXT) | instid1(VALU_DEP_3)
	v_bfi_b32 v103, v5, 0, 0
	v_bfi_b32 v102, v4, 0, v24
	v_lshrrev_b64 v[4:5], v19, v[24:25]
	s_delay_alu instid0(VALU_DEP_1) | instskip(NEXT) | instid1(VALU_DEP_3)
	v_mov_b64_e32 v[24:25], v[4:5]
	v_cmpx_eq_u64_e64 v[102:103], v[84:85]
; %bb.8153:                             ;   in Loop: Header=BB4_7689 Depth=3
	v_bfe_u32 v24, v4, 21, 1
	v_mov_b32_e32 v25, v3
	s_delay_alu instid0(VALU_DEP_1) | instskip(NEXT) | instid1(VALU_DEP_1)
	v_add_nc_u64_e32 v[24:25], v[4:5], v[24:25]
	v_add_nc_u64_e32 v[24:25], -1, v[24:25]
; %bb.8154:                             ;   in Loop: Header=BB4_7689 Depth=3
	s_or_b32 exec_lo, exec_lo, s74
	v_add_nc_u32_e32 v2, 0xffffff81, v17
	v_lshrrev_b32_e32 v5, 23, v4
	s_mov_b32 s13, exec_lo
                                        ; implicit-def: $vgpr17
	s_delay_alu instid0(VALU_DEP_2) | instskip(NEXT) | instid1(VALU_DEP_1)
	v_cndmask_b32_e64 v2, v2, 0xffffff82, vcc_lo
	v_add3_u32 v19, v19, v2, v5
	v_and_b32_e32 v2, 0x1fffff, v24
	s_delay_alu instid0(VALU_DEP_1) | instskip(NEXT) | instid1(VALU_DEP_1)
	v_dual_add_nc_u32 v21, 14, v19 :: v_dual_add_nc_u32 v2, v2, v4
                                        ; implicit-def: $vgpr4_vgpr5
	v_cmpx_ne_u32_e32 0, v21
	s_xor_b32 s13, exec_lo, s13
; %bb.8155:                             ;   in Loop: Header=BB4_7689 Depth=3
	s_delay_alu instid0(VALU_DEP_2) | instskip(SKIP_1) | instid1(VALU_DEP_1)
	v_cmp_lt_u64_e32 vcc_lo, 0xffffff, v[2:3]
	v_add_nc_u32_e32 v4, 15, v19
	v_cndmask_b32_e32 v17, v21, v4, vcc_lo
	v_cndmask_b32_e64 v4, 0, 1, vcc_lo
	s_delay_alu instid0(VALU_DEP_1)
	v_lshrrev_b64 v[4:5], v4, v[2:3]
; %bb.8156:                             ;   in Loop: Header=BB4_7689 Depth=3
	s_and_not1_saveexec_b32 s13, s13
; %bb.8157:                             ;   in Loop: Header=BB4_7689 Depth=3
	v_mov_b64_e32 v[4:5], v[2:3]
	v_bfe_u32 v17, v2, 23, 1
; %bb.8158:                             ;   in Loop: Header=BB4_7689 Depth=3
	s_or_b32 exec_lo, exec_lo, s13
	s_delay_alu instid0(VALU_DEP_2) | instskip(NEXT) | instid1(VALU_DEP_2)
	v_lshrrev_b64 v[4:5], 21, v[4:5]
	v_cmp_gt_i32_e32 vcc_lo, 32, v17
	v_cmp_ne_u32_e64 s13, 0, v17
                                        ; implicit-def: $vgpr84
	s_delay_alu instid0(VALU_DEP_3) | instskip(NEXT) | instid1(VALU_DEP_1)
	v_dual_cndmask_b32 v5, 0, v5 :: v_dual_cndmask_b32 v4, 3, v4
	v_cmp_ne_u64_e32 vcc_lo, 0, v[4:5]
	s_or_b32 s13, s13, vcc_lo
	s_delay_alu instid0(SALU_CYCLE_1) | instskip(NEXT) | instid1(SALU_CYCLE_1)
	s_and_saveexec_b32 s74, s13
	s_xor_b32 s13, exec_lo, s74
; %bb.8159:                             ;   in Loop: Header=BB4_7689 Depth=3
	v_min_i32_e32 v2, 31, v17
	s_delay_alu instid0(VALU_DEP_1) | instskip(NEXT) | instid1(VALU_DEP_1)
	v_lshl_or_b32 v2, v2, 2, v15
                                        ; implicit-def: $vgpr15
	v_and_or_b32 v84, v4, 3, v2
; %bb.8160:                             ;   in Loop: Header=BB4_7689 Depth=3
	s_and_not1_saveexec_b32 s13, s13
; %bb.8161:                             ;   in Loop: Header=BB4_7689 Depth=3
	v_mov_b32_e32 v84, v15
; %bb.8162:                             ;   in Loop: Header=BB4_7689 Depth=3
	s_or_b32 exec_lo, exec_lo, s13
.LBB4_8163:                             ;   in Loop: Header=BB4_7689 Depth=3
	s_delay_alu instid0(SALU_CYCLE_1)
	s_or_b32 exec_lo, exec_lo, s73
                                        ; implicit-def: $vgpr15
.LBB4_8164:                             ;   in Loop: Header=BB4_7689 Depth=3
	s_and_not1_saveexec_b32 s13, s72
; %bb.8165:                             ;   in Loop: Header=BB4_7689 Depth=3
	v_or_b32_e32 v84, 0x7b, v15
; %bb.8166:                             ;   in Loop: Header=BB4_7689 Depth=3
	s_or_b32 exec_lo, exec_lo, s13
                                        ; implicit-def: $vgpr4
.LBB4_8167:                             ;   in Loop: Header=BB4_7689 Depth=3
	s_and_not1_saveexec_b32 s13, s43
	s_cbranch_execz .LBB4_8173
; %bb.8168:                             ;   in Loop: Header=BB4_7689 Depth=3
	s_mov_b32 s43, exec_lo
                                        ; implicit-def: $vgpr84
	v_cmpx_ne_u64_e32 0, v[2:3]
	s_xor_b32 s43, exec_lo, s43
; %bb.8169:                             ;   in Loop: Header=BB4_7689 Depth=3
	v_lshrrev_b32_e32 v2, 24, v4
                                        ; implicit-def: $vgpr4
	s_delay_alu instid0(VALU_DEP_1)
	v_or_b32_e32 v84, 0x7f, v2
; %bb.8170:                             ;   in Loop: Header=BB4_7689 Depth=3
	s_and_not1_saveexec_b32 s43, s43
; %bb.8171:                             ;   in Loop: Header=BB4_7689 Depth=3
	v_cmp_lt_i32_e32 vcc_lo, -1, v4
	v_cndmask_b32_e64 v84, -4, 0x7c, vcc_lo
; %bb.8172:                             ;   in Loop: Header=BB4_7689 Depth=3
	s_or_b32 exec_lo, exec_lo, s43
.LBB4_8173:                             ;   in Loop: Header=BB4_7689 Depth=3
	s_delay_alu instid0(SALU_CYCLE_1)
	s_or_b32 exec_lo, exec_lo, s13
	v_dual_mov_b32 v2, 0 :: v_dual_mov_b32 v4, 0
	s_mov_b32 s13, exec_lo
	v_cmpx_ne_u16_e32 0, v62
	s_cbranch_execz .LBB4_8183
; %bb.8174:                             ;   in Loop: Header=BB4_7689 Depth=3
	v_bfrev_b32_e32 v4, 1
	s_mov_b32 s43, exec_lo
	v_cmpx_ne_u16_e32 0xff80, v62
	s_cbranch_execz .LBB4_8182
; %bb.8175:                             ;   in Loop: Header=BB4_7689 Depth=3
	v_and_b32_e32 v4, 0x7c, v62
	v_and_b32_e32 v5, 3, v62
	s_delay_alu instid0(VALU_DEP_2) | instskip(SKIP_1) | instid1(SALU_CYCLE_1)
	v_cmp_ne_u32_e32 vcc_lo, 0x7c, v4
                                        ; implicit-def: $vgpr4
	s_and_saveexec_b32 s72, vcc_lo
	s_xor_b32 s72, exec_lo, s72
	s_cbranch_execz .LBB4_8179
; %bb.8176:                             ;   in Loop: Header=BB4_7689 Depth=3
	v_and_b32_e32 v4, 0xff, v62
	s_mov_b32 s73, exec_lo
	s_delay_alu instid0(VALU_DEP_1) | instskip(NEXT) | instid1(VALU_DEP_1)
	v_bfe_u32 v4, v4, 2, 5
	v_cmpx_eq_u32_e32 0, v4
	s_cbranch_execz .LBB4_8178
; %bb.8177:                             ;   in Loop: Header=BB4_7689 Depth=3
	v_clz_i32_u32_e32 v4, v5
	s_delay_alu instid0(VALU_DEP_1) | instskip(SKIP_1) | instid1(VALU_DEP_2)
	v_min_u32_e32 v4, 32, v4
	v_mov_b32_e32 v63, v3
	v_subrev_nc_u32_e32 v5, 29, v4
	v_sub_nc_u32_e32 v4, 30, v4
	s_delay_alu instid0(VALU_DEP_2) | instskip(NEXT) | instid1(VALU_DEP_1)
	v_lshlrev_b64_e32 v[24:25], v5, v[62:63]
	v_and_b32_e32 v5, 3, v24
.LBB4_8178:                             ;   in Loop: Header=BB4_7689 Depth=3
	s_or_b32 exec_lo, exec_lo, s73
	v_bfe_i32 v15, v62, 0, 16
                                        ; implicit-def: $vgpr62
	s_delay_alu instid0(VALU_DEP_1) | instskip(NEXT) | instid1(VALU_DEP_1)
	v_and_b32_e32 v15, 0x80000000, v15
	v_lshl_add_u32 v4, v4, 23, v15
	s_delay_alu instid0(VALU_DEP_1) | instskip(NEXT) | instid1(VALU_DEP_1)
	v_lshl_or_b32 v4, v5, 21, v4
                                        ; implicit-def: $vgpr5
	v_add_nc_u32_e32 v4, 0x38000000, v4
.LBB4_8179:                             ;   in Loop: Header=BB4_7689 Depth=3
	s_and_not1_saveexec_b32 s72, s72
; %bb.8180:                             ;   in Loop: Header=BB4_7689 Depth=3
	v_cmp_lt_i16_e32 vcc_lo, -1, v62
	v_cndmask_b32_e32 v4, 0xff800000, v112, vcc_lo
	v_cmp_eq_u32_e32 vcc_lo, 0, v5
	s_delay_alu instid0(VALU_DEP_2)
	v_cndmask_b32_e32 v4, 0x7f800001, v4, vcc_lo
; %bb.8181:                             ;   in Loop: Header=BB4_7689 Depth=3
	s_or_b32 exec_lo, exec_lo, s72
.LBB4_8182:                             ;   in Loop: Header=BB4_7689 Depth=3
	s_delay_alu instid0(SALU_CYCLE_1)
	s_or_b32 exec_lo, exec_lo, s43
.LBB4_8183:                             ;   in Loop: Header=BB4_7689 Depth=3
	s_delay_alu instid0(SALU_CYCLE_1) | instskip(NEXT) | instid1(SALU_CYCLE_1)
	s_or_b32 exec_lo, exec_lo, s13
	s_mov_b32 s13, exec_lo
	s_wait_loadcnt_dscnt 0x404
	v_cmpx_ne_u16_e32 0, v60
	s_cbranch_execz .LBB4_8193
; %bb.8184:                             ;   in Loop: Header=BB4_7689 Depth=3
	v_bfrev_b32_e32 v2, 1
	s_mov_b32 s43, exec_lo
	v_cmpx_ne_u16_e32 0xff80, v60
	s_cbranch_execz .LBB4_8192
; %bb.8185:                             ;   in Loop: Header=BB4_7689 Depth=3
	v_and_b32_e32 v2, 0x7c, v60
	v_and_b32_e32 v5, 3, v60
	s_delay_alu instid0(VALU_DEP_2) | instskip(SKIP_1) | instid1(SALU_CYCLE_1)
	v_cmp_ne_u32_e32 vcc_lo, 0x7c, v2
                                        ; implicit-def: $vgpr2
	s_and_saveexec_b32 s72, vcc_lo
	s_xor_b32 s72, exec_lo, s72
	s_cbranch_execz .LBB4_8189
; %bb.8186:                             ;   in Loop: Header=BB4_7689 Depth=3
	v_and_b32_e32 v2, 0xff, v60
	s_mov_b32 s73, exec_lo
	s_delay_alu instid0(VALU_DEP_1) | instskip(NEXT) | instid1(VALU_DEP_1)
	v_bfe_u32 v2, v2, 2, 5
	v_cmpx_eq_u32_e32 0, v2
	s_cbranch_execz .LBB4_8188
; %bb.8187:                             ;   in Loop: Header=BB4_7689 Depth=3
	v_clz_i32_u32_e32 v2, v5
	s_delay_alu instid0(VALU_DEP_1) | instskip(SKIP_1) | instid1(VALU_DEP_2)
	v_min_u32_e32 v2, 32, v2
	v_mov_b32_e32 v61, v3
	v_subrev_nc_u32_e32 v5, 29, v2
	v_sub_nc_u32_e32 v2, 30, v2
	s_delay_alu instid0(VALU_DEP_2) | instskip(NEXT) | instid1(VALU_DEP_1)
	v_lshlrev_b64_e32 v[24:25], v5, v[60:61]
	v_and_b32_e32 v5, 3, v24
.LBB4_8188:                             ;   in Loop: Header=BB4_7689 Depth=3
	s_or_b32 exec_lo, exec_lo, s73
	v_bfe_i32 v15, v60, 0, 16
                                        ; implicit-def: $vgpr60
	s_delay_alu instid0(VALU_DEP_1) | instskip(NEXT) | instid1(VALU_DEP_1)
	v_and_b32_e32 v15, 0x80000000, v15
	v_lshl_add_u32 v2, v2, 23, v15
	s_delay_alu instid0(VALU_DEP_1) | instskip(NEXT) | instid1(VALU_DEP_1)
	v_lshl_or_b32 v2, v5, 21, v2
                                        ; implicit-def: $vgpr5
	v_add_nc_u32_e32 v2, 0x38000000, v2
.LBB4_8189:                             ;   in Loop: Header=BB4_7689 Depth=3
	s_and_not1_saveexec_b32 s72, s72
; %bb.8190:                             ;   in Loop: Header=BB4_7689 Depth=3
	v_cmp_lt_i16_e32 vcc_lo, -1, v60
	v_cndmask_b32_e32 v2, 0xff800000, v112, vcc_lo
	v_cmp_eq_u32_e32 vcc_lo, 0, v5
	s_delay_alu instid0(VALU_DEP_2)
	v_cndmask_b32_e32 v2, 0x7f800001, v2, vcc_lo
; %bb.8191:                             ;   in Loop: Header=BB4_7689 Depth=3
	s_or_b32 exec_lo, exec_lo, s72
.LBB4_8192:                             ;   in Loop: Header=BB4_7689 Depth=3
	s_delay_alu instid0(SALU_CYCLE_1)
	s_or_b32 exec_lo, exec_lo, s43
.LBB4_8193:                             ;   in Loop: Header=BB4_7689 Depth=3
	s_delay_alu instid0(SALU_CYCLE_1) | instskip(NEXT) | instid1(VALU_DEP_1)
	s_or_b32 exec_lo, exec_lo, s13
	v_dual_mul_f32 v4, v4, v2 :: v_dual_mov_b32 v25, v3
                                        ; implicit-def: $vgpr85
	s_mov_b32 s13, exec_lo
	s_delay_alu instid0(VALU_DEP_1) | instskip(SKIP_1) | instid1(VALU_DEP_2)
	v_and_b32_e32 v24, 0x7f800000, v4
	v_and_b32_e32 v2, 0x7fffff, v4
	v_cmpx_ne_u64_e32 0x7f800000, v[24:25]
	s_xor_b32 s43, exec_lo, s13
	s_cbranch_execz .LBB4_8211
; %bb.8194:                             ;   in Loop: Header=BB4_7689 Depth=3
	v_dual_mov_b32 v25, v3 :: v_dual_lshrrev_b32 v5, 24, v4
	v_and_b32_e32 v24, 0x7fffffff, v4
                                        ; implicit-def: $vgpr85
	s_mov_b32 s13, exec_lo
	s_delay_alu instid0(VALU_DEP_2) | instskip(NEXT) | instid1(VALU_DEP_2)
	v_and_b32_e32 v15, 0x80, v5
	v_cmpx_gt_u64_e32 0x47600001, v[24:25]
	s_xor_b32 s72, exec_lo, s13
	s_cbranch_execz .LBB4_8208
; %bb.8195:                             ;   in Loop: Header=BB4_7689 Depth=3
	v_mov_b32_e32 v85, 0
	s_mov_b32 s73, exec_lo
	v_cmpx_ne_u32_e32 0, v4
	s_cbranch_execz .LBB4_8207
; %bb.8196:                             ;   in Loop: Header=BB4_7689 Depth=3
	v_bfe_u32 v17, v4, 23, 8
	v_or_b32_e32 v21, 0x800000, v2
	s_mov_b32 s74, exec_lo
	s_delay_alu instid0(VALU_DEP_2) | instskip(SKIP_1) | instid1(VALU_DEP_2)
	v_dual_mov_b32 v25, v3 :: v_dual_sub_nc_u32 v4, 0x71, v17
	v_cmp_gt_u32_e32 vcc_lo, 0x72, v17
	v_cndmask_b32_e32 v4, 0, v4, vcc_lo
	v_cmp_eq_u32_e32 vcc_lo, 0, v17
	s_delay_alu instid0(VALU_DEP_2) | instskip(NEXT) | instid1(VALU_DEP_1)
	v_cndmask_b32_e64 v19, v4, 0x70, vcc_lo
	v_dual_cndmask_b32 v24, v21, v2, vcc_lo :: v_dual_add_nc_u32 v4, 21, v19
	v_add_nc_u32_e32 v23, 20, v19
	s_delay_alu instid0(VALU_DEP_2) | instskip(NEXT) | instid1(VALU_DEP_2)
	v_lshlrev_b64_e64 v[4:5], v4, -1
	v_lshlrev_b64_e64 v[102:103], v23, 1
	s_delay_alu instid0(VALU_DEP_2) | instskip(NEXT) | instid1(VALU_DEP_3)
	v_bfi_b32 v117, v5, 0, 0
	v_bfi_b32 v116, v4, 0, v24
	v_lshrrev_b64 v[4:5], v19, v[24:25]
	s_delay_alu instid0(VALU_DEP_1) | instskip(NEXT) | instid1(VALU_DEP_3)
	v_mov_b64_e32 v[24:25], v[4:5]
	v_cmpx_eq_u64_e64 v[116:117], v[102:103]
; %bb.8197:                             ;   in Loop: Header=BB4_7689 Depth=3
	v_bfe_u32 v24, v4, 21, 1
	v_mov_b32_e32 v25, v3
	s_delay_alu instid0(VALU_DEP_1) | instskip(NEXT) | instid1(VALU_DEP_1)
	v_add_nc_u64_e32 v[24:25], v[4:5], v[24:25]
	v_add_nc_u64_e32 v[24:25], -1, v[24:25]
; %bb.8198:                             ;   in Loop: Header=BB4_7689 Depth=3
	s_or_b32 exec_lo, exec_lo, s74
	v_add_nc_u32_e32 v2, 0xffffff81, v17
	v_lshrrev_b32_e32 v5, 23, v4
	s_mov_b32 s13, exec_lo
                                        ; implicit-def: $vgpr17
	s_delay_alu instid0(VALU_DEP_2) | instskip(NEXT) | instid1(VALU_DEP_1)
	v_cndmask_b32_e64 v2, v2, 0xffffff82, vcc_lo
	v_add3_u32 v19, v19, v2, v5
	v_and_b32_e32 v2, 0x1fffff, v24
	s_delay_alu instid0(VALU_DEP_1) | instskip(NEXT) | instid1(VALU_DEP_1)
	v_dual_add_nc_u32 v21, 14, v19 :: v_dual_add_nc_u32 v2, v2, v4
                                        ; implicit-def: $vgpr4_vgpr5
	v_cmpx_ne_u32_e32 0, v21
	s_xor_b32 s13, exec_lo, s13
; %bb.8199:                             ;   in Loop: Header=BB4_7689 Depth=3
	s_delay_alu instid0(VALU_DEP_2) | instskip(SKIP_1) | instid1(VALU_DEP_1)
	v_cmp_lt_u64_e32 vcc_lo, 0xffffff, v[2:3]
	v_add_nc_u32_e32 v4, 15, v19
	v_cndmask_b32_e32 v17, v21, v4, vcc_lo
	v_cndmask_b32_e64 v4, 0, 1, vcc_lo
	s_delay_alu instid0(VALU_DEP_1)
	v_lshrrev_b64 v[4:5], v4, v[2:3]
; %bb.8200:                             ;   in Loop: Header=BB4_7689 Depth=3
	s_and_not1_saveexec_b32 s13, s13
; %bb.8201:                             ;   in Loop: Header=BB4_7689 Depth=3
	v_mov_b64_e32 v[4:5], v[2:3]
	v_bfe_u32 v17, v2, 23, 1
; %bb.8202:                             ;   in Loop: Header=BB4_7689 Depth=3
	s_or_b32 exec_lo, exec_lo, s13
	s_delay_alu instid0(VALU_DEP_2) | instskip(NEXT) | instid1(VALU_DEP_2)
	v_lshrrev_b64 v[4:5], 21, v[4:5]
	v_cmp_gt_i32_e32 vcc_lo, 32, v17
	v_cmp_ne_u32_e64 s13, 0, v17
                                        ; implicit-def: $vgpr85
	s_delay_alu instid0(VALU_DEP_3) | instskip(NEXT) | instid1(VALU_DEP_1)
	v_dual_cndmask_b32 v5, 0, v5 :: v_dual_cndmask_b32 v4, 3, v4
	v_cmp_ne_u64_e32 vcc_lo, 0, v[4:5]
	s_or_b32 s13, s13, vcc_lo
	s_delay_alu instid0(SALU_CYCLE_1) | instskip(NEXT) | instid1(SALU_CYCLE_1)
	s_and_saveexec_b32 s74, s13
	s_xor_b32 s13, exec_lo, s74
; %bb.8203:                             ;   in Loop: Header=BB4_7689 Depth=3
	v_min_i32_e32 v2, 31, v17
	s_delay_alu instid0(VALU_DEP_1) | instskip(NEXT) | instid1(VALU_DEP_1)
	v_lshl_or_b32 v2, v2, 2, v15
                                        ; implicit-def: $vgpr15
	v_and_or_b32 v85, v4, 3, v2
; %bb.8204:                             ;   in Loop: Header=BB4_7689 Depth=3
	s_and_not1_saveexec_b32 s13, s13
; %bb.8205:                             ;   in Loop: Header=BB4_7689 Depth=3
	v_mov_b32_e32 v85, v15
; %bb.8206:                             ;   in Loop: Header=BB4_7689 Depth=3
	s_or_b32 exec_lo, exec_lo, s13
.LBB4_8207:                             ;   in Loop: Header=BB4_7689 Depth=3
	s_delay_alu instid0(SALU_CYCLE_1)
	s_or_b32 exec_lo, exec_lo, s73
                                        ; implicit-def: $vgpr15
.LBB4_8208:                             ;   in Loop: Header=BB4_7689 Depth=3
	s_and_not1_saveexec_b32 s13, s72
; %bb.8209:                             ;   in Loop: Header=BB4_7689 Depth=3
	v_or_b32_e32 v85, 0x7b, v15
; %bb.8210:                             ;   in Loop: Header=BB4_7689 Depth=3
	s_or_b32 exec_lo, exec_lo, s13
                                        ; implicit-def: $vgpr4
.LBB4_8211:                             ;   in Loop: Header=BB4_7689 Depth=3
	s_and_not1_saveexec_b32 s13, s43
	s_cbranch_execz .LBB4_8217
; %bb.8212:                             ;   in Loop: Header=BB4_7689 Depth=3
	s_mov_b32 s43, exec_lo
                                        ; implicit-def: $vgpr85
	v_cmpx_ne_u64_e32 0, v[2:3]
	s_xor_b32 s43, exec_lo, s43
; %bb.8213:                             ;   in Loop: Header=BB4_7689 Depth=3
	v_lshrrev_b32_e32 v2, 24, v4
                                        ; implicit-def: $vgpr4
	s_delay_alu instid0(VALU_DEP_1)
	v_or_b32_e32 v85, 0x7f, v2
; %bb.8214:                             ;   in Loop: Header=BB4_7689 Depth=3
	s_and_not1_saveexec_b32 s43, s43
; %bb.8215:                             ;   in Loop: Header=BB4_7689 Depth=3
	v_cmp_lt_i32_e32 vcc_lo, -1, v4
	v_cndmask_b32_e64 v85, -4, 0x7c, vcc_lo
; %bb.8216:                             ;   in Loop: Header=BB4_7689 Depth=3
	s_or_b32 exec_lo, exec_lo, s43
.LBB4_8217:                             ;   in Loop: Header=BB4_7689 Depth=3
	s_delay_alu instid0(SALU_CYCLE_1)
	s_or_b32 exec_lo, exec_lo, s13
	v_dual_mov_b32 v2, 0 :: v_dual_mov_b32 v4, 0
	s_mov_b32 s13, exec_lo
	v_cmpx_ne_u16_e32 0, v58
	s_cbranch_execz .LBB4_8227
; %bb.8218:                             ;   in Loop: Header=BB4_7689 Depth=3
	v_bfrev_b32_e32 v4, 1
	s_mov_b32 s43, exec_lo
	v_cmpx_ne_u16_e32 0xff80, v58
	s_cbranch_execz .LBB4_8226
; %bb.8219:                             ;   in Loop: Header=BB4_7689 Depth=3
	v_and_b32_e32 v4, 0x7c, v58
	v_and_b32_e32 v5, 3, v58
	s_delay_alu instid0(VALU_DEP_2) | instskip(SKIP_1) | instid1(SALU_CYCLE_1)
	v_cmp_ne_u32_e32 vcc_lo, 0x7c, v4
                                        ; implicit-def: $vgpr4
	s_and_saveexec_b32 s72, vcc_lo
	s_xor_b32 s72, exec_lo, s72
	s_cbranch_execz .LBB4_8223
; %bb.8220:                             ;   in Loop: Header=BB4_7689 Depth=3
	v_and_b32_e32 v4, 0xff, v58
	s_mov_b32 s73, exec_lo
	s_delay_alu instid0(VALU_DEP_1) | instskip(NEXT) | instid1(VALU_DEP_1)
	v_bfe_u32 v4, v4, 2, 5
	v_cmpx_eq_u32_e32 0, v4
	s_cbranch_execz .LBB4_8222
; %bb.8221:                             ;   in Loop: Header=BB4_7689 Depth=3
	v_clz_i32_u32_e32 v4, v5
	s_delay_alu instid0(VALU_DEP_1) | instskip(SKIP_1) | instid1(VALU_DEP_2)
	v_min_u32_e32 v4, 32, v4
	v_mov_b32_e32 v59, v3
	v_subrev_nc_u32_e32 v5, 29, v4
	v_sub_nc_u32_e32 v4, 30, v4
	s_delay_alu instid0(VALU_DEP_2) | instskip(NEXT) | instid1(VALU_DEP_1)
	v_lshlrev_b64_e32 v[24:25], v5, v[58:59]
	v_and_b32_e32 v5, 3, v24
.LBB4_8222:                             ;   in Loop: Header=BB4_7689 Depth=3
	s_or_b32 exec_lo, exec_lo, s73
	v_bfe_i32 v15, v58, 0, 16
                                        ; implicit-def: $vgpr58
	s_delay_alu instid0(VALU_DEP_1) | instskip(NEXT) | instid1(VALU_DEP_1)
	v_and_b32_e32 v15, 0x80000000, v15
	v_lshl_add_u32 v4, v4, 23, v15
	s_delay_alu instid0(VALU_DEP_1) | instskip(NEXT) | instid1(VALU_DEP_1)
	v_lshl_or_b32 v4, v5, 21, v4
                                        ; implicit-def: $vgpr5
	v_add_nc_u32_e32 v4, 0x38000000, v4
.LBB4_8223:                             ;   in Loop: Header=BB4_7689 Depth=3
	s_and_not1_saveexec_b32 s72, s72
; %bb.8224:                             ;   in Loop: Header=BB4_7689 Depth=3
	v_cmp_lt_i16_e32 vcc_lo, -1, v58
	v_cndmask_b32_e32 v4, 0xff800000, v112, vcc_lo
	v_cmp_eq_u32_e32 vcc_lo, 0, v5
	s_delay_alu instid0(VALU_DEP_2)
	v_cndmask_b32_e32 v4, 0x7f800001, v4, vcc_lo
; %bb.8225:                             ;   in Loop: Header=BB4_7689 Depth=3
	s_or_b32 exec_lo, exec_lo, s72
.LBB4_8226:                             ;   in Loop: Header=BB4_7689 Depth=3
	s_delay_alu instid0(SALU_CYCLE_1)
	s_or_b32 exec_lo, exec_lo, s43
.LBB4_8227:                             ;   in Loop: Header=BB4_7689 Depth=3
	s_delay_alu instid0(SALU_CYCLE_1) | instskip(NEXT) | instid1(SALU_CYCLE_1)
	s_or_b32 exec_lo, exec_lo, s13
	s_mov_b32 s13, exec_lo
	s_wait_loadcnt_dscnt 0x303
	v_cmpx_ne_u16_e32 0, v56
	s_cbranch_execz .LBB4_8237
; %bb.8228:                             ;   in Loop: Header=BB4_7689 Depth=3
	v_bfrev_b32_e32 v2, 1
	s_mov_b32 s43, exec_lo
	v_cmpx_ne_u16_e32 0xff80, v56
	s_cbranch_execz .LBB4_8236
; %bb.8229:                             ;   in Loop: Header=BB4_7689 Depth=3
	v_and_b32_e32 v2, 0x7c, v56
	v_and_b32_e32 v5, 3, v56
	s_delay_alu instid0(VALU_DEP_2) | instskip(SKIP_1) | instid1(SALU_CYCLE_1)
	v_cmp_ne_u32_e32 vcc_lo, 0x7c, v2
                                        ; implicit-def: $vgpr2
	s_and_saveexec_b32 s72, vcc_lo
	s_xor_b32 s72, exec_lo, s72
	s_cbranch_execz .LBB4_8233
; %bb.8230:                             ;   in Loop: Header=BB4_7689 Depth=3
	v_and_b32_e32 v2, 0xff, v56
	s_mov_b32 s73, exec_lo
	s_delay_alu instid0(VALU_DEP_1) | instskip(NEXT) | instid1(VALU_DEP_1)
	v_bfe_u32 v2, v2, 2, 5
	v_cmpx_eq_u32_e32 0, v2
	s_cbranch_execz .LBB4_8232
; %bb.8231:                             ;   in Loop: Header=BB4_7689 Depth=3
	v_clz_i32_u32_e32 v2, v5
	s_delay_alu instid0(VALU_DEP_1) | instskip(SKIP_1) | instid1(VALU_DEP_2)
	v_min_u32_e32 v2, 32, v2
	v_mov_b32_e32 v57, v3
	v_subrev_nc_u32_e32 v5, 29, v2
	v_sub_nc_u32_e32 v2, 30, v2
	s_delay_alu instid0(VALU_DEP_2) | instskip(NEXT) | instid1(VALU_DEP_1)
	v_lshlrev_b64_e32 v[24:25], v5, v[56:57]
	v_and_b32_e32 v5, 3, v24
.LBB4_8232:                             ;   in Loop: Header=BB4_7689 Depth=3
	s_or_b32 exec_lo, exec_lo, s73
	v_bfe_i32 v15, v56, 0, 16
                                        ; implicit-def: $vgpr56
	s_delay_alu instid0(VALU_DEP_1) | instskip(NEXT) | instid1(VALU_DEP_1)
	v_and_b32_e32 v15, 0x80000000, v15
	v_lshl_add_u32 v2, v2, 23, v15
	s_delay_alu instid0(VALU_DEP_1) | instskip(NEXT) | instid1(VALU_DEP_1)
	v_lshl_or_b32 v2, v5, 21, v2
                                        ; implicit-def: $vgpr5
	v_add_nc_u32_e32 v2, 0x38000000, v2
.LBB4_8233:                             ;   in Loop: Header=BB4_7689 Depth=3
	s_and_not1_saveexec_b32 s72, s72
; %bb.8234:                             ;   in Loop: Header=BB4_7689 Depth=3
	v_cmp_lt_i16_e32 vcc_lo, -1, v56
	v_cndmask_b32_e32 v2, 0xff800000, v112, vcc_lo
	v_cmp_eq_u32_e32 vcc_lo, 0, v5
	s_delay_alu instid0(VALU_DEP_2)
	v_cndmask_b32_e32 v2, 0x7f800001, v2, vcc_lo
; %bb.8235:                             ;   in Loop: Header=BB4_7689 Depth=3
	s_or_b32 exec_lo, exec_lo, s72
.LBB4_8236:                             ;   in Loop: Header=BB4_7689 Depth=3
	s_delay_alu instid0(SALU_CYCLE_1)
	s_or_b32 exec_lo, exec_lo, s43
.LBB4_8237:                             ;   in Loop: Header=BB4_7689 Depth=3
	s_delay_alu instid0(SALU_CYCLE_1) | instskip(NEXT) | instid1(VALU_DEP_1)
	s_or_b32 exec_lo, exec_lo, s13
	v_dual_mul_f32 v4, v4, v2 :: v_dual_mov_b32 v25, v3
	s_delay_alu instid0(VALU_DEP_1) | instskip(SKIP_1) | instid1(VALU_DEP_2)
	v_and_b32_e32 v24, 0x7f800000, v4
	v_and_b32_e32 v2, 0x7fffff, v4
	v_cmp_ne_u64_e32 vcc_lo, 0x7f800000, v[24:25]
                                        ; implicit-def: $vgpr24
	s_and_saveexec_b32 s13, vcc_lo
	s_delay_alu instid0(SALU_CYCLE_1)
	s_xor_b32 s43, exec_lo, s13
	s_cbranch_execz .LBB4_8255
; %bb.8238:                             ;   in Loop: Header=BB4_7689 Depth=3
	v_and_b32_e32 v24, 0x7fffffff, v4
	v_dual_mov_b32 v25, v3 :: v_dual_lshrrev_b32 v5, 24, v4
	s_delay_alu instid0(VALU_DEP_1) | instskip(NEXT) | instid1(VALU_DEP_2)
	v_cmp_gt_u64_e32 vcc_lo, 0x47600001, v[24:25]
	v_and_b32_e32 v15, 0x80, v5
                                        ; implicit-def: $vgpr24
	s_and_saveexec_b32 s13, vcc_lo
	s_delay_alu instid0(SALU_CYCLE_1)
	s_xor_b32 s72, exec_lo, s13
	s_cbranch_execz .LBB4_8252
; %bb.8239:                             ;   in Loop: Header=BB4_7689 Depth=3
	v_mov_b32_e32 v24, 0
	s_mov_b32 s73, exec_lo
	v_cmpx_ne_u32_e32 0, v4
	s_cbranch_execz .LBB4_8251
; %bb.8240:                             ;   in Loop: Header=BB4_7689 Depth=3
	v_bfe_u32 v17, v4, 23, 8
	v_or_b32_e32 v21, 0x800000, v2
	s_mov_b32 s74, exec_lo
	s_delay_alu instid0(VALU_DEP_2) | instskip(SKIP_1) | instid1(VALU_DEP_2)
	v_dual_mov_b32 v25, v3 :: v_dual_sub_nc_u32 v4, 0x71, v17
	v_cmp_gt_u32_e32 vcc_lo, 0x72, v17
	v_cndmask_b32_e32 v4, 0, v4, vcc_lo
	v_cmp_eq_u32_e32 vcc_lo, 0, v17
	s_delay_alu instid0(VALU_DEP_2) | instskip(NEXT) | instid1(VALU_DEP_1)
	v_cndmask_b32_e64 v19, v4, 0x70, vcc_lo
	v_dual_cndmask_b32 v24, v21, v2, vcc_lo :: v_dual_add_nc_u32 v4, 21, v19
	v_add_nc_u32_e32 v23, 20, v19
	s_delay_alu instid0(VALU_DEP_2) | instskip(NEXT) | instid1(VALU_DEP_2)
	v_lshlrev_b64_e64 v[4:5], v4, -1
	v_lshlrev_b64_e64 v[102:103], v23, 1
	s_delay_alu instid0(VALU_DEP_2) | instskip(NEXT) | instid1(VALU_DEP_3)
	v_bfi_b32 v117, v5, 0, 0
	v_bfi_b32 v116, v4, 0, v24
	v_lshrrev_b64 v[4:5], v19, v[24:25]
	s_delay_alu instid0(VALU_DEP_1) | instskip(NEXT) | instid1(VALU_DEP_3)
	v_mov_b64_e32 v[24:25], v[4:5]
	v_cmpx_eq_u64_e64 v[116:117], v[102:103]
; %bb.8241:                             ;   in Loop: Header=BB4_7689 Depth=3
	v_bfe_u32 v24, v4, 21, 1
	v_mov_b32_e32 v25, v3
	s_delay_alu instid0(VALU_DEP_1) | instskip(NEXT) | instid1(VALU_DEP_1)
	v_add_nc_u64_e32 v[24:25], v[4:5], v[24:25]
	v_add_nc_u64_e32 v[24:25], -1, v[24:25]
; %bb.8242:                             ;   in Loop: Header=BB4_7689 Depth=3
	s_or_b32 exec_lo, exec_lo, s74
	v_add_nc_u32_e32 v2, 0xffffff81, v17
	v_lshrrev_b32_e32 v5, 23, v4
	s_mov_b32 s13, exec_lo
                                        ; implicit-def: $vgpr17
	s_delay_alu instid0(VALU_DEP_2) | instskip(NEXT) | instid1(VALU_DEP_1)
	v_cndmask_b32_e64 v2, v2, 0xffffff82, vcc_lo
	v_add3_u32 v19, v19, v2, v5
	v_and_b32_e32 v2, 0x1fffff, v24
	s_delay_alu instid0(VALU_DEP_1) | instskip(NEXT) | instid1(VALU_DEP_1)
	v_dual_add_nc_u32 v21, 14, v19 :: v_dual_add_nc_u32 v2, v2, v4
                                        ; implicit-def: $vgpr4_vgpr5
	v_cmpx_ne_u32_e32 0, v21
	s_xor_b32 s13, exec_lo, s13
; %bb.8243:                             ;   in Loop: Header=BB4_7689 Depth=3
	s_delay_alu instid0(VALU_DEP_2) | instskip(SKIP_1) | instid1(VALU_DEP_1)
	v_cmp_lt_u64_e32 vcc_lo, 0xffffff, v[2:3]
	v_add_nc_u32_e32 v4, 15, v19
	v_cndmask_b32_e32 v17, v21, v4, vcc_lo
	v_cndmask_b32_e64 v4, 0, 1, vcc_lo
	s_delay_alu instid0(VALU_DEP_1)
	v_lshrrev_b64 v[4:5], v4, v[2:3]
; %bb.8244:                             ;   in Loop: Header=BB4_7689 Depth=3
	s_and_not1_saveexec_b32 s13, s13
; %bb.8245:                             ;   in Loop: Header=BB4_7689 Depth=3
	v_mov_b64_e32 v[4:5], v[2:3]
	v_bfe_u32 v17, v2, 23, 1
; %bb.8246:                             ;   in Loop: Header=BB4_7689 Depth=3
	s_or_b32 exec_lo, exec_lo, s13
	s_delay_alu instid0(VALU_DEP_2) | instskip(NEXT) | instid1(VALU_DEP_2)
	v_lshrrev_b64 v[4:5], 21, v[4:5]
	v_cmp_gt_i32_e32 vcc_lo, 32, v17
	v_cmp_ne_u32_e64 s13, 0, v17
                                        ; implicit-def: $vgpr24
	s_delay_alu instid0(VALU_DEP_3) | instskip(NEXT) | instid1(VALU_DEP_1)
	v_dual_cndmask_b32 v5, 0, v5 :: v_dual_cndmask_b32 v4, 3, v4
	v_cmp_ne_u64_e32 vcc_lo, 0, v[4:5]
	s_or_b32 s13, s13, vcc_lo
	s_delay_alu instid0(SALU_CYCLE_1) | instskip(NEXT) | instid1(SALU_CYCLE_1)
	s_and_saveexec_b32 s74, s13
	s_xor_b32 s13, exec_lo, s74
; %bb.8247:                             ;   in Loop: Header=BB4_7689 Depth=3
	v_min_i32_e32 v2, 31, v17
	s_delay_alu instid0(VALU_DEP_1) | instskip(NEXT) | instid1(VALU_DEP_1)
	v_lshl_or_b32 v2, v2, 2, v15
                                        ; implicit-def: $vgpr15
	v_and_or_b32 v24, v4, 3, v2
; %bb.8248:                             ;   in Loop: Header=BB4_7689 Depth=3
	s_and_not1_saveexec_b32 s13, s13
; %bb.8249:                             ;   in Loop: Header=BB4_7689 Depth=3
	v_mov_b32_e32 v24, v15
; %bb.8250:                             ;   in Loop: Header=BB4_7689 Depth=3
	s_or_b32 exec_lo, exec_lo, s13
.LBB4_8251:                             ;   in Loop: Header=BB4_7689 Depth=3
	s_delay_alu instid0(SALU_CYCLE_1)
	s_or_b32 exec_lo, exec_lo, s73
                                        ; implicit-def: $vgpr15
.LBB4_8252:                             ;   in Loop: Header=BB4_7689 Depth=3
	s_and_not1_saveexec_b32 s13, s72
; %bb.8253:                             ;   in Loop: Header=BB4_7689 Depth=3
	v_or_b32_e32 v24, 0x7b, v15
; %bb.8254:                             ;   in Loop: Header=BB4_7689 Depth=3
	s_or_b32 exec_lo, exec_lo, s13
                                        ; implicit-def: $vgpr4
.LBB4_8255:                             ;   in Loop: Header=BB4_7689 Depth=3
	s_and_not1_saveexec_b32 s13, s43
	s_cbranch_execz .LBB4_8261
; %bb.8256:                             ;   in Loop: Header=BB4_7689 Depth=3
	s_mov_b32 s43, exec_lo
                                        ; implicit-def: $vgpr24
	v_cmpx_ne_u64_e32 0, v[2:3]
	s_xor_b32 s43, exec_lo, s43
; %bb.8257:                             ;   in Loop: Header=BB4_7689 Depth=3
	v_lshrrev_b32_e32 v2, 24, v4
                                        ; implicit-def: $vgpr4
	s_delay_alu instid0(VALU_DEP_1)
	v_or_b32_e32 v24, 0x7f, v2
; %bb.8258:                             ;   in Loop: Header=BB4_7689 Depth=3
	s_and_not1_saveexec_b32 s43, s43
; %bb.8259:                             ;   in Loop: Header=BB4_7689 Depth=3
	v_cmp_lt_i32_e32 vcc_lo, -1, v4
	v_cndmask_b32_e64 v24, -4, 0x7c, vcc_lo
; %bb.8260:                             ;   in Loop: Header=BB4_7689 Depth=3
	s_or_b32 exec_lo, exec_lo, s43
.LBB4_8261:                             ;   in Loop: Header=BB4_7689 Depth=3
	s_delay_alu instid0(SALU_CYCLE_1)
	s_or_b32 exec_lo, exec_lo, s13
	v_dual_mov_b32 v2, 0 :: v_dual_mov_b32 v4, 0
	s_mov_b32 s13, exec_lo
	v_cmpx_ne_u16_e32 0, v46
	s_cbranch_execz .LBB4_8271
; %bb.8262:                             ;   in Loop: Header=BB4_7689 Depth=3
	v_bfrev_b32_e32 v4, 1
	s_mov_b32 s43, exec_lo
	v_cmpx_ne_u16_e32 0xff80, v46
	s_cbranch_execz .LBB4_8270
; %bb.8263:                             ;   in Loop: Header=BB4_7689 Depth=3
	v_and_b32_e32 v4, 0x7c, v46
	v_and_b32_e32 v5, 3, v46
	s_delay_alu instid0(VALU_DEP_2) | instskip(SKIP_1) | instid1(SALU_CYCLE_1)
	v_cmp_ne_u32_e32 vcc_lo, 0x7c, v4
                                        ; implicit-def: $vgpr4
	s_and_saveexec_b32 s72, vcc_lo
	s_xor_b32 s72, exec_lo, s72
	s_cbranch_execz .LBB4_8267
; %bb.8264:                             ;   in Loop: Header=BB4_7689 Depth=3
	v_and_b32_e32 v4, 0xff, v46
	s_mov_b32 s73, exec_lo
	s_delay_alu instid0(VALU_DEP_1) | instskip(NEXT) | instid1(VALU_DEP_1)
	v_bfe_u32 v4, v4, 2, 5
	v_cmpx_eq_u32_e32 0, v4
	s_cbranch_execz .LBB4_8266
; %bb.8265:                             ;   in Loop: Header=BB4_7689 Depth=3
	v_clz_i32_u32_e32 v4, v5
	s_delay_alu instid0(VALU_DEP_1) | instskip(SKIP_1) | instid1(VALU_DEP_2)
	v_min_u32_e32 v4, 32, v4
	v_mov_b32_e32 v47, v3
	v_subrev_nc_u32_e32 v5, 29, v4
	v_sub_nc_u32_e32 v4, 30, v4
	s_delay_alu instid0(VALU_DEP_2) | instskip(NEXT) | instid1(VALU_DEP_1)
	v_lshlrev_b64_e32 v[102:103], v5, v[46:47]
	v_and_b32_e32 v5, 3, v102
.LBB4_8266:                             ;   in Loop: Header=BB4_7689 Depth=3
	s_or_b32 exec_lo, exec_lo, s73
	v_bfe_i32 v15, v46, 0, 16
                                        ; implicit-def: $vgpr46
	s_delay_alu instid0(VALU_DEP_1) | instskip(NEXT) | instid1(VALU_DEP_1)
	v_and_b32_e32 v15, 0x80000000, v15
	v_lshl_add_u32 v4, v4, 23, v15
	s_delay_alu instid0(VALU_DEP_1) | instskip(NEXT) | instid1(VALU_DEP_1)
	v_lshl_or_b32 v4, v5, 21, v4
                                        ; implicit-def: $vgpr5
	v_add_nc_u32_e32 v4, 0x38000000, v4
.LBB4_8267:                             ;   in Loop: Header=BB4_7689 Depth=3
	s_and_not1_saveexec_b32 s72, s72
; %bb.8268:                             ;   in Loop: Header=BB4_7689 Depth=3
	v_cmp_lt_i16_e32 vcc_lo, -1, v46
	v_cndmask_b32_e32 v4, 0xff800000, v112, vcc_lo
	v_cmp_eq_u32_e32 vcc_lo, 0, v5
	s_delay_alu instid0(VALU_DEP_2)
	v_cndmask_b32_e32 v4, 0x7f800001, v4, vcc_lo
; %bb.8269:                             ;   in Loop: Header=BB4_7689 Depth=3
	s_or_b32 exec_lo, exec_lo, s72
.LBB4_8270:                             ;   in Loop: Header=BB4_7689 Depth=3
	s_delay_alu instid0(SALU_CYCLE_1)
	s_or_b32 exec_lo, exec_lo, s43
.LBB4_8271:                             ;   in Loop: Header=BB4_7689 Depth=3
	s_delay_alu instid0(SALU_CYCLE_1) | instskip(NEXT) | instid1(SALU_CYCLE_1)
	s_or_b32 exec_lo, exec_lo, s13
	s_mov_b32 s13, exec_lo
	s_wait_loadcnt_dscnt 0x202
	v_cmpx_ne_u16_e32 0, v22
	s_cbranch_execz .LBB4_8281
; %bb.8272:                             ;   in Loop: Header=BB4_7689 Depth=3
	v_bfrev_b32_e32 v2, 1
	s_mov_b32 s43, exec_lo
	v_cmpx_ne_u16_e32 0xff80, v22
	s_cbranch_execz .LBB4_8280
; %bb.8273:                             ;   in Loop: Header=BB4_7689 Depth=3
	v_and_b32_e32 v2, 0x7c, v22
	v_and_b32_e32 v5, 3, v22
	s_delay_alu instid0(VALU_DEP_2) | instskip(SKIP_1) | instid1(SALU_CYCLE_1)
	v_cmp_ne_u32_e32 vcc_lo, 0x7c, v2
                                        ; implicit-def: $vgpr2
	s_and_saveexec_b32 s72, vcc_lo
	s_xor_b32 s72, exec_lo, s72
	s_cbranch_execz .LBB4_8277
; %bb.8274:                             ;   in Loop: Header=BB4_7689 Depth=3
	v_and_b32_e32 v2, 0xff, v22
	s_mov_b32 s73, exec_lo
	s_delay_alu instid0(VALU_DEP_1) | instskip(NEXT) | instid1(VALU_DEP_1)
	v_bfe_u32 v2, v2, 2, 5
	v_cmpx_eq_u32_e32 0, v2
	s_cbranch_execz .LBB4_8276
; %bb.8275:                             ;   in Loop: Header=BB4_7689 Depth=3
	v_clz_i32_u32_e32 v2, v5
	s_delay_alu instid0(VALU_DEP_1) | instskip(SKIP_1) | instid1(VALU_DEP_2)
	v_min_u32_e32 v2, 32, v2
	v_mov_b32_e32 v23, v3
	v_subrev_nc_u32_e32 v5, 29, v2
	v_sub_nc_u32_e32 v2, 30, v2
	s_delay_alu instid0(VALU_DEP_2) | instskip(NEXT) | instid1(VALU_DEP_1)
	v_lshlrev_b64_e32 v[102:103], v5, v[22:23]
	v_and_b32_e32 v5, 3, v102
.LBB4_8276:                             ;   in Loop: Header=BB4_7689 Depth=3
	s_or_b32 exec_lo, exec_lo, s73
	v_bfe_i32 v15, v22, 0, 16
                                        ; implicit-def: $vgpr22
	s_delay_alu instid0(VALU_DEP_1) | instskip(NEXT) | instid1(VALU_DEP_1)
	v_and_b32_e32 v15, 0x80000000, v15
	v_lshl_add_u32 v2, v2, 23, v15
	s_delay_alu instid0(VALU_DEP_1) | instskip(NEXT) | instid1(VALU_DEP_1)
	v_lshl_or_b32 v2, v5, 21, v2
                                        ; implicit-def: $vgpr5
	v_add_nc_u32_e32 v2, 0x38000000, v2
.LBB4_8277:                             ;   in Loop: Header=BB4_7689 Depth=3
	s_and_not1_saveexec_b32 s72, s72
; %bb.8278:                             ;   in Loop: Header=BB4_7689 Depth=3
	v_cmp_lt_i16_e32 vcc_lo, -1, v22
	v_cndmask_b32_e32 v2, 0xff800000, v112, vcc_lo
	v_cmp_eq_u32_e32 vcc_lo, 0, v5
	s_delay_alu instid0(VALU_DEP_2)
	v_cndmask_b32_e32 v2, 0x7f800001, v2, vcc_lo
; %bb.8279:                             ;   in Loop: Header=BB4_7689 Depth=3
	s_or_b32 exec_lo, exec_lo, s72
.LBB4_8280:                             ;   in Loop: Header=BB4_7689 Depth=3
	s_delay_alu instid0(SALU_CYCLE_1)
	s_or_b32 exec_lo, exec_lo, s43
.LBB4_8281:                             ;   in Loop: Header=BB4_7689 Depth=3
	s_delay_alu instid0(SALU_CYCLE_1) | instskip(NEXT) | instid1(VALU_DEP_1)
	s_or_b32 exec_lo, exec_lo, s13
	v_dual_mul_f32 v4, v4, v2 :: v_dual_mov_b32 v23, v3
	s_delay_alu instid0(VALU_DEP_1) | instskip(SKIP_1) | instid1(VALU_DEP_2)
	v_and_b32_e32 v22, 0x7f800000, v4
	v_and_b32_e32 v2, 0x7fffff, v4
	v_cmp_ne_u64_e32 vcc_lo, 0x7f800000, v[22:23]
                                        ; implicit-def: $vgpr22
	s_and_saveexec_b32 s13, vcc_lo
	s_delay_alu instid0(SALU_CYCLE_1)
	s_xor_b32 s43, exec_lo, s13
	s_cbranch_execz .LBB4_8299
; %bb.8282:                             ;   in Loop: Header=BB4_7689 Depth=3
	v_and_b32_e32 v22, 0x7fffffff, v4
	v_dual_mov_b32 v23, v3 :: v_dual_lshrrev_b32 v5, 24, v4
	s_delay_alu instid0(VALU_DEP_1) | instskip(NEXT) | instid1(VALU_DEP_2)
	v_cmp_gt_u64_e32 vcc_lo, 0x47600001, v[22:23]
	v_and_b32_e32 v15, 0x80, v5
                                        ; implicit-def: $vgpr22
	s_and_saveexec_b32 s13, vcc_lo
	s_delay_alu instid0(SALU_CYCLE_1)
	s_xor_b32 s72, exec_lo, s13
	s_cbranch_execz .LBB4_8296
; %bb.8283:                             ;   in Loop: Header=BB4_7689 Depth=3
	v_mov_b32_e32 v22, 0
	s_mov_b32 s73, exec_lo
	v_cmpx_ne_u32_e32 0, v4
	s_cbranch_execz .LBB4_8295
; %bb.8284:                             ;   in Loop: Header=BB4_7689 Depth=3
	v_bfe_u32 v17, v4, 23, 8
	v_or_b32_e32 v21, 0x800000, v2
	s_mov_b32 s74, exec_lo
	s_delay_alu instid0(VALU_DEP_2) | instskip(SKIP_1) | instid1(VALU_DEP_2)
	v_dual_mov_b32 v23, v3 :: v_dual_sub_nc_u32 v4, 0x71, v17
	v_cmp_gt_u32_e32 vcc_lo, 0x72, v17
	v_cndmask_b32_e32 v4, 0, v4, vcc_lo
	v_cmp_eq_u32_e32 vcc_lo, 0, v17
	s_delay_alu instid0(VALU_DEP_2) | instskip(NEXT) | instid1(VALU_DEP_1)
	v_cndmask_b32_e64 v19, v4, 0x70, vcc_lo
	v_dual_cndmask_b32 v22, v21, v2, vcc_lo :: v_dual_add_nc_u32 v4, 21, v19
	v_add_nc_u32_e32 v25, 20, v19
	s_delay_alu instid0(VALU_DEP_2) | instskip(NEXT) | instid1(VALU_DEP_2)
	v_lshlrev_b64_e64 v[4:5], v4, -1
	v_lshlrev_b64_e64 v[102:103], v25, 1
	s_delay_alu instid0(VALU_DEP_2) | instskip(NEXT) | instid1(VALU_DEP_3)
	v_bfi_b32 v117, v5, 0, 0
	v_bfi_b32 v116, v4, 0, v22
	v_lshrrev_b64 v[4:5], v19, v[22:23]
	s_delay_alu instid0(VALU_DEP_1) | instskip(NEXT) | instid1(VALU_DEP_3)
	v_mov_b64_e32 v[22:23], v[4:5]
	v_cmpx_eq_u64_e64 v[116:117], v[102:103]
; %bb.8285:                             ;   in Loop: Header=BB4_7689 Depth=3
	v_bfe_u32 v22, v4, 21, 1
	v_mov_b32_e32 v23, v3
	s_delay_alu instid0(VALU_DEP_1) | instskip(NEXT) | instid1(VALU_DEP_1)
	v_add_nc_u64_e32 v[22:23], v[4:5], v[22:23]
	v_add_nc_u64_e32 v[22:23], -1, v[22:23]
; %bb.8286:                             ;   in Loop: Header=BB4_7689 Depth=3
	s_or_b32 exec_lo, exec_lo, s74
	v_add_nc_u32_e32 v2, 0xffffff81, v17
	v_lshrrev_b32_e32 v5, 23, v4
	s_mov_b32 s13, exec_lo
                                        ; implicit-def: $vgpr17
	s_delay_alu instid0(VALU_DEP_2) | instskip(NEXT) | instid1(VALU_DEP_1)
	v_cndmask_b32_e64 v2, v2, 0xffffff82, vcc_lo
	v_add3_u32 v19, v19, v2, v5
	v_and_b32_e32 v2, 0x1fffff, v22
	s_delay_alu instid0(VALU_DEP_1) | instskip(NEXT) | instid1(VALU_DEP_1)
	v_dual_add_nc_u32 v21, 14, v19 :: v_dual_add_nc_u32 v2, v2, v4
                                        ; implicit-def: $vgpr4_vgpr5
	v_cmpx_ne_u32_e32 0, v21
	s_xor_b32 s13, exec_lo, s13
; %bb.8287:                             ;   in Loop: Header=BB4_7689 Depth=3
	s_delay_alu instid0(VALU_DEP_2) | instskip(SKIP_1) | instid1(VALU_DEP_1)
	v_cmp_lt_u64_e32 vcc_lo, 0xffffff, v[2:3]
	v_add_nc_u32_e32 v4, 15, v19
	v_cndmask_b32_e32 v17, v21, v4, vcc_lo
	v_cndmask_b32_e64 v4, 0, 1, vcc_lo
	s_delay_alu instid0(VALU_DEP_1)
	v_lshrrev_b64 v[4:5], v4, v[2:3]
; %bb.8288:                             ;   in Loop: Header=BB4_7689 Depth=3
	s_and_not1_saveexec_b32 s13, s13
; %bb.8289:                             ;   in Loop: Header=BB4_7689 Depth=3
	v_mov_b64_e32 v[4:5], v[2:3]
	v_bfe_u32 v17, v2, 23, 1
; %bb.8290:                             ;   in Loop: Header=BB4_7689 Depth=3
	s_or_b32 exec_lo, exec_lo, s13
	s_delay_alu instid0(VALU_DEP_2) | instskip(NEXT) | instid1(VALU_DEP_2)
	v_lshrrev_b64 v[4:5], 21, v[4:5]
	v_cmp_gt_i32_e32 vcc_lo, 32, v17
	v_cmp_ne_u32_e64 s13, 0, v17
                                        ; implicit-def: $vgpr22
	s_delay_alu instid0(VALU_DEP_3) | instskip(NEXT) | instid1(VALU_DEP_1)
	v_dual_cndmask_b32 v5, 0, v5 :: v_dual_cndmask_b32 v4, 3, v4
	v_cmp_ne_u64_e32 vcc_lo, 0, v[4:5]
	s_or_b32 s13, s13, vcc_lo
	s_delay_alu instid0(SALU_CYCLE_1) | instskip(NEXT) | instid1(SALU_CYCLE_1)
	s_and_saveexec_b32 s74, s13
	s_xor_b32 s13, exec_lo, s74
; %bb.8291:                             ;   in Loop: Header=BB4_7689 Depth=3
	v_min_i32_e32 v2, 31, v17
	s_delay_alu instid0(VALU_DEP_1) | instskip(NEXT) | instid1(VALU_DEP_1)
	v_lshl_or_b32 v2, v2, 2, v15
                                        ; implicit-def: $vgpr15
	v_and_or_b32 v22, v4, 3, v2
; %bb.8292:                             ;   in Loop: Header=BB4_7689 Depth=3
	s_and_not1_saveexec_b32 s13, s13
; %bb.8293:                             ;   in Loop: Header=BB4_7689 Depth=3
	v_mov_b32_e32 v22, v15
; %bb.8294:                             ;   in Loop: Header=BB4_7689 Depth=3
	s_or_b32 exec_lo, exec_lo, s13
.LBB4_8295:                             ;   in Loop: Header=BB4_7689 Depth=3
	s_delay_alu instid0(SALU_CYCLE_1)
	s_or_b32 exec_lo, exec_lo, s73
                                        ; implicit-def: $vgpr15
.LBB4_8296:                             ;   in Loop: Header=BB4_7689 Depth=3
	s_and_not1_saveexec_b32 s13, s72
; %bb.8297:                             ;   in Loop: Header=BB4_7689 Depth=3
	v_or_b32_e32 v22, 0x7b, v15
; %bb.8298:                             ;   in Loop: Header=BB4_7689 Depth=3
	s_or_b32 exec_lo, exec_lo, s13
                                        ; implicit-def: $vgpr4
.LBB4_8299:                             ;   in Loop: Header=BB4_7689 Depth=3
	s_and_not1_saveexec_b32 s13, s43
	s_cbranch_execz .LBB4_8305
; %bb.8300:                             ;   in Loop: Header=BB4_7689 Depth=3
	s_mov_b32 s43, exec_lo
                                        ; implicit-def: $vgpr22
	v_cmpx_ne_u64_e32 0, v[2:3]
	s_xor_b32 s43, exec_lo, s43
; %bb.8301:                             ;   in Loop: Header=BB4_7689 Depth=3
	v_lshrrev_b32_e32 v2, 24, v4
                                        ; implicit-def: $vgpr4
	s_delay_alu instid0(VALU_DEP_1)
	v_or_b32_e32 v22, 0x7f, v2
; %bb.8302:                             ;   in Loop: Header=BB4_7689 Depth=3
	s_and_not1_saveexec_b32 s43, s43
; %bb.8303:                             ;   in Loop: Header=BB4_7689 Depth=3
	v_cmp_lt_i32_e32 vcc_lo, -1, v4
	v_cndmask_b32_e64 v22, -4, 0x7c, vcc_lo
; %bb.8304:                             ;   in Loop: Header=BB4_7689 Depth=3
	s_or_b32 exec_lo, exec_lo, s43
.LBB4_8305:                             ;   in Loop: Header=BB4_7689 Depth=3
	s_delay_alu instid0(SALU_CYCLE_1)
	s_or_b32 exec_lo, exec_lo, s13
	v_dual_mov_b32 v2, 0 :: v_dual_mov_b32 v4, 0
	s_mov_b32 s13, exec_lo
	v_cmpx_ne_u16_e32 0, v20
	s_cbranch_execz .LBB4_8315
; %bb.8306:                             ;   in Loop: Header=BB4_7689 Depth=3
	v_bfrev_b32_e32 v4, 1
	s_mov_b32 s43, exec_lo
	v_cmpx_ne_u16_e32 0xff80, v20
	s_cbranch_execz .LBB4_8314
; %bb.8307:                             ;   in Loop: Header=BB4_7689 Depth=3
	v_and_b32_e32 v4, 0x7c, v20
	v_and_b32_e32 v5, 3, v20
	s_delay_alu instid0(VALU_DEP_2) | instskip(SKIP_1) | instid1(SALU_CYCLE_1)
	v_cmp_ne_u32_e32 vcc_lo, 0x7c, v4
                                        ; implicit-def: $vgpr4
	s_and_saveexec_b32 s72, vcc_lo
	s_xor_b32 s72, exec_lo, s72
	s_cbranch_execz .LBB4_8311
; %bb.8308:                             ;   in Loop: Header=BB4_7689 Depth=3
	v_and_b32_e32 v4, 0xff, v20
	s_mov_b32 s73, exec_lo
	s_delay_alu instid0(VALU_DEP_1) | instskip(NEXT) | instid1(VALU_DEP_1)
	v_bfe_u32 v4, v4, 2, 5
	v_cmpx_eq_u32_e32 0, v4
	s_cbranch_execz .LBB4_8310
; %bb.8309:                             ;   in Loop: Header=BB4_7689 Depth=3
	v_clz_i32_u32_e32 v4, v5
	s_delay_alu instid0(VALU_DEP_1) | instskip(SKIP_1) | instid1(VALU_DEP_2)
	v_min_u32_e32 v4, 32, v4
	v_mov_b32_e32 v21, v3
	v_subrev_nc_u32_e32 v5, 29, v4
	v_sub_nc_u32_e32 v4, 30, v4
	s_delay_alu instid0(VALU_DEP_2) | instskip(NEXT) | instid1(VALU_DEP_1)
	v_lshlrev_b64_e32 v[102:103], v5, v[20:21]
	v_and_b32_e32 v5, 3, v102
.LBB4_8310:                             ;   in Loop: Header=BB4_7689 Depth=3
	s_or_b32 exec_lo, exec_lo, s73
	v_bfe_i32 v15, v20, 0, 16
                                        ; implicit-def: $vgpr20
	s_delay_alu instid0(VALU_DEP_1) | instskip(NEXT) | instid1(VALU_DEP_1)
	v_and_b32_e32 v15, 0x80000000, v15
	v_lshl_add_u32 v4, v4, 23, v15
	s_delay_alu instid0(VALU_DEP_1) | instskip(NEXT) | instid1(VALU_DEP_1)
	v_lshl_or_b32 v4, v5, 21, v4
                                        ; implicit-def: $vgpr5
	v_add_nc_u32_e32 v4, 0x38000000, v4
.LBB4_8311:                             ;   in Loop: Header=BB4_7689 Depth=3
	s_and_not1_saveexec_b32 s72, s72
; %bb.8312:                             ;   in Loop: Header=BB4_7689 Depth=3
	v_cmp_lt_i16_e32 vcc_lo, -1, v20
	v_cndmask_b32_e32 v4, 0xff800000, v112, vcc_lo
	v_cmp_eq_u32_e32 vcc_lo, 0, v5
	s_delay_alu instid0(VALU_DEP_2)
	v_cndmask_b32_e32 v4, 0x7f800001, v4, vcc_lo
; %bb.8313:                             ;   in Loop: Header=BB4_7689 Depth=3
	s_or_b32 exec_lo, exec_lo, s72
.LBB4_8314:                             ;   in Loop: Header=BB4_7689 Depth=3
	s_delay_alu instid0(SALU_CYCLE_1)
	s_or_b32 exec_lo, exec_lo, s43
.LBB4_8315:                             ;   in Loop: Header=BB4_7689 Depth=3
	s_delay_alu instid0(SALU_CYCLE_1) | instskip(NEXT) | instid1(SALU_CYCLE_1)
	s_or_b32 exec_lo, exec_lo, s13
	s_mov_b32 s13, exec_lo
	s_wait_loadcnt_dscnt 0x101
	v_cmpx_ne_u16_e32 0, v18
	s_cbranch_execz .LBB4_8325
; %bb.8316:                             ;   in Loop: Header=BB4_7689 Depth=3
	v_bfrev_b32_e32 v2, 1
	s_mov_b32 s43, exec_lo
	v_cmpx_ne_u16_e32 0xff80, v18
	s_cbranch_execz .LBB4_8324
; %bb.8317:                             ;   in Loop: Header=BB4_7689 Depth=3
	v_and_b32_e32 v2, 0x7c, v18
	v_and_b32_e32 v5, 3, v18
	s_delay_alu instid0(VALU_DEP_2) | instskip(SKIP_1) | instid1(SALU_CYCLE_1)
	v_cmp_ne_u32_e32 vcc_lo, 0x7c, v2
                                        ; implicit-def: $vgpr2
	s_and_saveexec_b32 s72, vcc_lo
	s_xor_b32 s72, exec_lo, s72
	s_cbranch_execz .LBB4_8321
; %bb.8318:                             ;   in Loop: Header=BB4_7689 Depth=3
	v_and_b32_e32 v2, 0xff, v18
	s_mov_b32 s73, exec_lo
	s_delay_alu instid0(VALU_DEP_1) | instskip(NEXT) | instid1(VALU_DEP_1)
	v_bfe_u32 v2, v2, 2, 5
	v_cmpx_eq_u32_e32 0, v2
	s_cbranch_execz .LBB4_8320
; %bb.8319:                             ;   in Loop: Header=BB4_7689 Depth=3
	v_clz_i32_u32_e32 v2, v5
	s_delay_alu instid0(VALU_DEP_1) | instskip(SKIP_1) | instid1(VALU_DEP_2)
	v_min_u32_e32 v2, 32, v2
	v_mov_b32_e32 v19, v3
	v_subrev_nc_u32_e32 v5, 29, v2
	v_sub_nc_u32_e32 v2, 30, v2
	s_delay_alu instid0(VALU_DEP_2) | instskip(NEXT) | instid1(VALU_DEP_1)
	v_lshlrev_b64_e32 v[20:21], v5, v[18:19]
	v_and_b32_e32 v5, 3, v20
.LBB4_8320:                             ;   in Loop: Header=BB4_7689 Depth=3
	s_or_b32 exec_lo, exec_lo, s73
	v_bfe_i32 v15, v18, 0, 16
                                        ; implicit-def: $vgpr18
	s_delay_alu instid0(VALU_DEP_1) | instskip(NEXT) | instid1(VALU_DEP_1)
	v_and_b32_e32 v15, 0x80000000, v15
	v_lshl_add_u32 v2, v2, 23, v15
	s_delay_alu instid0(VALU_DEP_1) | instskip(NEXT) | instid1(VALU_DEP_1)
	v_lshl_or_b32 v2, v5, 21, v2
                                        ; implicit-def: $vgpr5
	v_add_nc_u32_e32 v2, 0x38000000, v2
.LBB4_8321:                             ;   in Loop: Header=BB4_7689 Depth=3
	s_and_not1_saveexec_b32 s72, s72
; %bb.8322:                             ;   in Loop: Header=BB4_7689 Depth=3
	v_cmp_lt_i16_e32 vcc_lo, -1, v18
	v_cndmask_b32_e32 v2, 0xff800000, v112, vcc_lo
	v_cmp_eq_u32_e32 vcc_lo, 0, v5
	s_delay_alu instid0(VALU_DEP_2)
	v_cndmask_b32_e32 v2, 0x7f800001, v2, vcc_lo
; %bb.8323:                             ;   in Loop: Header=BB4_7689 Depth=3
	s_or_b32 exec_lo, exec_lo, s72
.LBB4_8324:                             ;   in Loop: Header=BB4_7689 Depth=3
	s_delay_alu instid0(SALU_CYCLE_1)
	s_or_b32 exec_lo, exec_lo, s43
.LBB4_8325:                             ;   in Loop: Header=BB4_7689 Depth=3
	s_delay_alu instid0(SALU_CYCLE_1) | instskip(NEXT) | instid1(VALU_DEP_1)
	s_or_b32 exec_lo, exec_lo, s13
	v_dual_mul_f32 v4, v4, v2 :: v_dual_mov_b32 v19, v3
	s_delay_alu instid0(VALU_DEP_1) | instskip(SKIP_1) | instid1(VALU_DEP_2)
	v_and_b32_e32 v18, 0x7f800000, v4
	v_and_b32_e32 v2, 0x7fffff, v4
	v_cmp_ne_u64_e32 vcc_lo, 0x7f800000, v[18:19]
                                        ; implicit-def: $vgpr18
	s_and_saveexec_b32 s13, vcc_lo
	s_delay_alu instid0(SALU_CYCLE_1)
	s_xor_b32 s43, exec_lo, s13
	s_cbranch_execz .LBB4_8343
; %bb.8326:                             ;   in Loop: Header=BB4_7689 Depth=3
	v_and_b32_e32 v18, 0x7fffffff, v4
	v_dual_mov_b32 v19, v3 :: v_dual_lshrrev_b32 v5, 24, v4
	s_delay_alu instid0(VALU_DEP_1) | instskip(NEXT) | instid1(VALU_DEP_2)
	v_cmp_gt_u64_e32 vcc_lo, 0x47600001, v[18:19]
	v_and_b32_e32 v15, 0x80, v5
                                        ; implicit-def: $vgpr18
	s_and_saveexec_b32 s13, vcc_lo
	s_delay_alu instid0(SALU_CYCLE_1)
	s_xor_b32 s72, exec_lo, s13
	s_cbranch_execz .LBB4_8340
; %bb.8327:                             ;   in Loop: Header=BB4_7689 Depth=3
	v_mov_b32_e32 v18, 0
	s_mov_b32 s73, exec_lo
	v_cmpx_ne_u32_e32 0, v4
	s_cbranch_execz .LBB4_8339
; %bb.8328:                             ;   in Loop: Header=BB4_7689 Depth=3
	v_bfe_u32 v17, v4, 23, 8
	v_or_b32_e32 v18, 0x800000, v2
	s_mov_b32 s74, exec_lo
	s_delay_alu instid0(VALU_DEP_2) | instskip(SKIP_1) | instid1(VALU_DEP_2)
	v_dual_mov_b32 v19, v3 :: v_dual_sub_nc_u32 v4, 0x71, v17
	v_cmp_gt_u32_e32 vcc_lo, 0x72, v17
	v_cndmask_b32_e32 v4, 0, v4, vcc_lo
	v_cmp_eq_u32_e32 vcc_lo, 0, v17
	v_cndmask_b32_e32 v18, v18, v2, vcc_lo
	s_delay_alu instid0(VALU_DEP_3) | instskip(NEXT) | instid1(VALU_DEP_1)
	v_cndmask_b32_e64 v20, v4, 0x70, vcc_lo
	v_dual_add_nc_u32 v4, 21, v20 :: v_dual_add_nc_u32 v21, 20, v20
	s_delay_alu instid0(VALU_DEP_1) | instskip(NEXT) | instid1(VALU_DEP_2)
	v_lshlrev_b64_e64 v[4:5], v4, -1
	v_lshlrev_b64_e64 v[102:103], v21, 1
	s_delay_alu instid0(VALU_DEP_2) | instskip(NEXT) | instid1(VALU_DEP_3)
	v_bfi_b32 v117, v5, 0, 0
	v_bfi_b32 v116, v4, 0, v18
	v_lshrrev_b64 v[4:5], v20, v[18:19]
	s_delay_alu instid0(VALU_DEP_1) | instskip(NEXT) | instid1(VALU_DEP_3)
	v_mov_b64_e32 v[18:19], v[4:5]
	v_cmpx_eq_u64_e64 v[116:117], v[102:103]
; %bb.8329:                             ;   in Loop: Header=BB4_7689 Depth=3
	v_bfe_u32 v18, v4, 21, 1
	v_mov_b32_e32 v19, v3
	s_delay_alu instid0(VALU_DEP_1) | instskip(NEXT) | instid1(VALU_DEP_1)
	v_add_nc_u64_e32 v[18:19], v[4:5], v[18:19]
	v_add_nc_u64_e32 v[18:19], -1, v[18:19]
; %bb.8330:                             ;   in Loop: Header=BB4_7689 Depth=3
	s_or_b32 exec_lo, exec_lo, s74
	v_add_nc_u32_e32 v2, 0xffffff81, v17
	v_lshrrev_b32_e32 v5, 23, v4
	s_mov_b32 s13, exec_lo
                                        ; implicit-def: $vgpr17
	s_delay_alu instid0(VALU_DEP_2) | instskip(NEXT) | instid1(VALU_DEP_1)
	v_cndmask_b32_e64 v2, v2, 0xffffff82, vcc_lo
	v_add3_u32 v19, v20, v2, v5
	v_and_b32_e32 v2, 0x1fffff, v18
	s_delay_alu instid0(VALU_DEP_1) | instskip(NEXT) | instid1(VALU_DEP_1)
	v_dual_add_nc_u32 v18, 14, v19 :: v_dual_add_nc_u32 v2, v2, v4
                                        ; implicit-def: $vgpr4_vgpr5
	v_cmpx_ne_u32_e32 0, v18
	s_xor_b32 s13, exec_lo, s13
; %bb.8331:                             ;   in Loop: Header=BB4_7689 Depth=3
	s_delay_alu instid0(VALU_DEP_2) | instskip(SKIP_1) | instid1(VALU_DEP_1)
	v_cmp_lt_u64_e32 vcc_lo, 0xffffff, v[2:3]
	v_add_nc_u32_e32 v4, 15, v19
	v_cndmask_b32_e32 v17, v18, v4, vcc_lo
	v_cndmask_b32_e64 v4, 0, 1, vcc_lo
	s_delay_alu instid0(VALU_DEP_1)
	v_lshrrev_b64 v[4:5], v4, v[2:3]
; %bb.8332:                             ;   in Loop: Header=BB4_7689 Depth=3
	s_and_not1_saveexec_b32 s13, s13
; %bb.8333:                             ;   in Loop: Header=BB4_7689 Depth=3
	v_mov_b64_e32 v[4:5], v[2:3]
	v_bfe_u32 v17, v2, 23, 1
; %bb.8334:                             ;   in Loop: Header=BB4_7689 Depth=3
	s_or_b32 exec_lo, exec_lo, s13
	s_delay_alu instid0(VALU_DEP_2) | instskip(NEXT) | instid1(VALU_DEP_2)
	v_lshrrev_b64 v[4:5], 21, v[4:5]
	v_cmp_gt_i32_e32 vcc_lo, 32, v17
	v_cmp_ne_u32_e64 s13, 0, v17
                                        ; implicit-def: $vgpr18
	s_delay_alu instid0(VALU_DEP_3) | instskip(NEXT) | instid1(VALU_DEP_1)
	v_dual_cndmask_b32 v5, 0, v5 :: v_dual_cndmask_b32 v4, 3, v4
	v_cmp_ne_u64_e32 vcc_lo, 0, v[4:5]
	s_or_b32 s13, s13, vcc_lo
	s_delay_alu instid0(SALU_CYCLE_1) | instskip(NEXT) | instid1(SALU_CYCLE_1)
	s_and_saveexec_b32 s74, s13
	s_xor_b32 s13, exec_lo, s74
; %bb.8335:                             ;   in Loop: Header=BB4_7689 Depth=3
	v_min_i32_e32 v2, 31, v17
	s_delay_alu instid0(VALU_DEP_1) | instskip(NEXT) | instid1(VALU_DEP_1)
	v_lshl_or_b32 v2, v2, 2, v15
                                        ; implicit-def: $vgpr15
	v_and_or_b32 v18, v4, 3, v2
; %bb.8336:                             ;   in Loop: Header=BB4_7689 Depth=3
	s_and_not1_saveexec_b32 s13, s13
; %bb.8337:                             ;   in Loop: Header=BB4_7689 Depth=3
	v_mov_b32_e32 v18, v15
; %bb.8338:                             ;   in Loop: Header=BB4_7689 Depth=3
	s_or_b32 exec_lo, exec_lo, s13
.LBB4_8339:                             ;   in Loop: Header=BB4_7689 Depth=3
	s_delay_alu instid0(SALU_CYCLE_1)
	s_or_b32 exec_lo, exec_lo, s73
                                        ; implicit-def: $vgpr15
.LBB4_8340:                             ;   in Loop: Header=BB4_7689 Depth=3
	s_and_not1_saveexec_b32 s13, s72
; %bb.8341:                             ;   in Loop: Header=BB4_7689 Depth=3
	v_or_b32_e32 v18, 0x7b, v15
; %bb.8342:                             ;   in Loop: Header=BB4_7689 Depth=3
	s_or_b32 exec_lo, exec_lo, s13
                                        ; implicit-def: $vgpr4
.LBB4_8343:                             ;   in Loop: Header=BB4_7689 Depth=3
	s_and_not1_saveexec_b32 s13, s43
	s_cbranch_execz .LBB4_8349
; %bb.8344:                             ;   in Loop: Header=BB4_7689 Depth=3
	s_mov_b32 s43, exec_lo
                                        ; implicit-def: $vgpr18
	v_cmpx_ne_u64_e32 0, v[2:3]
	s_xor_b32 s43, exec_lo, s43
; %bb.8345:                             ;   in Loop: Header=BB4_7689 Depth=3
	v_lshrrev_b32_e32 v2, 24, v4
                                        ; implicit-def: $vgpr4
	s_delay_alu instid0(VALU_DEP_1)
	v_or_b32_e32 v18, 0x7f, v2
; %bb.8346:                             ;   in Loop: Header=BB4_7689 Depth=3
	s_and_not1_saveexec_b32 s43, s43
; %bb.8347:                             ;   in Loop: Header=BB4_7689 Depth=3
	v_cmp_lt_i32_e32 vcc_lo, -1, v4
	v_cndmask_b32_e64 v18, -4, 0x7c, vcc_lo
; %bb.8348:                             ;   in Loop: Header=BB4_7689 Depth=3
	s_or_b32 exec_lo, exec_lo, s43
.LBB4_8349:                             ;   in Loop: Header=BB4_7689 Depth=3
	s_delay_alu instid0(SALU_CYCLE_1)
	s_or_b32 exec_lo, exec_lo, s13
	v_dual_mov_b32 v2, 0 :: v_dual_mov_b32 v4, 0
	s_mov_b32 s13, exec_lo
	v_cmpx_ne_u16_e32 0, v16
	s_cbranch_execz .LBB4_8359
; %bb.8350:                             ;   in Loop: Header=BB4_7689 Depth=3
	v_bfrev_b32_e32 v4, 1
	s_mov_b32 s43, exec_lo
	v_cmpx_ne_u16_e32 0xff80, v16
	s_cbranch_execz .LBB4_8358
; %bb.8351:                             ;   in Loop: Header=BB4_7689 Depth=3
	v_and_b32_e32 v4, 0x7c, v16
	v_and_b32_e32 v5, 3, v16
	s_delay_alu instid0(VALU_DEP_2) | instskip(SKIP_1) | instid1(SALU_CYCLE_1)
	v_cmp_ne_u32_e32 vcc_lo, 0x7c, v4
                                        ; implicit-def: $vgpr4
	s_and_saveexec_b32 s72, vcc_lo
	s_xor_b32 s72, exec_lo, s72
	s_cbranch_execz .LBB4_8355
; %bb.8352:                             ;   in Loop: Header=BB4_7689 Depth=3
	v_and_b32_e32 v4, 0xff, v16
	s_mov_b32 s73, exec_lo
	s_delay_alu instid0(VALU_DEP_1) | instskip(NEXT) | instid1(VALU_DEP_1)
	v_bfe_u32 v4, v4, 2, 5
	v_cmpx_eq_u32_e32 0, v4
	s_cbranch_execz .LBB4_8354
; %bb.8353:                             ;   in Loop: Header=BB4_7689 Depth=3
	v_clz_i32_u32_e32 v4, v5
	s_delay_alu instid0(VALU_DEP_1) | instskip(SKIP_1) | instid1(VALU_DEP_2)
	v_min_u32_e32 v4, 32, v4
	v_mov_b32_e32 v17, v3
	v_subrev_nc_u32_e32 v5, 29, v4
	v_sub_nc_u32_e32 v4, 30, v4
	s_delay_alu instid0(VALU_DEP_2) | instskip(NEXT) | instid1(VALU_DEP_1)
	v_lshlrev_b64_e32 v[20:21], v5, v[16:17]
	v_and_b32_e32 v5, 3, v20
.LBB4_8354:                             ;   in Loop: Header=BB4_7689 Depth=3
	s_or_b32 exec_lo, exec_lo, s73
	v_bfe_i32 v15, v16, 0, 16
                                        ; implicit-def: $vgpr16
	s_delay_alu instid0(VALU_DEP_1) | instskip(NEXT) | instid1(VALU_DEP_1)
	v_and_b32_e32 v15, 0x80000000, v15
	v_lshl_add_u32 v4, v4, 23, v15
	s_delay_alu instid0(VALU_DEP_1) | instskip(NEXT) | instid1(VALU_DEP_1)
	v_lshl_or_b32 v4, v5, 21, v4
                                        ; implicit-def: $vgpr5
	v_add_nc_u32_e32 v4, 0x38000000, v4
.LBB4_8355:                             ;   in Loop: Header=BB4_7689 Depth=3
	s_and_not1_saveexec_b32 s72, s72
; %bb.8356:                             ;   in Loop: Header=BB4_7689 Depth=3
	v_cmp_lt_i16_e32 vcc_lo, -1, v16
	v_cndmask_b32_e32 v4, 0xff800000, v112, vcc_lo
	v_cmp_eq_u32_e32 vcc_lo, 0, v5
	s_delay_alu instid0(VALU_DEP_2)
	v_cndmask_b32_e32 v4, 0x7f800001, v4, vcc_lo
; %bb.8357:                             ;   in Loop: Header=BB4_7689 Depth=3
	s_or_b32 exec_lo, exec_lo, s72
.LBB4_8358:                             ;   in Loop: Header=BB4_7689 Depth=3
	s_delay_alu instid0(SALU_CYCLE_1)
	s_or_b32 exec_lo, exec_lo, s43
.LBB4_8359:                             ;   in Loop: Header=BB4_7689 Depth=3
	s_delay_alu instid0(SALU_CYCLE_1) | instskip(NEXT) | instid1(SALU_CYCLE_1)
	s_or_b32 exec_lo, exec_lo, s13
	s_mov_b32 s13, exec_lo
	s_wait_loadcnt_dscnt 0x0
	v_cmpx_ne_u16_e32 0, v14
	s_cbranch_execz .LBB4_8369
; %bb.8360:                             ;   in Loop: Header=BB4_7689 Depth=3
	v_bfrev_b32_e32 v2, 1
	s_mov_b32 s43, exec_lo
	v_cmpx_ne_u16_e32 0xff80, v14
	s_cbranch_execz .LBB4_8368
; %bb.8361:                             ;   in Loop: Header=BB4_7689 Depth=3
	v_and_b32_e32 v2, 0x7c, v14
	v_and_b32_e32 v5, 3, v14
	s_delay_alu instid0(VALU_DEP_2) | instskip(SKIP_1) | instid1(SALU_CYCLE_1)
	v_cmp_ne_u32_e32 vcc_lo, 0x7c, v2
                                        ; implicit-def: $vgpr2
	s_and_saveexec_b32 s72, vcc_lo
	s_xor_b32 s72, exec_lo, s72
	s_cbranch_execz .LBB4_8365
; %bb.8362:                             ;   in Loop: Header=BB4_7689 Depth=3
	v_and_b32_e32 v2, 0xff, v14
	s_mov_b32 s73, exec_lo
	s_delay_alu instid0(VALU_DEP_1) | instskip(NEXT) | instid1(VALU_DEP_1)
	v_bfe_u32 v2, v2, 2, 5
	v_cmpx_eq_u32_e32 0, v2
	s_cbranch_execz .LBB4_8364
; %bb.8363:                             ;   in Loop: Header=BB4_7689 Depth=3
	v_clz_i32_u32_e32 v2, v5
	s_delay_alu instid0(VALU_DEP_1) | instskip(SKIP_1) | instid1(VALU_DEP_2)
	v_min_u32_e32 v2, 32, v2
	v_mov_b32_e32 v15, v3
	v_subrev_nc_u32_e32 v5, 29, v2
	v_sub_nc_u32_e32 v2, 30, v2
	s_delay_alu instid0(VALU_DEP_2) | instskip(NEXT) | instid1(VALU_DEP_1)
	v_lshlrev_b64_e32 v[16:17], v5, v[14:15]
	v_and_b32_e32 v5, 3, v16
.LBB4_8364:                             ;   in Loop: Header=BB4_7689 Depth=3
	s_or_b32 exec_lo, exec_lo, s73
	v_bfe_i32 v14, v14, 0, 16
	s_delay_alu instid0(VALU_DEP_1) | instskip(NEXT) | instid1(VALU_DEP_1)
	v_and_b32_e32 v14, 0x80000000, v14
	v_lshl_add_u32 v2, v2, 23, v14
                                        ; implicit-def: $vgpr14
	s_delay_alu instid0(VALU_DEP_1) | instskip(NEXT) | instid1(VALU_DEP_1)
	v_lshl_or_b32 v2, v5, 21, v2
                                        ; implicit-def: $vgpr5
	v_add_nc_u32_e32 v2, 0x38000000, v2
.LBB4_8365:                             ;   in Loop: Header=BB4_7689 Depth=3
	s_and_not1_saveexec_b32 s72, s72
; %bb.8366:                             ;   in Loop: Header=BB4_7689 Depth=3
	v_cmp_lt_i16_e32 vcc_lo, -1, v14
	v_cndmask_b32_e32 v2, 0xff800000, v112, vcc_lo
	v_cmp_eq_u32_e32 vcc_lo, 0, v5
	s_delay_alu instid0(VALU_DEP_2)
	v_cndmask_b32_e32 v2, 0x7f800001, v2, vcc_lo
; %bb.8367:                             ;   in Loop: Header=BB4_7689 Depth=3
	s_or_b32 exec_lo, exec_lo, s72
.LBB4_8368:                             ;   in Loop: Header=BB4_7689 Depth=3
	s_delay_alu instid0(SALU_CYCLE_1)
	s_or_b32 exec_lo, exec_lo, s43
.LBB4_8369:                             ;   in Loop: Header=BB4_7689 Depth=3
	s_delay_alu instid0(SALU_CYCLE_1) | instskip(NEXT) | instid1(VALU_DEP_1)
	s_or_b32 exec_lo, exec_lo, s13
	v_dual_mul_f32 v4, v4, v2 :: v_dual_mov_b32 v15, v3
                                        ; implicit-def: $vgpr5
	s_mov_b32 s13, exec_lo
	s_delay_alu instid0(VALU_DEP_1) | instskip(SKIP_1) | instid1(VALU_DEP_2)
	v_and_b32_e32 v14, 0x7f800000, v4
	v_and_b32_e32 v2, 0x7fffff, v4
	v_cmpx_ne_u64_e32 0x7f800000, v[14:15]
	s_xor_b32 s43, exec_lo, s13
	s_cbranch_execz .LBB4_8387
; %bb.8370:                             ;   in Loop: Header=BB4_7689 Depth=3
	v_dual_mov_b32 v15, v3 :: v_dual_lshrrev_b32 v5, 24, v4
	v_and_b32_e32 v14, 0x7fffffff, v4
	s_mov_b32 s13, exec_lo
	s_delay_alu instid0(VALU_DEP_2) | instskip(NEXT) | instid1(VALU_DEP_2)
	v_and_b32_e32 v16, 0x80, v5
                                        ; implicit-def: $vgpr5
	v_cmpx_gt_u64_e32 0x47600001, v[14:15]
	s_xor_b32 s72, exec_lo, s13
	s_cbranch_execz .LBB4_8384
; %bb.8371:                             ;   in Loop: Header=BB4_7689 Depth=3
	v_mov_b32_e32 v5, 0
	s_mov_b32 s73, exec_lo
	v_cmpx_ne_u32_e32 0, v4
	s_cbranch_execz .LBB4_8383
; %bb.8372:                             ;   in Loop: Header=BB4_7689 Depth=3
	v_bfe_u32 v17, v4, 23, 8
	v_or_b32_e32 v14, 0x800000, v2
	s_mov_b32 s74, exec_lo
	s_delay_alu instid0(VALU_DEP_2) | instskip(SKIP_1) | instid1(VALU_DEP_2)
	v_dual_mov_b32 v15, v3 :: v_dual_sub_nc_u32 v4, 0x71, v17
	v_cmp_gt_u32_e32 vcc_lo, 0x72, v17
	v_cndmask_b32_e32 v4, 0, v4, vcc_lo
	v_cmp_eq_u32_e32 vcc_lo, 0, v17
	s_delay_alu instid0(VALU_DEP_2) | instskip(NEXT) | instid1(VALU_DEP_1)
	v_cndmask_b32_e64 v19, v4, 0x70, vcc_lo
	v_dual_cndmask_b32 v14, v14, v2, vcc_lo :: v_dual_add_nc_u32 v4, 21, v19
	v_add_nc_u32_e32 v20, 20, v19
	s_delay_alu instid0(VALU_DEP_2) | instskip(NEXT) | instid1(VALU_DEP_2)
	v_lshlrev_b64_e64 v[4:5], v4, -1
	v_lshlrev_b64_e64 v[20:21], v20, 1
	s_delay_alu instid0(VALU_DEP_2) | instskip(NEXT) | instid1(VALU_DEP_3)
	v_bfi_b32 v103, v5, 0, 0
	v_bfi_b32 v102, v4, 0, v14
	v_lshrrev_b64 v[4:5], v19, v[14:15]
	s_delay_alu instid0(VALU_DEP_1) | instskip(NEXT) | instid1(VALU_DEP_3)
	v_mov_b64_e32 v[14:15], v[4:5]
	v_cmpx_eq_u64_e64 v[102:103], v[20:21]
; %bb.8373:                             ;   in Loop: Header=BB4_7689 Depth=3
	v_bfe_u32 v14, v4, 21, 1
	v_mov_b32_e32 v15, v3
	s_delay_alu instid0(VALU_DEP_1) | instskip(NEXT) | instid1(VALU_DEP_1)
	v_add_nc_u64_e32 v[14:15], v[4:5], v[14:15]
	v_add_nc_u64_e32 v[14:15], -1, v[14:15]
; %bb.8374:                             ;   in Loop: Header=BB4_7689 Depth=3
	s_or_b32 exec_lo, exec_lo, s74
	v_add_nc_u32_e32 v2, 0xffffff81, v17
	v_lshrrev_b32_e32 v5, 23, v4
	s_mov_b32 s13, exec_lo
	s_delay_alu instid0(VALU_DEP_2) | instskip(NEXT) | instid1(VALU_DEP_1)
	v_cndmask_b32_e64 v2, v2, 0xffffff82, vcc_lo
	v_add3_u32 v15, v19, v2, v5
	v_and_b32_e32 v2, 0x1fffff, v14
                                        ; implicit-def: $vgpr14
	s_delay_alu instid0(VALU_DEP_1) | instskip(NEXT) | instid1(VALU_DEP_1)
	v_dual_add_nc_u32 v17, 14, v15 :: v_dual_add_nc_u32 v2, v2, v4
                                        ; implicit-def: $vgpr4_vgpr5
	v_cmpx_ne_u32_e32 0, v17
	s_xor_b32 s13, exec_lo, s13
; %bb.8375:                             ;   in Loop: Header=BB4_7689 Depth=3
	s_delay_alu instid0(VALU_DEP_2) | instskip(SKIP_1) | instid1(VALU_DEP_1)
	v_cmp_lt_u64_e32 vcc_lo, 0xffffff, v[2:3]
	v_add_nc_u32_e32 v4, 15, v15
	v_cndmask_b32_e32 v14, v17, v4, vcc_lo
	v_cndmask_b32_e64 v4, 0, 1, vcc_lo
	s_delay_alu instid0(VALU_DEP_1)
	v_lshrrev_b64 v[4:5], v4, v[2:3]
; %bb.8376:                             ;   in Loop: Header=BB4_7689 Depth=3
	s_and_not1_saveexec_b32 s13, s13
; %bb.8377:                             ;   in Loop: Header=BB4_7689 Depth=3
	v_mov_b64_e32 v[4:5], v[2:3]
	v_bfe_u32 v14, v2, 23, 1
; %bb.8378:                             ;   in Loop: Header=BB4_7689 Depth=3
	s_or_b32 exec_lo, exec_lo, s13
	s_delay_alu instid0(VALU_DEP_2) | instskip(NEXT) | instid1(VALU_DEP_2)
	v_lshrrev_b64 v[4:5], 21, v[4:5]
	v_cmp_gt_i32_e32 vcc_lo, 32, v14
	v_cmp_ne_u32_e64 s13, 0, v14
	s_delay_alu instid0(VALU_DEP_3) | instskip(NEXT) | instid1(VALU_DEP_1)
	v_dual_cndmask_b32 v5, 0, v5 :: v_dual_cndmask_b32 v4, 3, v4
	v_cmp_ne_u64_e32 vcc_lo, 0, v[4:5]
                                        ; implicit-def: $vgpr5
	s_or_b32 s13, s13, vcc_lo
	s_delay_alu instid0(SALU_CYCLE_1) | instskip(NEXT) | instid1(SALU_CYCLE_1)
	s_and_saveexec_b32 s74, s13
	s_xor_b32 s13, exec_lo, s74
; %bb.8379:                             ;   in Loop: Header=BB4_7689 Depth=3
	v_min_i32_e32 v2, 31, v14
	s_delay_alu instid0(VALU_DEP_1) | instskip(NEXT) | instid1(VALU_DEP_1)
	v_lshl_or_b32 v2, v2, 2, v16
                                        ; implicit-def: $vgpr16
	v_and_or_b32 v5, v4, 3, v2
; %bb.8380:                             ;   in Loop: Header=BB4_7689 Depth=3
	s_and_not1_saveexec_b32 s13, s13
; %bb.8381:                             ;   in Loop: Header=BB4_7689 Depth=3
	v_mov_b32_e32 v5, v16
; %bb.8382:                             ;   in Loop: Header=BB4_7689 Depth=3
	s_or_b32 exec_lo, exec_lo, s13
.LBB4_8383:                             ;   in Loop: Header=BB4_7689 Depth=3
	s_delay_alu instid0(SALU_CYCLE_1)
	s_or_b32 exec_lo, exec_lo, s73
                                        ; implicit-def: $vgpr16
.LBB4_8384:                             ;   in Loop: Header=BB4_7689 Depth=3
	s_and_not1_saveexec_b32 s13, s72
; %bb.8385:                             ;   in Loop: Header=BB4_7689 Depth=3
	v_or_b32_e32 v5, 0x7b, v16
; %bb.8386:                             ;   in Loop: Header=BB4_7689 Depth=3
	s_or_b32 exec_lo, exec_lo, s13
                                        ; implicit-def: $vgpr4
.LBB4_8387:                             ;   in Loop: Header=BB4_7689 Depth=3
	s_and_not1_saveexec_b32 s13, s43
	s_cbranch_execz .LBB4_7688
; %bb.8388:                             ;   in Loop: Header=BB4_7689 Depth=3
	s_mov_b32 s43, exec_lo
                                        ; implicit-def: $vgpr5
	v_cmpx_ne_u64_e32 0, v[2:3]
	s_xor_b32 s43, exec_lo, s43
; %bb.8389:                             ;   in Loop: Header=BB4_7689 Depth=3
	v_lshrrev_b32_e32 v2, 24, v4
                                        ; implicit-def: $vgpr4
	s_delay_alu instid0(VALU_DEP_1)
	v_or_b32_e32 v5, 0x7f, v2
; %bb.8390:                             ;   in Loop: Header=BB4_7689 Depth=3
	s_and_not1_saveexec_b32 s43, s43
	s_cbranch_execz .LBB4_7687
; %bb.8391:                             ;   in Loop: Header=BB4_7689 Depth=3
	v_cmp_lt_i32_e32 vcc_lo, -1, v4
	v_cndmask_b32_e64 v5, -4, 0x7c, vcc_lo
	s_branch .LBB4_7687
.LBB4_8392:                             ;   in Loop: Header=BB4_3099 Depth=2
	s_or_b32 exec_lo, exec_lo, s42
	scratch_load_b64 v[78:79], off, s33 offset:256 ; 8-byte Folded Reload
	v_mov_b64_e32 v[60:61], 0
	v_add_nc_u64_e32 v[62:63], 0x200, v[86:87]
	v_mov_b32_e32 v88, v125
.LBB4_8393:                             ;   in Loop: Header=BB4_3099 Depth=2
	s_wait_xcnt 0x0
	s_or_b32 exec_lo, exec_lo, s15
	v_lshlrev_b32_e32 v2, 9, v124
	s_delay_alu instid0(VALU_DEP_1)
	v_cmp_ne_u32_e32 vcc_lo, v43, v2
	s_and_b32 exec_lo, exec_lo, vcc_lo
	s_cbranch_execz .LBB4_8441
; %bb.8394:                             ;   in Loop: Header=BB4_3099 Depth=2
	v_dual_ashrrev_i32 v4, 31, v122 :: v_dual_lshlrev_b32 v5, 5, v123
	s_delay_alu instid0(VALU_DEP_1) | instskip(NEXT) | instid1(VALU_DEP_1)
	v_lshrrev_b32_e32 v4, 27, v4
	v_add_nc_u32_e32 v4, v122, v4
	s_delay_alu instid0(VALU_DEP_1) | instskip(NEXT) | instid1(VALU_DEP_1)
	v_and_b32_e32 v4, 0xffffffe0, v4
	v_sub_nc_u32_e32 v4, v122, v4
	s_delay_alu instid0(VALU_DEP_1) | instskip(NEXT) | instid1(VALU_DEP_1)
	v_sub_nc_u32_e32 v4, v4, v5
	v_add_nc_u32_e32 v2, v2, v4
	s_delay_alu instid0(VALU_DEP_1) | instskip(NEXT) | instid1(VALU_DEP_1)
	v_sub_nc_u32_e32 v16, v43, v2
	v_cmp_lt_i32_e32 vcc_lo, 0, v16
	s_and_b32 exec_lo, exec_lo, vcc_lo
	s_cbranch_execz .LBB4_8441
; %bb.8395:                             ;   in Loop: Header=BB4_3099 Depth=2
	s_trap 2
	ds_load_b128 v[8:11], v0
	ds_load_b64 v[12:13], v0
	v_add_nc_u32_e32 v14, v2, v41
	s_mov_b32 s15, 0
	s_delay_alu instid0(VALU_DEP_1) | instskip(SKIP_1) | instid1(VALU_DEP_1)
	v_ashrrev_i32_e32 v15, 31, v14
	s_wait_dscnt 0x1
	v_add_nc_u64_e32 v[4:5], v[8:9], v[14:15]
	v_add_nc_u64_e32 v[8:9], v[10:11], v[14:15]
	s_wait_dscnt 0x0
	v_add_nc_u64_e32 v[10:11], v[12:13], v[14:15]
	s_branch .LBB4_8398
.LBB4_8396:                             ;   in Loop: Header=BB4_8398 Depth=3
	s_or_b32 exec_lo, exec_lo, s42
.LBB4_8397:                             ;   in Loop: Header=BB4_8398 Depth=3
	s_delay_alu instid0(SALU_CYCLE_1)
	s_or_b32 exec_lo, exec_lo, s13
	v_sub_nc_u32_e32 v16, v16, v54
	flat_store_b8 v[10:11], v13 th:TH_STORE_NT
	v_add_nc_u64_e32 v[4:5], v[4:5], v[54:55]
	v_add_nc_u64_e32 v[8:9], v[8:9], v[54:55]
	s_wait_xcnt 0x0
	v_add_nc_u64_e32 v[10:11], v[10:11], v[54:55]
	v_cmp_gt_i32_e32 vcc_lo, 1, v16
	s_or_b32 s15, vcc_lo, s15
	s_delay_alu instid0(SALU_CYCLE_1)
	s_and_not1_b32 exec_lo, exec_lo, s15
	s_cbranch_execz .LBB4_8441
.LBB4_8398:                             ;   Parent Loop BB4_47 Depth=1
                                        ;     Parent Loop BB4_3099 Depth=2
                                        ; =>    This Inner Loop Header: Depth=3
	flat_load_i8 v14, v[4:5] th:TH_LOAD_NT
	flat_load_i8 v12, v[8:9] th:TH_LOAD_NT
	v_dual_mov_b32 v2, 0 :: v_dual_mov_b32 v15, 0
	s_mov_b32 s13, exec_lo
	s_wait_loadcnt_dscnt 0x101
	s_wait_xcnt 0x0
	v_cmpx_ne_u16_e32 0, v14
	s_cbranch_execz .LBB4_8408
; %bb.8399:                             ;   in Loop: Header=BB4_8398 Depth=3
	v_bfrev_b32_e32 v15, 1
	s_mov_b32 s42, exec_lo
	v_cmpx_ne_u16_e32 0xff80, v14
	s_cbranch_execz .LBB4_8407
; %bb.8400:                             ;   in Loop: Header=BB4_8398 Depth=3
	v_and_b32_e32 v15, 0x7c, v14
	v_and_b32_e32 v13, 3, v14
	s_delay_alu instid0(VALU_DEP_2) | instskip(SKIP_1) | instid1(SALU_CYCLE_1)
	v_cmp_ne_u32_e32 vcc_lo, 0x7c, v15
                                        ; implicit-def: $vgpr15
	s_and_saveexec_b32 s43, vcc_lo
	s_xor_b32 s43, exec_lo, s43
	s_cbranch_execz .LBB4_8404
; %bb.8401:                             ;   in Loop: Header=BB4_8398 Depth=3
	v_and_b32_e32 v15, 0xff, v14
	s_mov_b32 s72, exec_lo
	s_delay_alu instid0(VALU_DEP_1) | instskip(NEXT) | instid1(VALU_DEP_1)
	v_bfe_u32 v15, v15, 2, 5
	v_cmpx_eq_u32_e32 0, v15
; %bb.8402:                             ;   in Loop: Header=BB4_8398 Depth=3
	v_clz_i32_u32_e32 v13, v13
	v_mov_b32_e32 v15, v3
	s_delay_alu instid0(VALU_DEP_2) | instskip(NEXT) | instid1(VALU_DEP_1)
	v_min_u32_e32 v13, 32, v13
	v_subrev_nc_u32_e32 v17, 29, v13
	s_delay_alu instid0(VALU_DEP_1) | instskip(NEXT) | instid1(VALU_DEP_1)
	v_lshlrev_b64_e32 v[18:19], v17, v[14:15]
	v_dual_sub_nc_u32 v15, 30, v13 :: v_dual_bitop2_b32 v13, 3, v18 bitop3:0x40
; %bb.8403:                             ;   in Loop: Header=BB4_8398 Depth=3
	s_or_b32 exec_lo, exec_lo, s72
	v_bfe_i32 v14, v14, 0, 16
	s_delay_alu instid0(VALU_DEP_1) | instskip(NEXT) | instid1(VALU_DEP_1)
	v_and_b32_e32 v14, 0x80000000, v14
	v_lshl_add_u32 v14, v15, 23, v14
	s_delay_alu instid0(VALU_DEP_1) | instskip(NEXT) | instid1(VALU_DEP_1)
	v_lshl_or_b32 v13, v13, 21, v14
                                        ; implicit-def: $vgpr14
	v_add_nc_u32_e32 v15, 0x38000000, v13
                                        ; implicit-def: $vgpr13
.LBB4_8404:                             ;   in Loop: Header=BB4_8398 Depth=3
	s_and_not1_saveexec_b32 s43, s43
; %bb.8405:                             ;   in Loop: Header=BB4_8398 Depth=3
	v_cmp_lt_i16_e32 vcc_lo, -1, v14
	v_cndmask_b32_e32 v14, 0xff800000, v112, vcc_lo
	v_cmp_eq_u32_e32 vcc_lo, 0, v13
	s_delay_alu instid0(VALU_DEP_2)
	v_cndmask_b32_e32 v15, 0x7f800001, v14, vcc_lo
; %bb.8406:                             ;   in Loop: Header=BB4_8398 Depth=3
	s_or_b32 exec_lo, exec_lo, s43
.LBB4_8407:                             ;   in Loop: Header=BB4_8398 Depth=3
	s_delay_alu instid0(SALU_CYCLE_1)
	s_or_b32 exec_lo, exec_lo, s42
.LBB4_8408:                             ;   in Loop: Header=BB4_8398 Depth=3
	s_delay_alu instid0(SALU_CYCLE_1) | instskip(NEXT) | instid1(SALU_CYCLE_1)
	s_or_b32 exec_lo, exec_lo, s13
	s_mov_b32 s13, exec_lo
	s_wait_loadcnt_dscnt 0x0
	v_cmpx_ne_u16_e32 0, v12
	s_cbranch_execz .LBB4_8418
; %bb.8409:                             ;   in Loop: Header=BB4_8398 Depth=3
	v_bfrev_b32_e32 v2, 1
	s_mov_b32 s42, exec_lo
	v_cmpx_ne_u16_e32 0xff80, v12
	s_cbranch_execz .LBB4_8417
; %bb.8410:                             ;   in Loop: Header=BB4_8398 Depth=3
	v_and_b32_e32 v2, 0x7c, v12
	v_and_b32_e32 v13, 3, v12
	s_delay_alu instid0(VALU_DEP_2) | instskip(SKIP_1) | instid1(SALU_CYCLE_1)
	v_cmp_ne_u32_e32 vcc_lo, 0x7c, v2
                                        ; implicit-def: $vgpr2
	s_and_saveexec_b32 s43, vcc_lo
	s_xor_b32 s43, exec_lo, s43
	s_cbranch_execz .LBB4_8414
; %bb.8411:                             ;   in Loop: Header=BB4_8398 Depth=3
	v_and_b32_e32 v2, 0xff, v12
	s_mov_b32 s72, exec_lo
	s_delay_alu instid0(VALU_DEP_1) | instskip(NEXT) | instid1(VALU_DEP_1)
	v_bfe_u32 v2, v2, 2, 5
	v_cmpx_eq_u32_e32 0, v2
	s_cbranch_execz .LBB4_8413
; %bb.8412:                             ;   in Loop: Header=BB4_8398 Depth=3
	v_clz_i32_u32_e32 v2, v13
	s_delay_alu instid0(VALU_DEP_1) | instskip(SKIP_1) | instid1(VALU_DEP_2)
	v_min_u32_e32 v2, 32, v2
	v_mov_b32_e32 v13, v3
	v_subrev_nc_u32_e32 v14, 29, v2
	v_sub_nc_u32_e32 v2, 30, v2
	s_delay_alu instid0(VALU_DEP_2) | instskip(NEXT) | instid1(VALU_DEP_1)
	v_lshlrev_b64_e32 v[18:19], v14, v[12:13]
	v_and_b32_e32 v13, 3, v18
.LBB4_8413:                             ;   in Loop: Header=BB4_8398 Depth=3
	s_or_b32 exec_lo, exec_lo, s72
	v_bfe_i32 v12, v12, 0, 16
	s_delay_alu instid0(VALU_DEP_1) | instskip(NEXT) | instid1(VALU_DEP_1)
	v_and_b32_e32 v12, 0x80000000, v12
	v_lshl_add_u32 v2, v2, 23, v12
                                        ; implicit-def: $vgpr12
	s_delay_alu instid0(VALU_DEP_1) | instskip(NEXT) | instid1(VALU_DEP_1)
	v_lshl_or_b32 v2, v13, 21, v2
                                        ; implicit-def: $vgpr13
	v_add_nc_u32_e32 v2, 0x38000000, v2
.LBB4_8414:                             ;   in Loop: Header=BB4_8398 Depth=3
	s_and_not1_saveexec_b32 s43, s43
; %bb.8415:                             ;   in Loop: Header=BB4_8398 Depth=3
	v_cmp_lt_i16_e32 vcc_lo, -1, v12
	v_cndmask_b32_e32 v2, 0xff800000, v112, vcc_lo
	v_cmp_eq_u32_e32 vcc_lo, 0, v13
	s_delay_alu instid0(VALU_DEP_2)
	v_cndmask_b32_e32 v2, 0x7f800001, v2, vcc_lo
; %bb.8416:                             ;   in Loop: Header=BB4_8398 Depth=3
	s_or_b32 exec_lo, exec_lo, s43
.LBB4_8417:                             ;   in Loop: Header=BB4_8398 Depth=3
	s_delay_alu instid0(SALU_CYCLE_1)
	s_or_b32 exec_lo, exec_lo, s42
.LBB4_8418:                             ;   in Loop: Header=BB4_8398 Depth=3
	s_delay_alu instid0(SALU_CYCLE_1) | instskip(NEXT) | instid1(VALU_DEP_1)
	s_or_b32 exec_lo, exec_lo, s13
	v_mul_f32_e32 v12, v15, v2
	v_mov_b32_e32 v15, v3
                                        ; implicit-def: $vgpr13
	s_mov_b32 s13, exec_lo
	s_delay_alu instid0(VALU_DEP_2) | instskip(SKIP_1) | instid1(VALU_DEP_2)
	v_and_b32_e32 v14, 0x7f800000, v12
	v_and_b32_e32 v2, 0x7fffff, v12
	v_cmpx_ne_u64_e32 0x7f800000, v[14:15]
	s_xor_b32 s42, exec_lo, s13
	s_cbranch_execz .LBB4_8436
; %bb.8419:                             ;   in Loop: Header=BB4_8398 Depth=3
	v_dual_mov_b32 v15, v3 :: v_dual_lshrrev_b32 v13, 24, v12
	v_and_b32_e32 v14, 0x7fffffff, v12
	s_mov_b32 s13, exec_lo
	s_delay_alu instid0(VALU_DEP_2) | instskip(NEXT) | instid1(VALU_DEP_2)
	v_and_b32_e32 v17, 0x80, v13
                                        ; implicit-def: $vgpr13
	v_cmpx_gt_u64_e32 0x47600001, v[14:15]
	s_xor_b32 s43, exec_lo, s13
	s_cbranch_execz .LBB4_8433
; %bb.8420:                             ;   in Loop: Header=BB4_8398 Depth=3
	v_mov_b32_e32 v13, 0
	s_mov_b32 s72, exec_lo
	v_cmpx_ne_u32_e32 0, v12
	s_cbranch_execz .LBB4_8432
; %bb.8421:                             ;   in Loop: Header=BB4_8398 Depth=3
	v_bfe_u32 v18, v12, 23, 8
	v_or_b32_e32 v14, 0x800000, v2
	s_mov_b32 s73, exec_lo
	s_delay_alu instid0(VALU_DEP_2) | instskip(SKIP_1) | instid1(VALU_DEP_2)
	v_dual_mov_b32 v15, v3 :: v_dual_sub_nc_u32 v12, 0x71, v18
	v_cmp_gt_u32_e32 vcc_lo, 0x72, v18
	v_cndmask_b32_e32 v12, 0, v12, vcc_lo
	v_cmp_eq_u32_e32 vcc_lo, 0, v18
	s_delay_alu instid0(VALU_DEP_2) | instskip(NEXT) | instid1(VALU_DEP_1)
	v_cndmask_b32_e64 v19, v12, 0x70, vcc_lo
	v_dual_cndmask_b32 v14, v14, v2, vcc_lo :: v_dual_add_nc_u32 v12, 21, v19
	v_add_nc_u32_e32 v20, 20, v19
	s_delay_alu instid0(VALU_DEP_2) | instskip(NEXT) | instid1(VALU_DEP_2)
	v_lshlrev_b64_e64 v[12:13], v12, -1
	v_lshlrev_b64_e64 v[20:21], v20, 1
	s_delay_alu instid0(VALU_DEP_2) | instskip(NEXT) | instid1(VALU_DEP_3)
	v_bfi_b32 v23, v13, 0, 0
	v_bfi_b32 v22, v12, 0, v14
	v_lshrrev_b64 v[12:13], v19, v[14:15]
	s_delay_alu instid0(VALU_DEP_1) | instskip(NEXT) | instid1(VALU_DEP_3)
	v_mov_b64_e32 v[14:15], v[12:13]
	v_cmpx_eq_u64_e64 v[22:23], v[20:21]
; %bb.8422:                             ;   in Loop: Header=BB4_8398 Depth=3
	v_bfe_u32 v14, v12, 21, 1
	v_mov_b32_e32 v15, v3
	s_delay_alu instid0(VALU_DEP_1) | instskip(NEXT) | instid1(VALU_DEP_1)
	v_add_nc_u64_e32 v[14:15], v[12:13], v[14:15]
	v_add_nc_u64_e32 v[14:15], -1, v[14:15]
; %bb.8423:                             ;   in Loop: Header=BB4_8398 Depth=3
	s_or_b32 exec_lo, exec_lo, s73
	v_add_nc_u32_e32 v2, 0xffffff81, v18
	v_lshrrev_b32_e32 v13, 23, v12
	s_mov_b32 s13, exec_lo
	s_delay_alu instid0(VALU_DEP_2) | instskip(NEXT) | instid1(VALU_DEP_1)
	v_cndmask_b32_e64 v2, v2, 0xffffff82, vcc_lo
	v_add3_u32 v15, v19, v2, v13
	v_and_b32_e32 v2, 0x1fffff, v14
                                        ; implicit-def: $vgpr14
	s_delay_alu instid0(VALU_DEP_1) | instskip(NEXT) | instid1(VALU_DEP_1)
	v_dual_add_nc_u32 v18, 14, v15 :: v_dual_add_nc_u32 v2, v2, v12
                                        ; implicit-def: $vgpr12_vgpr13
	v_cmpx_ne_u32_e32 0, v18
	s_xor_b32 s13, exec_lo, s13
; %bb.8424:                             ;   in Loop: Header=BB4_8398 Depth=3
	s_delay_alu instid0(VALU_DEP_2) | instskip(SKIP_1) | instid1(VALU_DEP_1)
	v_cmp_lt_u64_e32 vcc_lo, 0xffffff, v[2:3]
	v_add_nc_u32_e32 v12, 15, v15
	v_cndmask_b32_e32 v14, v18, v12, vcc_lo
	v_cndmask_b32_e64 v12, 0, 1, vcc_lo
	s_delay_alu instid0(VALU_DEP_1)
	v_lshrrev_b64 v[12:13], v12, v[2:3]
; %bb.8425:                             ;   in Loop: Header=BB4_8398 Depth=3
	s_and_not1_saveexec_b32 s13, s13
; %bb.8426:                             ;   in Loop: Header=BB4_8398 Depth=3
	v_mov_b64_e32 v[12:13], v[2:3]
	v_bfe_u32 v14, v2, 23, 1
; %bb.8427:                             ;   in Loop: Header=BB4_8398 Depth=3
	s_or_b32 exec_lo, exec_lo, s13
	s_delay_alu instid0(VALU_DEP_2) | instskip(NEXT) | instid1(VALU_DEP_2)
	v_lshrrev_b64 v[12:13], 21, v[12:13]
	v_cmp_gt_i32_e32 vcc_lo, 32, v14
	v_cmp_ne_u32_e64 s13, 0, v14
	s_delay_alu instid0(VALU_DEP_3) | instskip(NEXT) | instid1(VALU_DEP_1)
	v_dual_cndmask_b32 v13, 0, v13 :: v_dual_cndmask_b32 v12, 3, v12
	v_cmp_ne_u64_e32 vcc_lo, 0, v[12:13]
                                        ; implicit-def: $vgpr13
	s_or_b32 s13, s13, vcc_lo
	s_delay_alu instid0(SALU_CYCLE_1) | instskip(NEXT) | instid1(SALU_CYCLE_1)
	s_and_saveexec_b32 s73, s13
	s_xor_b32 s13, exec_lo, s73
; %bb.8428:                             ;   in Loop: Header=BB4_8398 Depth=3
	v_min_i32_e32 v2, 31, v14
	s_delay_alu instid0(VALU_DEP_1) | instskip(NEXT) | instid1(VALU_DEP_1)
	v_lshl_or_b32 v2, v2, 2, v17
                                        ; implicit-def: $vgpr17
	v_and_or_b32 v13, v12, 3, v2
; %bb.8429:                             ;   in Loop: Header=BB4_8398 Depth=3
	s_and_not1_saveexec_b32 s13, s13
; %bb.8430:                             ;   in Loop: Header=BB4_8398 Depth=3
	v_mov_b32_e32 v13, v17
; %bb.8431:                             ;   in Loop: Header=BB4_8398 Depth=3
	s_or_b32 exec_lo, exec_lo, s13
.LBB4_8432:                             ;   in Loop: Header=BB4_8398 Depth=3
	s_delay_alu instid0(SALU_CYCLE_1)
	s_or_b32 exec_lo, exec_lo, s72
                                        ; implicit-def: $vgpr17
.LBB4_8433:                             ;   in Loop: Header=BB4_8398 Depth=3
	s_and_not1_saveexec_b32 s13, s43
; %bb.8434:                             ;   in Loop: Header=BB4_8398 Depth=3
	v_or_b32_e32 v13, 0x7b, v17
; %bb.8435:                             ;   in Loop: Header=BB4_8398 Depth=3
	s_or_b32 exec_lo, exec_lo, s13
                                        ; implicit-def: $vgpr12
.LBB4_8436:                             ;   in Loop: Header=BB4_8398 Depth=3
	s_and_not1_saveexec_b32 s13, s42
	s_cbranch_execz .LBB4_8397
; %bb.8437:                             ;   in Loop: Header=BB4_8398 Depth=3
	s_mov_b32 s42, exec_lo
                                        ; implicit-def: $vgpr13
	v_cmpx_ne_u64_e32 0, v[2:3]
	s_xor_b32 s42, exec_lo, s42
; %bb.8438:                             ;   in Loop: Header=BB4_8398 Depth=3
	v_lshrrev_b32_e32 v2, 24, v12
                                        ; implicit-def: $vgpr12
	s_delay_alu instid0(VALU_DEP_1)
	v_or_b32_e32 v13, 0x7f, v2
; %bb.8439:                             ;   in Loop: Header=BB4_8398 Depth=3
	s_and_not1_saveexec_b32 s42, s42
	s_cbranch_execz .LBB4_8396
; %bb.8440:                             ;   in Loop: Header=BB4_8398 Depth=3
	v_cmp_lt_i32_e32 vcc_lo, -1, v12
	v_cndmask_b32_e64 v13, -4, 0x7c, vcc_lo
	s_branch .LBB4_8396
.LBB4_8441:                             ;   in Loop: Header=BB4_3099 Depth=2
	s_or_b32 exec_lo, exec_lo, s14
.LBB4_8442:                             ;   in Loop: Header=BB4_3099 Depth=2
	v_cmp_lt_i32_e64 s13, 0, v88
	s_wait_xcnt 0x0
	s_and_saveexec_b32 s14, s2
	s_cbranch_execnz .LBB4_8443
; %bb.9089:                             ;   in Loop: Header=BB4_3099 Depth=2
	s_add_pc_i64 .LBB4_3175-.Lpost_addpc15
.Lpost_addpc15:
.LBB4_8443:                             ;   in Loop: Header=BB4_3099 Depth=2
	s_and_saveexec_b32 s15, s3
	s_delay_alu instid0(SALU_CYCLE_1)
	s_xor_b32 s15, exec_lo, s15
	s_cbranch_execz .LBB4_8458
; %bb.8444:                             ;   in Loop: Header=BB4_3099 Depth=2
	s_and_saveexec_b32 s42, s6
	s_cbranch_execz .LBB4_8457
; %bb.8445:                             ;   in Loop: Header=BB4_3099 Depth=2
	s_mov_b32 s72, exec_lo
	s_mov_b32 s43, exec_lo
	v_mbcnt_lo_u32_b32 v2, s72, 0
	global_wb scope:SCOPE_DEV
	s_wait_storecnt 0x0
	s_wait_loadcnt_dscnt 0x0
	global_inv scope:SCOPE_DEV
	v_cmpx_eq_u32_e32 0, v2
	s_cbranch_execz .LBB4_8447
; %bb.8446:                             ;   in Loop: Header=BB4_3099 Depth=2
	s_bcnt1_i32_b32 s72, s72
	s_delay_alu instid0(SALU_CYCLE_1)
	v_dual_mov_b32 v5, v3 :: v_dual_mov_b32 v4, s72
	s_wait_loadcnt 0x0
	ds_add_u64 v0, v[4:5]
	s_trap 2
.LBB4_8447:                             ;   in Loop: Header=BB4_3099 Depth=2
	s_or_b32 exec_lo, exec_lo, s43
	s_trap 2
	ds_load_b64 v[4:5], v0
	s_wait_dscnt 0x0
	v_add_nc_u64_e32 v[48:49], v[48:49], v[52:53]
	s_mov_b32 s43, exec_lo
	s_delay_alu instid0(VALU_DEP_1)
	v_cmpx_lt_u64_e64 v[4:5], v[48:49]
	s_cbranch_execz .LBB4_8456
; %bb.8448:                             ;   in Loop: Header=BB4_3099 Depth=2
	s_mov_b32 s72, 0
	s_mov_b32 s75, 0
                                        ; implicit-def: $sgpr73
                                        ; implicit-def: $sgpr74
	s_branch .LBB4_8450
.LBB4_8449:                             ;   in Loop: Header=BB4_8450 Depth=3
	s_or_b32 exec_lo, exec_lo, s77
	s_delay_alu instid0(SALU_CYCLE_1) | instskip(NEXT) | instid1(SALU_CYCLE_1)
	s_and_b32 s76, exec_lo, s78
	s_or_b32 s72, s76, s72
	s_and_not1_b32 s73, s73, exec_lo
	s_and_b32 s76, s74, exec_lo
	s_delay_alu instid0(SALU_CYCLE_1)
	s_or_b32 s73, s73, s76
	s_and_not1_b32 exec_lo, exec_lo, s72
	s_cbranch_execz .LBB4_8454
.LBB4_8450:                             ;   Parent Loop BB4_47 Depth=1
                                        ;     Parent Loop BB4_3099 Depth=2
                                        ; =>    This Inner Loop Header: Depth=3
	s_add_co_i32 s75, s75, 1
	s_delay_alu instid0(SALU_CYCLE_1) | instskip(SKIP_1) | instid1(SALU_CYCLE_1)
	s_cmp_lg_u32 s75, 0x2710
	s_cselect_b32 s76, -1, 0
	s_and_b32 vcc_lo, exec_lo, s76
	s_cbranch_vccz .LBB4_8452
; %bb.8451:                             ;   in Loop: Header=BB4_8450 Depth=3
	s_mov_b32 s78, -1
	s_or_b32 s74, s74, exec_lo
	s_and_saveexec_b32 s77, s76
	s_cbranch_execz .LBB4_8449
	s_branch .LBB4_8453
.LBB4_8452:                             ;   in Loop: Header=BB4_8450 Depth=3
	s_trap 2
	ds_load_b64 v[4:5], v0
	s_and_not1_b32 s76, s76, exec_lo
	s_mov_b32 s75, 0
	s_wait_loadcnt_dscnt 0x0
	flat_load_b32 v2, v[4:5] scope:SCOPE_SYS
	s_wait_loadcnt_dscnt 0x0
	global_inv scope:SCOPE_SYS
	v_cmp_eq_u32_e32 vcc_lo, 0, v2
	s_and_b32 s77, vcc_lo, exec_lo
	s_delay_alu instid0(SALU_CYCLE_1)
	s_or_b32 s76, s76, s77
	s_mov_b32 s78, -1
	s_or_b32 s74, s74, exec_lo
	s_wait_xcnt 0x0
	s_and_saveexec_b32 s77, s76
	s_cbranch_execz .LBB4_8449
.LBB4_8453:                             ;   in Loop: Header=BB4_8450 Depth=3
	s_sleep 1
	s_trap 2
	ds_load_b64 v[4:5], v0
	s_wait_dscnt 0x0
	s_and_not1_b32 s74, s74, exec_lo
	v_cmp_ge_u64_e32 vcc_lo, v[4:5], v[48:49]
	s_or_not1_b32 s78, vcc_lo, exec_lo
	s_branch .LBB4_8449
.LBB4_8454:                             ;   in Loop: Header=BB4_3099 Depth=2
	s_or_b32 exec_lo, exec_lo, s72
	s_and_saveexec_b32 s72, s73
	s_delay_alu instid0(SALU_CYCLE_1)
	s_xor_b32 s72, exec_lo, s72
	s_cbranch_execz .LBB4_8456
; %bb.8455:                             ;   in Loop: Header=BB4_3099 Depth=2
	ds_store_b32 v0, v64
	s_trap 2
.LBB4_8456:                             ;   in Loop: Header=BB4_3099 Depth=2
	s_or_b32 exec_lo, exec_lo, s43
	;;#ASMSTART
	s_wakeup
	;;#ASMEND
.LBB4_8457:                             ;   in Loop: Header=BB4_3099 Depth=2
	s_or_b32 exec_lo, exec_lo, s42
.LBB4_8458:                             ;   in Loop: Header=BB4_3099 Depth=2
	s_and_not1_saveexec_b32 s15, s15
	s_cbranch_execz .LBB4_8460
; %bb.8459:                             ;   in Loop: Header=BB4_3099 Depth=2
	global_wb scope:SCOPE_DEV
	s_wait_storecnt 0x0
	s_wait_loadcnt_dscnt 0x0
	global_inv scope:SCOPE_DEV
	s_barrier_signal -1
	s_barrier_wait -1
.LBB4_8460:                             ;   in Loop: Header=BB4_3099 Depth=2
	s_or_b32 exec_lo, exec_lo, s15
	s_delay_alu instid0(SALU_CYCLE_1) | instskip(SKIP_1) | instid1(SALU_CYCLE_1)
	s_or_b32 exec_lo, exec_lo, s14
                                        ; implicit-def: $vgpr2
	s_and_saveexec_b32 s14, s10
	s_xor_b32 s14, exec_lo, s14
	s_cbranch_execz .LBB4_8461
; %bb.9091:                             ;   in Loop: Header=BB4_3099 Depth=2
	s_add_pc_i64 .LBB4_3176-.Lpost_addpc16
.Lpost_addpc16:
.LBB4_8461:                             ;   in Loop: Header=BB4_3099 Depth=2
	s_and_not1_saveexec_b32 s13, s14
	s_cbranch_execz .LBB4_8480
.LBB4_8462:                             ;   in Loop: Header=BB4_3099 Depth=2
	s_and_saveexec_b32 s14, s3
	s_delay_alu instid0(SALU_CYCLE_1)
	s_xor_b32 s14, exec_lo, s14
	s_cbranch_execz .LBB4_8477
; %bb.8463:                             ;   in Loop: Header=BB4_3099 Depth=2
	s_and_saveexec_b32 s15, s6
	s_cbranch_execz .LBB4_8476
; %bb.8464:                             ;   in Loop: Header=BB4_3099 Depth=2
	s_mov_b32 s43, exec_lo
	s_mov_b32 s42, exec_lo
	v_mbcnt_lo_u32_b32 v2, s43, 0
	;;#ASMSTART
	s_waitcnt lgkmcnt(0) vmcnt(0)
	;;#ASMEND
	s_delay_alu instid0(VALU_DEP_1)
	v_cmpx_eq_u32_e32 0, v2
	s_cbranch_execz .LBB4_8466
; %bb.8465:                             ;   in Loop: Header=BB4_3099 Depth=2
	s_bcnt1_i32_b32 s43, s43
	s_delay_alu instid0(SALU_CYCLE_1)
	v_dual_mov_b32 v5, v3 :: v_dual_mov_b32 v4, s43
	s_wait_storecnt 0x0
	s_wait_loadcnt_dscnt 0x0
	ds_add_u64 v0, v[4:5]
	s_trap 2
.LBB4_8466:                             ;   in Loop: Header=BB4_3099 Depth=2
	s_or_b32 exec_lo, exec_lo, s42
	s_trap 2
	ds_load_b64 v[4:5], v0
	s_wait_dscnt 0x0
	v_add_nc_u64_e32 v[48:49], v[48:49], v[52:53]
	s_mov_b32 s42, exec_lo
	s_delay_alu instid0(VALU_DEP_1)
	v_cmpx_lt_u64_e64 v[4:5], v[48:49]
	s_cbranch_execz .LBB4_8475
; %bb.8467:                             ;   in Loop: Header=BB4_3099 Depth=2
	s_mov_b32 s43, 0
	s_mov_b32 s74, 0
                                        ; implicit-def: $sgpr72
                                        ; implicit-def: $sgpr73
	s_branch .LBB4_8469
.LBB4_8468:                             ;   in Loop: Header=BB4_8469 Depth=3
	s_or_b32 exec_lo, exec_lo, s76
	s_delay_alu instid0(SALU_CYCLE_1) | instskip(NEXT) | instid1(SALU_CYCLE_1)
	s_and_b32 s75, exec_lo, s77
	s_or_b32 s43, s75, s43
	s_and_not1_b32 s72, s72, exec_lo
	s_and_b32 s75, s73, exec_lo
	s_delay_alu instid0(SALU_CYCLE_1)
	s_or_b32 s72, s72, s75
	s_and_not1_b32 exec_lo, exec_lo, s43
	s_cbranch_execz .LBB4_8473
.LBB4_8469:                             ;   Parent Loop BB4_47 Depth=1
                                        ;     Parent Loop BB4_3099 Depth=2
                                        ; =>    This Inner Loop Header: Depth=3
	s_add_co_i32 s74, s74, 1
	s_delay_alu instid0(SALU_CYCLE_1) | instskip(SKIP_1) | instid1(SALU_CYCLE_1)
	s_cmp_lg_u32 s74, 0x2710
	s_cselect_b32 s75, -1, 0
	s_and_b32 vcc_lo, exec_lo, s75
	s_cbranch_vccz .LBB4_8471
; %bb.8470:                             ;   in Loop: Header=BB4_8469 Depth=3
	s_mov_b32 s77, -1
	s_or_b32 s73, s73, exec_lo
	s_and_saveexec_b32 s76, s75
	s_cbranch_execz .LBB4_8468
	s_branch .LBB4_8472
.LBB4_8471:                             ;   in Loop: Header=BB4_8469 Depth=3
	s_trap 2
	ds_load_b64 v[4:5], v0
	s_and_not1_b32 s75, s75, exec_lo
	s_mov_b32 s74, 0
	s_wait_storecnt 0x0
	s_wait_loadcnt_dscnt 0x0
	flat_load_b32 v2, v[4:5] scope:SCOPE_SYS
	s_wait_loadcnt_dscnt 0x0
	global_inv scope:SCOPE_SYS
	v_cmp_eq_u32_e32 vcc_lo, 0, v2
	s_and_b32 s76, vcc_lo, exec_lo
	s_delay_alu instid0(SALU_CYCLE_1)
	s_or_b32 s75, s75, s76
	s_mov_b32 s77, -1
	s_or_b32 s73, s73, exec_lo
	s_wait_xcnt 0x0
	s_and_saveexec_b32 s76, s75
	s_cbranch_execz .LBB4_8468
.LBB4_8472:                             ;   in Loop: Header=BB4_8469 Depth=3
	s_sleep 1
	s_trap 2
	ds_load_b64 v[4:5], v0
	s_wait_dscnt 0x0
	s_and_not1_b32 s73, s73, exec_lo
	v_cmp_ge_u64_e32 vcc_lo, v[4:5], v[48:49]
	s_or_not1_b32 s77, vcc_lo, exec_lo
	s_branch .LBB4_8468
.LBB4_8473:                             ;   in Loop: Header=BB4_3099 Depth=2
	s_or_b32 exec_lo, exec_lo, s43
	s_and_saveexec_b32 s43, s72
	s_delay_alu instid0(SALU_CYCLE_1)
	s_xor_b32 s43, exec_lo, s43
	s_cbranch_execz .LBB4_8475
; %bb.8474:                             ;   in Loop: Header=BB4_3099 Depth=2
	ds_store_b32 v0, v64
	s_trap 2
.LBB4_8475:                             ;   in Loop: Header=BB4_3099 Depth=2
	s_or_b32 exec_lo, exec_lo, s42
	;;#ASMSTART
	s_wakeup
	;;#ASMEND
.LBB4_8476:                             ;   in Loop: Header=BB4_3099 Depth=2
	s_or_b32 exec_lo, exec_lo, s15
.LBB4_8477:                             ;   in Loop: Header=BB4_3099 Depth=2
	s_and_not1_saveexec_b32 s14, s14
	s_cbranch_execz .LBB4_8479
; %bb.8478:                             ;   in Loop: Header=BB4_3099 Depth=2
	;;#ASMSTART
	s_waitcnt lgkmcnt(0) vmcnt(0)
	;;#ASMEND
	s_barrier_signal -1
	s_barrier_wait -1
.LBB4_8479:                             ;   in Loop: Header=BB4_3099 Depth=2
	s_or_b32 exec_lo, exec_lo, s14
	v_and_b32_e32 v2, 16, v126
.LBB4_8480:                             ;   in Loop: Header=BB4_3099 Depth=2
	s_or_b32 exec_lo, exec_lo, s13
	s_delay_alu instid0(VALU_DEP_1) | instskip(SKIP_1) | instid1(SALU_CYCLE_1)
	v_cmp_ne_u32_e32 vcc_lo, 0, v2
	s_xor_b32 s13, s4, -1
	s_and_b32 s14, vcc_lo, s13
	s_delay_alu instid0(SALU_CYCLE_1)
	s_and_saveexec_b32 s13, s14
	s_cbranch_execz .LBB4_8482
; %bb.8481:                             ;   in Loop: Header=BB4_3099 Depth=2
	global_wb scope:SCOPE_SYS
	s_wait_storecnt 0x0
	s_wait_loadcnt_dscnt 0x0
	flat_store_b32 v[38:39], v64 scope:SCOPE_SYS
.LBB4_8482:                             ;   in Loop: Header=BB4_3099 Depth=2
	s_wait_xcnt 0x0
	s_or_b32 exec_lo, exec_lo, s13
	v_and_b32_e32 v2, 48, v126
	s_mov_b32 s13, exec_lo
	s_delay_alu instid0(VALU_DEP_1)
	v_cmpx_ne_u32_e32 0, v2
	s_cbranch_execnz .LBB4_8483
; %bb.9093:                             ;   in Loop: Header=BB4_3099 Depth=2
	s_add_pc_i64 .LBB4_3098-.Lpost_addpc17
.Lpost_addpc17:
.LBB4_8483:                             ;   in Loop: Header=BB4_3099 Depth=2
	v_add_nc_u64_e32 v[114:115], 2, v[114:115]
	global_wb scope:SCOPE_SYS
	s_wait_storecnt 0x0
	s_wait_loadcnt_dscnt 0x0
	flat_store_b64 v[32:33], v[114:115] scope:SCOPE_SYS
; %bb.9071:                             ;   in Loop: Header=BB4_3099 Depth=2
	s_add_pc_i64 .LBB4_3098-.Lpost_addpc6
.Lpost_addpc6:
.LBB4_8484:                             ;   in Loop: Header=BB4_47 Depth=1
	s_or_b32 exec_lo, exec_lo, s29
.LBB4_8485:                             ;   in Loop: Header=BB4_47 Depth=1
	s_delay_alu instid0(SALU_CYCLE_1) | instskip(NEXT) | instid1(SALU_CYCLE_1)
	s_or_b32 exec_lo, exec_lo, s18
	s_mov_b32 s14, exec_lo
	v_cmpx_gt_i32_e32 2, v2
	s_cbranch_execz .LBB4_8561
; %bb.8486:                             ;   in Loop: Header=BB4_47 Depth=1
	v_cmp_eq_u32_e64 s18, 0, v2
	s_mov_b32 s15, 0
	s_branch .LBB4_8488
.LBB4_8487:                             ;   in Loop: Header=BB4_8488 Depth=2
	s_wait_xcnt 0x0
	s_or_b32 exec_lo, exec_lo, s13
	v_add_nc_u32_e32 v42, v40, v42
	s_mov_b32 s18, 0
	s_and_not1_b32 exec_lo, exec_lo, s15
	s_cbranch_execz .LBB4_8560
.LBB4_8488:                             ;   Parent Loop BB4_47 Depth=1
                                        ; =>  This Loop Header: Depth=2
                                        ;       Child Loop BB4_8494 Depth 3
                                        ;       Child Loop BB4_8522 Depth 3
	;; [unrolled: 1-line block ×3, first 2 shown]
	s_delay_alu instid0(VALU_DEP_1) | instskip(SKIP_2) | instid1(VALU_DEP_2)
	v_sub_nc_u32_e32 v2, v1, v42
	v_and_b32_e32 v4, 12, v126
	s_mov_b32 s29, exec_lo
	v_min_i32_e32 v40, v40, v2
	s_delay_alu instid0(VALU_DEP_2)
	v_cmpx_ne_u32_e32 0, v4
	s_cbranch_execz .LBB4_8514
; %bb.8489:                             ;   in Loop: Header=BB4_8488 Depth=2
	v_dual_mov_b32 v9, v3 :: v_dual_bitop2_b32 v8, 8, v126 bitop3:0x40
	v_add_nc_u64_e32 v[4:5], 2, v[114:115]
	s_mov_b32 s42, exec_lo
	s_wait_loadcnt_dscnt 0x1
	s_delay_alu instid0(VALU_DEP_2) | instskip(NEXT) | instid1(VALU_DEP_1)
	v_add_nc_u64_e32 v[10:11], v[50:51], v[8:9]
	v_cmpx_lt_u64_e64 v[10:11], v[4:5]
	s_cbranch_execz .LBB4_8501
; %bb.8490:                             ;   in Loop: Header=BB4_8488 Depth=2
	v_and_b32_e32 v2, 64, v126
	s_mov_b32 s43, 0
	s_mov_b32 s73, 0
                                        ; implicit-def: $sgpr62
                                        ; implicit-def: $sgpr63
                                        ; implicit-def: $sgpr72
	s_delay_alu instid0(VALU_DEP_1)
	v_cmp_eq_u32_e32 vcc_lo, 0, v2
	s_branch .LBB4_8494
.LBB4_8491:                             ;   in Loop: Header=BB4_8494 Depth=3
	s_wait_loadcnt_dscnt 0x0
	v_add_nc_u64_e32 v[10:11], v[50:51], v[8:9]
	s_or_b32 s76, s76, exec_lo
	s_delay_alu instid0(VALU_DEP_1)
	v_cmp_ge_u64_e64 s13, v[10:11], v[4:5]
	s_or_not1_b32 s75, s13, exec_lo
.LBB4_8492:                             ;   in Loop: Header=BB4_8494 Depth=3
	s_or_b32 exec_lo, exec_lo, s78
	s_delay_alu instid0(SALU_CYCLE_1)
	s_and_not1_b32 s13, s72, exec_lo
	s_and_b32 s72, s76, exec_lo
	s_and_not1_b32 s63, s63, exec_lo
	s_and_b32 s75, s75, exec_lo
	s_or_b32 s72, s13, s72
	s_or_b32 s63, s63, s75
.LBB4_8493:                             ;   in Loop: Header=BB4_8494 Depth=3
	s_or_b32 exec_lo, exec_lo, s74
	s_delay_alu instid0(SALU_CYCLE_1) | instskip(NEXT) | instid1(SALU_CYCLE_1)
	s_and_b32 s13, exec_lo, s63
	s_or_b32 s43, s13, s43
	s_and_not1_b32 s13, s62, exec_lo
	s_and_b32 s62, s72, exec_lo
	s_delay_alu instid0(SALU_CYCLE_1)
	s_or_b32 s62, s13, s62
	s_and_not1_b32 exec_lo, exec_lo, s43
	s_cbranch_execz .LBB4_8498
.LBB4_8494:                             ;   Parent Loop BB4_47 Depth=1
                                        ;     Parent Loop BB4_8488 Depth=2
                                        ; =>    This Inner Loop Header: Depth=3
	s_sleep 1
	s_wait_loadcnt_dscnt 0x0
	flat_load_b64 v[50:51], v[32:33] scope:SCOPE_SYS
	s_or_b32 s72, s72, exec_lo
	s_or_b32 s63, s63, exec_lo
                                        ; implicit-def: $vgpr2
	s_wait_xcnt 0x0
	s_and_saveexec_b32 s74, vcc_lo
	s_cbranch_execz .LBB4_8493
; %bb.8495:                             ;   in Loop: Header=BB4_8494 Depth=3
	s_cmp_lt_i32 s73, 0x270f
	s_mov_b32 s75, -1
	s_cselect_b32 s77, -1, 0
	s_cmp_gt_i32 s73, 0x270e
	s_cbranch_scc0 .LBB4_8497
; %bb.8496:                             ;   in Loop: Header=BB4_8494 Depth=3
	s_trap 2
	ds_load_b64 v[10:11], v0
	s_and_not1_b32 s73, s77, exec_lo
	s_mov_b32 s76, 0
	s_wait_storecnt 0x0
	s_wait_loadcnt_dscnt 0x0
	flat_load_b32 v2, v[10:11] scope:SCOPE_SYS
	s_wait_loadcnt_dscnt 0x0
	global_inv scope:SCOPE_SYS
	v_cmp_eq_u32_e64 s13, 0, v2
	s_and_b32 s13, s13, exec_lo
	s_delay_alu instid0(SALU_CYCLE_1)
	s_or_b32 s77, s73, s13
	s_mov_b32 s73, 0
	s_wait_xcnt 0x0
	s_and_saveexec_b32 s78, s77
	s_cbranch_execz .LBB4_8492
	s_branch .LBB4_8491
.LBB4_8497:                             ;   in Loop: Header=BB4_8494 Depth=3
	s_add_co_i32 s73, s73, 1
	s_mov_b32 s76, -1
                                        ; implicit-def: $vgpr2
	s_and_saveexec_b32 s78, s77
	s_cbranch_execz .LBB4_8492
	s_branch .LBB4_8491
.LBB4_8498:                             ;   in Loop: Header=BB4_8488 Depth=2
	s_or_b32 exec_lo, exec_lo, s43
	s_xor_b32 s13, s62, -1
	s_delay_alu instid0(SALU_CYCLE_1) | instskip(NEXT) | instid1(SALU_CYCLE_1)
	s_and_saveexec_b32 s43, s13
	s_xor_b32 s13, exec_lo, s43
	s_cbranch_execz .LBB4_8500
; %bb.8499:                             ;   in Loop: Header=BB4_8488 Depth=2
	v_or_b32_e32 v126, 64, v126
	s_wait_storecnt 0x0
	s_wait_loadcnt_dscnt 0x0
	ds_store_b32 v0, v2
	s_trap 2
.LBB4_8500:                             ;   in Loop: Header=BB4_8488 Depth=2
	s_or_b32 exec_lo, exec_lo, s13
.LBB4_8501:                             ;   in Loop: Header=BB4_8488 Depth=2
	s_delay_alu instid0(SALU_CYCLE_1) | instskip(SKIP_3) | instid1(VALU_DEP_1)
	s_or_b32 exec_lo, exec_lo, s42
	v_and_b32_e32 v2, 0x108, v126
	s_mov_b32 s13, exec_lo
	;;#ASMSTART
	s_wakeup
	;;#ASMEND
                                        ; implicit-def: $vgpr10_vgpr11
	v_cmpx_ne_u32_e32 0x108, v2
	s_xor_b32 s13, exec_lo, s13
; %bb.8502:                             ;   in Loop: Header=BB4_8488 Depth=2
	v_dual_mov_b32 v11, v3 :: v_dual_bitop2_b32 v10, 7, v114 bitop3:0x40
                                        ; implicit-def: $vgpr114_vgpr115
; %bb.8503:                             ;   in Loop: Header=BB4_8488 Depth=2
	s_and_not1_saveexec_b32 s13, s13
	s_cbranch_execz .LBB4_8505
; %bb.8504:                             ;   in Loop: Header=BB4_8488 Depth=2
	v_dual_ashrrev_i32 v41, 31, v40 :: v_dual_bitop2_b32 v10, 7, v114 bitop3:0x40
	v_mov_b32_e32 v11, v3
	s_delay_alu instid0(VALU_DEP_2)
	v_mad_nc_u64_u32 v[12:13], v10, 24, v[6:7]
	flat_store_b64 v[12:13], v[40:41] offset:8
.LBB4_8505:                             ;   in Loop: Header=BB4_8488 Depth=2
	s_wait_xcnt 0x0
	s_or_b32 exec_lo, exec_lo, s13
	v_and_b32_e32 v2, 0x100, v126
	s_mov_b32 s13, -1
	s_mov_b32 s42, exec_lo
                                        ; implicit-def: $vgpr12_vgpr13
	s_delay_alu instid0(VALU_DEP_1)
	v_cmpx_ne_u32_e32 0, v2
	s_cbranch_execz .LBB4_8509
; %bb.8506:                             ;   in Loop: Header=BB4_8488 Depth=2
	v_mad_nc_u64_u32 v[14:15], v10, 24, v[6:7]
	s_mov_b32 s43, exec_lo
                                        ; implicit-def: $vgpr12_vgpr13
	s_delay_alu instid0(VALU_DEP_1)
	v_mad_u32 v15, v11, 24, v15
	flat_load_b32 v2, v[14:15]
	s_wait_loadcnt_dscnt 0x0
	v_cmp_ne_u32_e32 vcc_lo, 1, v2
	s_wait_xcnt 0x0
	v_cmpx_eq_u32_e32 1, v2
	s_cbranch_execz .LBB4_8508
; %bb.8507:                             ;   in Loop: Header=BB4_8488 Depth=2
	flat_load_b32 v12, v[14:15] offset:4 scope:SCOPE_SYS
	s_wait_loadcnt_dscnt 0x0
	v_ashrrev_i32_e32 v13, 31, v12
.LBB4_8508:                             ;   in Loop: Header=BB4_8488 Depth=2
	s_wait_xcnt 0x0
	s_or_b32 exec_lo, exec_lo, s43
	s_delay_alu instid0(SALU_CYCLE_1)
	s_or_not1_b32 s13, vcc_lo, exec_lo
.LBB4_8509:                             ;   in Loop: Header=BB4_8488 Depth=2
	s_or_b32 exec_lo, exec_lo, s42
	s_and_saveexec_b32 s42, s13
; %bb.8510:                             ;   in Loop: Header=BB4_8488 Depth=2
	v_mul_u64_e32 v[12:13], v[10:11], v[34:35]
; %bb.8511:                             ;   in Loop: Header=BB4_8488 Depth=2
	s_or_b32 exec_lo, exec_lo, s42
	v_cmp_eq_u32_e32 vcc_lo, 0, v8
	s_delay_alu instid0(VALU_DEP_2) | instskip(SKIP_3) | instid1(VALU_DEP_1)
	v_add_nc_u64_e32 v[8:9], v[36:37], v[12:13]
	v_and_b32_e32 v10, 0x2000, v126
	s_mov_b32 s13, exec_lo
	v_cndmask_b32_e32 v2, 0xd0, v65, vcc_lo
	v_add_nc_u32_e32 v2, v0, v2
	ds_store_b64 v2, v[8:9] offset:584
	v_cmpx_ne_u32_e32 0, v10
	s_cbranch_execz .LBB4_8513
; %bb.8512:                             ;   in Loop: Header=BB4_8488 Depth=2
	ds_load_b64 v[8:9], v0 offset:872
	s_wait_dscnt 0x0
	v_add_nc_u64_e32 v[8:9], 1, v[8:9]
	ds_store_b64 v0, v[8:9] offset:872
.LBB4_8513:                             ;   in Loop: Header=BB4_8488 Depth=2
	s_or_b32 exec_lo, exec_lo, s13
	v_mov_b64_e32 v[114:115], v[4:5]
.LBB4_8514:                             ;   in Loop: Header=BB4_8488 Depth=2
	s_or_b32 exec_lo, exec_lo, s29
	s_xor_b32 s13, s18, -1
	s_delay_alu instid0(SALU_CYCLE_1) | instskip(NEXT) | instid1(SALU_CYCLE_1)
	s_and_b32 s13, exec_lo, s13
	s_or_b32 s15, s13, s15
	s_and_saveexec_b32 s13, s2
	s_cbranch_execz .LBB4_8533
; %bb.8515:                             ;   in Loop: Header=BB4_8488 Depth=2
	s_and_saveexec_b32 s18, s3
	s_delay_alu instid0(SALU_CYCLE_1)
	s_xor_b32 s18, exec_lo, s18
	s_cbranch_execz .LBB4_8530
; %bb.8516:                             ;   in Loop: Header=BB4_8488 Depth=2
	s_and_saveexec_b32 s29, s6
	s_cbranch_execz .LBB4_8529
; %bb.8517:                             ;   in Loop: Header=BB4_8488 Depth=2
	s_mov_b32 s43, exec_lo
	s_mov_b32 s42, exec_lo
	v_mbcnt_lo_u32_b32 v2, s43, 0
	global_wb scope:SCOPE_DEV
	s_wait_storecnt 0x0
	s_wait_loadcnt_dscnt 0x0
	global_inv scope:SCOPE_DEV
	v_cmpx_eq_u32_e32 0, v2
	s_cbranch_execz .LBB4_8519
; %bb.8518:                             ;   in Loop: Header=BB4_8488 Depth=2
	s_bcnt1_i32_b32 s43, s43
	s_delay_alu instid0(SALU_CYCLE_1)
	v_dual_mov_b32 v5, v3 :: v_dual_mov_b32 v4, s43
	s_wait_loadcnt 0x0
	ds_add_u64 v0, v[4:5]
	s_trap 2
.LBB4_8519:                             ;   in Loop: Header=BB4_8488 Depth=2
	s_or_b32 exec_lo, exec_lo, s42
	s_trap 2
	ds_load_b64 v[4:5], v0
	s_wait_dscnt 0x0
	v_add_nc_u64_e32 v[48:49], v[48:49], v[52:53]
	s_mov_b32 s42, exec_lo
	s_delay_alu instid0(VALU_DEP_1)
	v_cmpx_lt_u64_e64 v[4:5], v[48:49]
	s_cbranch_execz .LBB4_8528
; %bb.8520:                             ;   in Loop: Header=BB4_8488 Depth=2
	s_mov_b32 s43, 0
	s_mov_b32 s72, 0
                                        ; implicit-def: $sgpr62
                                        ; implicit-def: $sgpr63
	s_branch .LBB4_8522
.LBB4_8521:                             ;   in Loop: Header=BB4_8522 Depth=3
	s_or_b32 exec_lo, exec_lo, s74
	s_delay_alu instid0(SALU_CYCLE_1) | instskip(NEXT) | instid1(SALU_CYCLE_1)
	s_and_b32 s73, exec_lo, s75
	s_or_b32 s43, s73, s43
	s_and_not1_b32 s62, s62, exec_lo
	s_and_b32 s73, s63, exec_lo
	s_delay_alu instid0(SALU_CYCLE_1)
	s_or_b32 s62, s62, s73
	s_and_not1_b32 exec_lo, exec_lo, s43
	s_cbranch_execz .LBB4_8526
.LBB4_8522:                             ;   Parent Loop BB4_47 Depth=1
                                        ;     Parent Loop BB4_8488 Depth=2
                                        ; =>    This Inner Loop Header: Depth=3
	s_add_co_i32 s72, s72, 1
	s_delay_alu instid0(SALU_CYCLE_1) | instskip(SKIP_1) | instid1(SALU_CYCLE_1)
	s_cmp_lg_u32 s72, 0x2710
	s_cselect_b32 s73, -1, 0
	s_and_b32 vcc_lo, exec_lo, s73
	s_cbranch_vccz .LBB4_8524
; %bb.8523:                             ;   in Loop: Header=BB4_8522 Depth=3
	s_mov_b32 s75, -1
	s_or_b32 s63, s63, exec_lo
	s_and_saveexec_b32 s74, s73
	s_cbranch_execz .LBB4_8521
	s_branch .LBB4_8525
.LBB4_8524:                             ;   in Loop: Header=BB4_8522 Depth=3
	s_trap 2
	ds_load_b64 v[4:5], v0
	s_and_not1_b32 s73, s73, exec_lo
	s_mov_b32 s72, 0
	s_wait_loadcnt_dscnt 0x0
	flat_load_b32 v2, v[4:5] scope:SCOPE_SYS
	s_wait_loadcnt_dscnt 0x0
	global_inv scope:SCOPE_SYS
	v_cmp_eq_u32_e32 vcc_lo, 0, v2
	s_and_b32 s74, vcc_lo, exec_lo
	s_delay_alu instid0(SALU_CYCLE_1)
	s_or_b32 s73, s73, s74
	s_mov_b32 s75, -1
	s_or_b32 s63, s63, exec_lo
	s_wait_xcnt 0x0
	s_and_saveexec_b32 s74, s73
	s_cbranch_execz .LBB4_8521
.LBB4_8525:                             ;   in Loop: Header=BB4_8522 Depth=3
	s_sleep 1
	s_trap 2
	ds_load_b64 v[4:5], v0
	s_wait_dscnt 0x0
	s_and_not1_b32 s63, s63, exec_lo
	v_cmp_ge_u64_e32 vcc_lo, v[4:5], v[48:49]
	s_or_not1_b32 s75, vcc_lo, exec_lo
	s_branch .LBB4_8521
.LBB4_8526:                             ;   in Loop: Header=BB4_8488 Depth=2
	s_or_b32 exec_lo, exec_lo, s43
	s_and_saveexec_b32 s43, s62
	s_delay_alu instid0(SALU_CYCLE_1)
	s_xor_b32 s43, exec_lo, s43
	s_cbranch_execz .LBB4_8528
; %bb.8527:                             ;   in Loop: Header=BB4_8488 Depth=2
	ds_store_b32 v0, v64
	s_trap 2
.LBB4_8528:                             ;   in Loop: Header=BB4_8488 Depth=2
	s_or_b32 exec_lo, exec_lo, s42
	;;#ASMSTART
	s_wakeup
	;;#ASMEND
.LBB4_8529:                             ;   in Loop: Header=BB4_8488 Depth=2
	s_or_b32 exec_lo, exec_lo, s29
.LBB4_8530:                             ;   in Loop: Header=BB4_8488 Depth=2
	s_and_not1_saveexec_b32 s18, s18
	s_cbranch_execz .LBB4_8532
; %bb.8531:                             ;   in Loop: Header=BB4_8488 Depth=2
	global_wb scope:SCOPE_DEV
	s_wait_storecnt 0x0
	s_wait_loadcnt_dscnt 0x0
	global_inv scope:SCOPE_DEV
	s_barrier_signal -1
	s_barrier_wait -1
.LBB4_8532:                             ;   in Loop: Header=BB4_8488 Depth=2
	s_or_b32 exec_lo, exec_lo, s18
.LBB4_8533:                             ;   in Loop: Header=BB4_8488 Depth=2
	s_delay_alu instid0(SALU_CYCLE_1) | instskip(SKIP_1) | instid1(SALU_CYCLE_1)
	s_or_b32 exec_lo, exec_lo, s13
                                        ; implicit-def: $vgpr2
	s_and_saveexec_b32 s13, s10
	s_xor_b32 s18, exec_lo, s13
	s_cbranch_execz .LBB4_8537
; %bb.8534:                             ;   in Loop: Header=BB4_8488 Depth=2
	s_trap 2
	ds_load_b32 v2, v0
	v_cmp_lt_i32_e32 vcc_lo, 0, v40
	s_wait_dscnt 0x0
	v_readfirstlane_b32 s13, v2
	v_and_b32_e32 v2, 16, v126
	s_cmp_eq_u32 s13, 0
	s_delay_alu instid0(VALU_DEP_1) | instskip(SKIP_3) | instid1(SALU_CYCLE_1)
	v_cmp_ne_u32_e64 s13, 0, v2
	s_cselect_b32 s29, -1, 0
	v_and_b32_e32 v2, 16, v126
	s_and_b32 s29, vcc_lo, s29
	s_and_b32 s29, s13, s29
	s_delay_alu instid0(SALU_CYCLE_1)
	s_and_saveexec_b32 s13, s29
	s_cbranch_execz .LBB4_8536
; %bb.8535:                             ;   in Loop: Header=BB4_8488 Depth=2
	v_mov_b32_e32 v2, 1
	global_wb scope:SCOPE_SYS
	s_wait_loadcnt 0x0
	s_wait_storecnt 0x0
	global_inv scope:SCOPE_SYS
.LBB4_8536:                             ;   in Loop: Header=BB4_8488 Depth=2
	s_or_b32 exec_lo, exec_lo, s13
	s_and_not1_saveexec_b32 s13, s18
	s_cbranch_execz .LBB4_8556
	s_branch .LBB4_8538
.LBB4_8537:                             ;   in Loop: Header=BB4_8488 Depth=2
	s_and_not1_saveexec_b32 s13, s18
	s_cbranch_execz .LBB4_8556
.LBB4_8538:                             ;   in Loop: Header=BB4_8488 Depth=2
	s_and_saveexec_b32 s18, s3
	s_delay_alu instid0(SALU_CYCLE_1)
	s_xor_b32 s18, exec_lo, s18
	s_cbranch_execz .LBB4_8553
; %bb.8539:                             ;   in Loop: Header=BB4_8488 Depth=2
	s_and_saveexec_b32 s29, s6
	s_cbranch_execz .LBB4_8552
; %bb.8540:                             ;   in Loop: Header=BB4_8488 Depth=2
	s_mov_b32 s43, exec_lo
	s_mov_b32 s42, exec_lo
	v_mbcnt_lo_u32_b32 v2, s43, 0
	;;#ASMSTART
	s_waitcnt lgkmcnt(0) vmcnt(0)
	;;#ASMEND
	s_delay_alu instid0(VALU_DEP_1)
	v_cmpx_eq_u32_e32 0, v2
	s_cbranch_execz .LBB4_8542
; %bb.8541:                             ;   in Loop: Header=BB4_8488 Depth=2
	s_bcnt1_i32_b32 s43, s43
	s_delay_alu instid0(SALU_CYCLE_1)
	v_dual_mov_b32 v5, v3 :: v_dual_mov_b32 v4, s43
	s_wait_storecnt 0x0
	s_wait_loadcnt_dscnt 0x0
	ds_add_u64 v0, v[4:5]
	s_trap 2
.LBB4_8542:                             ;   in Loop: Header=BB4_8488 Depth=2
	s_or_b32 exec_lo, exec_lo, s42
	s_trap 2
	ds_load_b64 v[4:5], v0
	s_wait_dscnt 0x0
	v_add_nc_u64_e32 v[48:49], v[48:49], v[52:53]
	s_mov_b32 s42, exec_lo
	s_delay_alu instid0(VALU_DEP_1)
	v_cmpx_lt_u64_e64 v[4:5], v[48:49]
	s_cbranch_execz .LBB4_8551
; %bb.8543:                             ;   in Loop: Header=BB4_8488 Depth=2
	s_mov_b32 s43, 0
	s_mov_b32 s72, 0
                                        ; implicit-def: $sgpr62
                                        ; implicit-def: $sgpr63
	s_branch .LBB4_8545
.LBB4_8544:                             ;   in Loop: Header=BB4_8545 Depth=3
	s_or_b32 exec_lo, exec_lo, s74
	s_delay_alu instid0(SALU_CYCLE_1) | instskip(NEXT) | instid1(SALU_CYCLE_1)
	s_and_b32 s73, exec_lo, s75
	s_or_b32 s43, s73, s43
	s_and_not1_b32 s62, s62, exec_lo
	s_and_b32 s73, s63, exec_lo
	s_delay_alu instid0(SALU_CYCLE_1)
	s_or_b32 s62, s62, s73
	s_and_not1_b32 exec_lo, exec_lo, s43
	s_cbranch_execz .LBB4_8549
.LBB4_8545:                             ;   Parent Loop BB4_47 Depth=1
                                        ;     Parent Loop BB4_8488 Depth=2
                                        ; =>    This Inner Loop Header: Depth=3
	s_add_co_i32 s72, s72, 1
	s_delay_alu instid0(SALU_CYCLE_1) | instskip(SKIP_1) | instid1(SALU_CYCLE_1)
	s_cmp_lg_u32 s72, 0x2710
	s_cselect_b32 s73, -1, 0
	s_and_b32 vcc_lo, exec_lo, s73
	s_cbranch_vccz .LBB4_8547
; %bb.8546:                             ;   in Loop: Header=BB4_8545 Depth=3
	s_mov_b32 s75, -1
	s_or_b32 s63, s63, exec_lo
	s_and_saveexec_b32 s74, s73
	s_cbranch_execz .LBB4_8544
	s_branch .LBB4_8548
.LBB4_8547:                             ;   in Loop: Header=BB4_8545 Depth=3
	s_trap 2
	ds_load_b64 v[4:5], v0
	s_and_not1_b32 s73, s73, exec_lo
	s_mov_b32 s72, 0
	s_wait_storecnt 0x0
	s_wait_loadcnt_dscnt 0x0
	flat_load_b32 v2, v[4:5] scope:SCOPE_SYS
	s_wait_loadcnt_dscnt 0x0
	global_inv scope:SCOPE_SYS
	v_cmp_eq_u32_e32 vcc_lo, 0, v2
	s_and_b32 s74, vcc_lo, exec_lo
	s_delay_alu instid0(SALU_CYCLE_1)
	s_or_b32 s73, s73, s74
	s_mov_b32 s75, -1
	s_or_b32 s63, s63, exec_lo
	s_wait_xcnt 0x0
	s_and_saveexec_b32 s74, s73
	s_cbranch_execz .LBB4_8544
.LBB4_8548:                             ;   in Loop: Header=BB4_8545 Depth=3
	s_sleep 1
	s_trap 2
	ds_load_b64 v[4:5], v0
	s_wait_dscnt 0x0
	s_and_not1_b32 s63, s63, exec_lo
	v_cmp_ge_u64_e32 vcc_lo, v[4:5], v[48:49]
	s_or_not1_b32 s75, vcc_lo, exec_lo
	s_branch .LBB4_8544
.LBB4_8549:                             ;   in Loop: Header=BB4_8488 Depth=2
	s_or_b32 exec_lo, exec_lo, s43
	s_and_saveexec_b32 s43, s62
	s_delay_alu instid0(SALU_CYCLE_1)
	s_xor_b32 s43, exec_lo, s43
	s_cbranch_execz .LBB4_8551
; %bb.8550:                             ;   in Loop: Header=BB4_8488 Depth=2
	ds_store_b32 v0, v64
	s_trap 2
.LBB4_8551:                             ;   in Loop: Header=BB4_8488 Depth=2
	s_or_b32 exec_lo, exec_lo, s42
	;;#ASMSTART
	s_wakeup
	;;#ASMEND
.LBB4_8552:                             ;   in Loop: Header=BB4_8488 Depth=2
	s_or_b32 exec_lo, exec_lo, s29
.LBB4_8553:                             ;   in Loop: Header=BB4_8488 Depth=2
	s_and_not1_saveexec_b32 s18, s18
	s_cbranch_execz .LBB4_8555
; %bb.8554:                             ;   in Loop: Header=BB4_8488 Depth=2
	;;#ASMSTART
	s_waitcnt lgkmcnt(0) vmcnt(0)
	;;#ASMEND
	s_barrier_signal -1
	s_barrier_wait -1
.LBB4_8555:                             ;   in Loop: Header=BB4_8488 Depth=2
	s_or_b32 exec_lo, exec_lo, s18
	v_and_b32_e32 v2, 16, v126
.LBB4_8556:                             ;   in Loop: Header=BB4_8488 Depth=2
	s_or_b32 exec_lo, exec_lo, s13
	s_delay_alu instid0(VALU_DEP_1) | instskip(SKIP_1) | instid1(SALU_CYCLE_1)
	v_cmp_ne_u32_e32 vcc_lo, 0, v2
	s_xor_b32 s13, s4, -1
	s_and_b32 s18, vcc_lo, s13
	s_delay_alu instid0(SALU_CYCLE_1)
	s_and_saveexec_b32 s13, s18
	s_cbranch_execz .LBB4_8558
; %bb.8557:                             ;   in Loop: Header=BB4_8488 Depth=2
	global_wb scope:SCOPE_SYS
	s_wait_storecnt 0x0
	s_wait_loadcnt_dscnt 0x0
	flat_store_b32 v[38:39], v64 scope:SCOPE_SYS
.LBB4_8558:                             ;   in Loop: Header=BB4_8488 Depth=2
	s_wait_xcnt 0x0
	s_or_b32 exec_lo, exec_lo, s13
	v_and_b32_e32 v2, 48, v126
	s_mov_b32 s13, exec_lo
	s_delay_alu instid0(VALU_DEP_1)
	v_cmpx_ne_u32_e32 0, v2
	s_cbranch_execz .LBB4_8487
; %bb.8559:                             ;   in Loop: Header=BB4_8488 Depth=2
	v_add_nc_u64_e32 v[114:115], 2, v[114:115]
	global_wb scope:SCOPE_SYS
	s_wait_storecnt 0x0
	s_wait_loadcnt_dscnt 0x0
	flat_store_b64 v[32:33], v[114:115] scope:SCOPE_SYS
	s_branch .LBB4_8487
.LBB4_8560:                             ;   in Loop: Header=BB4_47 Depth=1
	s_or_b32 exec_lo, exec_lo, s15
.LBB4_8561:                             ;   in Loop: Header=BB4_47 Depth=1
	s_delay_alu instid0(SALU_CYCLE_1)
	s_or_b32 exec_lo, exec_lo, s14
	s_clause 0x1
	scratch_load_b64 v[40:41], off, s33 offset:232
	scratch_load_b64 v[42:43], off, s33 offset:240
	s_and_not1_b32 vcc_lo, exec_lo, s56
	s_cbranch_vccnz .LBB4_8822
; %bb.8562:                             ;   in Loop: Header=BB4_47 Depth=1
	s_mov_b32 s18, 1
.LBB4_8563:                             ;   Parent Loop BB4_47 Depth=1
                                        ; =>  This Loop Header: Depth=2
                                        ;       Child Loop BB4_8566 Depth 3
                                        ;         Child Loop BB4_8574 Depth 4
                                        ;         Child Loop BB4_8602 Depth 4
	;; [unrolled: 1-line block ×5, first 2 shown]
                                        ;           Child Loop BB4_8654 Depth 5
                                        ;         Child Loop BB4_8663 Depth 4
                                        ;         Child Loop BB4_8668 Depth 4
                                        ;           Child Loop BB4_8669 Depth 5
                                        ;         Child Loop BB4_8681 Depth 4
                                        ;         Child Loop BB4_8686 Depth 4
	;; [unrolled: 1-line block ×6, first 2 shown]
                                        ;       Child Loop BB4_8747 Depth 3
                                        ;         Child Loop BB4_8753 Depth 4
                                        ;         Child Loop BB4_8781 Depth 4
	;; [unrolled: 1-line block ×3, first 2 shown]
	s_clause 0x1
	scratch_load_b64 v[10:11], off, s33 offset:208
	scratch_load_b64 v[8:9], off, s33 offset:200
	s_sub_co_i32 s13, s46, s18
	s_mov_b32 s62, 0
	s_cmp_ge_i32 s13, s16
	v_mov_b32_e32 v14, 0
	s_cselect_b32 s14, s16, 0
	s_delay_alu instid0(SALU_CYCLE_1) | instskip(NEXT) | instid1(SALU_CYCLE_1)
	s_sub_co_i32 s14, s13, s14
	s_ashr_i32 s15, s14, 31
	s_wait_loadcnt 0x1
	v_mul_u64_e32 v[4:5], s[14:15], v[10:11]
	s_wait_loadcnt 0x0
	s_delay_alu instid0(VALU_DEP_1) | instskip(NEXT) | instid1(VALU_DEP_1)
	v_sub_nc_u64_e32 v[8:9], v[8:9], v[4:5]
	v_min_i64 v[8:9], v[10:11], v[8:9]
	s_delay_alu instid0(VALU_DEP_1) | instskip(SKIP_1) | instid1(VALU_DEP_2)
	v_max_i32_e32 v1, 0, v8
	v_cmp_lt_i32_e32 vcc_lo, 0, v8
	v_add_nc_u32_e32 v2, 31, v1
	s_and_b32 s13, s59, vcc_lo
	s_delay_alu instid0(VALU_DEP_1) | instskip(NEXT) | instid1(VALU_DEP_1)
	v_lshrrev_b32_e32 v2, 1, v2
	v_and_b32_e32 v9, 0x3ffffff0, v2
	s_delay_alu instid0(VALU_DEP_1)
	v_dual_mov_b32 v2, 0 :: v_dual_max_i32 v12, s47, v9
	s_wait_xcnt 0x0
	s_and_saveexec_b32 s29, s13
	s_cbranch_execz .LBB4_8744
; %bb.8564:                             ;   in Loop: Header=BB4_8563 Depth=2
	scratch_load_b64 v[8:9], off, s33 offset:188 ; 8-byte Folded Reload
	v_mov_b32_e32 v14, 0
	s_mov_b32 s72, 1
	s_mov_b32 s63, -1
	s_wait_loadcnt 0x0
	v_add_nc_u64_e32 v[16:17], v[4:5], v[8:9]
	s_branch .LBB4_8566
.LBB4_8565:                             ;   in Loop: Header=BB4_8566 Depth=3
	s_wait_xcnt 0x0
	s_or_b32 exec_lo, exec_lo, s13
	v_dual_add_nc_u32 v14, v12, v14 :: v_dual_mov_b32 v2, s72
	s_xor_b32 s13, s63, -1
	s_mov_b32 s63, 0
	s_mov_b32 s72, 2
	s_delay_alu instid0(VALU_DEP_1) | instskip(SKIP_1) | instid1(SALU_CYCLE_1)
	v_cmp_ge_i32_e32 vcc_lo, v14, v1
	s_or_b32 s13, s13, vcc_lo
	s_and_b32 s13, exec_lo, s13
	s_delay_alu instid0(SALU_CYCLE_1) | instskip(NEXT) | instid1(SALU_CYCLE_1)
	s_or_b32 s62, s13, s62
	s_and_not1_b32 exec_lo, exec_lo, s62
	s_cbranch_execz .LBB4_8743
.LBB4_8566:                             ;   Parent Loop BB4_47 Depth=1
                                        ;     Parent Loop BB4_8563 Depth=2
                                        ; =>    This Loop Header: Depth=3
                                        ;         Child Loop BB4_8574 Depth 4
                                        ;         Child Loop BB4_8602 Depth 4
	;; [unrolled: 1-line block ×5, first 2 shown]
                                        ;           Child Loop BB4_8654 Depth 5
                                        ;         Child Loop BB4_8663 Depth 4
                                        ;         Child Loop BB4_8668 Depth 4
                                        ;           Child Loop BB4_8669 Depth 5
                                        ;         Child Loop BB4_8681 Depth 4
                                        ;         Child Loop BB4_8686 Depth 4
	;; [unrolled: 1-line block ×6, first 2 shown]
	s_wait_xcnt 0x0
	s_and_saveexec_b32 s13, s0
	s_cbranch_execz .LBB4_8568
; %bb.8567:                             ;   in Loop: Header=BB4_8566 Depth=3
	s_trap 2
	ds_load_b128 v[8:11], v0
	s_wait_dscnt 0x0
	v_add_nc_u64_e32 v[4:5], v[10:11], v[16:17]
	v_cmp_ne_u64_e32 vcc_lo, 0, v[10:11]
	v_ashrrev_i32_e32 v15, 31, v14
	v_add_nc_u64_e32 v[8:9], v[8:9], v[16:17]
	s_delay_alu instid0(VALU_DEP_2) | instskip(NEXT) | instid1(VALU_DEP_1)
	v_add_nc_u64_e32 v[4:5], v[4:5], v[14:15]
	v_cndmask_b32_e32 v5, 0, v5, vcc_lo
	s_delay_alu instid0(VALU_DEP_3) | instskip(NEXT) | instid1(VALU_DEP_3)
	v_add_nc_u64_e32 v[8:9], v[8:9], v[14:15]
	v_cndmask_b32_e32 v4, 0, v4, vcc_lo
	ds_store_b64 v0, v[8:9]
	ds_store_b64 v0, v[4:5]
.LBB4_8568:                             ;   in Loop: Header=BB4_8566 Depth=3
	s_or_b32 exec_lo, exec_lo, s13
	v_sub_nc_u32_e32 v2, v1, v14
	v_and_b32_e32 v4, 12, v126
	s_mov_b32 s14, exec_lo
	s_delay_alu instid0(VALU_DEP_2) | instskip(NEXT) | instid1(VALU_DEP_2)
	v_min_i32_e32 v12, v12, v2
	v_cmpx_ne_u32_e32 0, v4
	s_cbranch_execz .LBB4_8594
; %bb.8569:                             ;   in Loop: Header=BB4_8566 Depth=3
	v_and_b32_e32 v2, 8, v126
	v_add_nc_u64_e32 v[4:5], 2, v[114:115]
	s_mov_b32 s15, exec_lo
	s_wait_loadcnt_dscnt 0x1
	s_delay_alu instid0(VALU_DEP_2) | instskip(NEXT) | instid1(VALU_DEP_1)
	v_add_nc_u64_e32 v[8:9], v[50:51], v[2:3]
	v_cmpx_lt_u64_e64 v[8:9], v[4:5]
	s_cbranch_execz .LBB4_8581
; %bb.8570:                             ;   in Loop: Header=BB4_8566 Depth=3
	v_and_b32_e32 v8, 64, v126
	s_mov_b32 s42, 0
	s_mov_b32 s75, 0
                                        ; implicit-def: $sgpr43
                                        ; implicit-def: $sgpr73
                                        ; implicit-def: $sgpr74
	s_delay_alu instid0(VALU_DEP_1)
	v_cmp_eq_u32_e32 vcc_lo, 0, v8
	s_branch .LBB4_8574
.LBB4_8571:                             ;   in Loop: Header=BB4_8574 Depth=4
	s_wait_loadcnt_dscnt 0x0
	v_add_nc_u64_e32 v[10:11], v[50:51], v[2:3]
	s_or_b32 s78, s78, exec_lo
	s_delay_alu instid0(VALU_DEP_1)
	v_cmp_ge_u64_e64 s13, v[10:11], v[4:5]
	s_or_not1_b32 s77, s13, exec_lo
.LBB4_8572:                             ;   in Loop: Header=BB4_8574 Depth=4
	s_or_b32 exec_lo, exec_lo, s88
	s_delay_alu instid0(SALU_CYCLE_1)
	s_and_not1_b32 s13, s74, exec_lo
	s_and_b32 s74, s78, exec_lo
	s_and_not1_b32 s73, s73, exec_lo
	s_and_b32 s77, s77, exec_lo
	s_or_b32 s74, s13, s74
	s_or_b32 s73, s73, s77
.LBB4_8573:                             ;   in Loop: Header=BB4_8574 Depth=4
	s_or_b32 exec_lo, exec_lo, s76
	s_delay_alu instid0(SALU_CYCLE_1) | instskip(NEXT) | instid1(SALU_CYCLE_1)
	s_and_b32 s13, exec_lo, s73
	s_or_b32 s42, s13, s42
	s_and_not1_b32 s13, s43, exec_lo
	s_and_b32 s43, s74, exec_lo
	s_delay_alu instid0(SALU_CYCLE_1)
	s_or_b32 s43, s13, s43
	s_and_not1_b32 exec_lo, exec_lo, s42
	s_cbranch_execz .LBB4_8578
.LBB4_8574:                             ;   Parent Loop BB4_47 Depth=1
                                        ;     Parent Loop BB4_8563 Depth=2
                                        ;       Parent Loop BB4_8566 Depth=3
                                        ; =>      This Inner Loop Header: Depth=4
	s_sleep 1
	s_wait_loadcnt_dscnt 0x0
	flat_load_b64 v[50:51], v[32:33] scope:SCOPE_SYS
	s_or_b32 s74, s74, exec_lo
	s_or_b32 s73, s73, exec_lo
                                        ; implicit-def: $vgpr8
	s_wait_xcnt 0x0
	s_and_saveexec_b32 s76, vcc_lo
	s_cbranch_execz .LBB4_8573
; %bb.8575:                             ;   in Loop: Header=BB4_8574 Depth=4
	s_cmp_lt_i32 s75, 0x270f
	s_mov_b32 s77, -1
	s_cselect_b32 s79, -1, 0
	s_cmp_gt_i32 s75, 0x270e
	s_cbranch_scc0 .LBB4_8577
; %bb.8576:                             ;   in Loop: Header=BB4_8574 Depth=4
	s_trap 2
	ds_load_b64 v[8:9], v0
	s_and_not1_b32 s75, s79, exec_lo
	s_mov_b32 s78, 0
	s_wait_storecnt 0x0
	s_wait_loadcnt_dscnt 0x0
	flat_load_b32 v8, v[8:9] scope:SCOPE_SYS
	s_wait_loadcnt_dscnt 0x0
	global_inv scope:SCOPE_SYS
	v_cmp_eq_u32_e64 s13, 0, v8
	s_and_b32 s13, s13, exec_lo
	s_delay_alu instid0(SALU_CYCLE_1)
	s_or_b32 s79, s75, s13
	s_mov_b32 s75, 0
	s_wait_xcnt 0x0
	s_and_saveexec_b32 s88, s79
	s_cbranch_execz .LBB4_8572
	s_branch .LBB4_8571
.LBB4_8577:                             ;   in Loop: Header=BB4_8574 Depth=4
	s_add_co_i32 s75, s75, 1
	s_mov_b32 s78, -1
                                        ; implicit-def: $vgpr8
	s_and_saveexec_b32 s88, s79
	s_cbranch_execz .LBB4_8572
	s_branch .LBB4_8571
.LBB4_8578:                             ;   in Loop: Header=BB4_8566 Depth=3
	s_or_b32 exec_lo, exec_lo, s42
	s_xor_b32 s13, s43, -1
	s_delay_alu instid0(SALU_CYCLE_1) | instskip(NEXT) | instid1(SALU_CYCLE_1)
	s_and_saveexec_b32 s42, s13
	s_xor_b32 s13, exec_lo, s42
	s_cbranch_execz .LBB4_8580
; %bb.8579:                             ;   in Loop: Header=BB4_8566 Depth=3
	v_or_b32_e32 v126, 64, v126
	s_wait_storecnt 0x0
	s_wait_loadcnt_dscnt 0x0
	ds_store_b32 v0, v8
	s_trap 2
.LBB4_8580:                             ;   in Loop: Header=BB4_8566 Depth=3
	s_or_b32 exec_lo, exec_lo, s13
.LBB4_8581:                             ;   in Loop: Header=BB4_8566 Depth=3
	s_delay_alu instid0(SALU_CYCLE_1) | instskip(SKIP_2) | instid1(VALU_DEP_1)
	s_or_b32 exec_lo, exec_lo, s15
	v_and_b32_e32 v8, 0x108, v126
	;;#ASMSTART
	s_wakeup
	;;#ASMEND
	v_cmp_ne_u32_e32 vcc_lo, 0x108, v8
                                        ; implicit-def: $vgpr8_vgpr9
	s_and_saveexec_b32 s13, vcc_lo
	s_delay_alu instid0(SALU_CYCLE_1)
	s_xor_b32 s13, exec_lo, s13
; %bb.8582:                             ;   in Loop: Header=BB4_8566 Depth=3
	v_dual_mov_b32 v9, v3 :: v_dual_bitop2_b32 v8, 7, v114 bitop3:0x40
                                        ; implicit-def: $vgpr114_vgpr115
; %bb.8583:                             ;   in Loop: Header=BB4_8566 Depth=3
	s_and_not1_saveexec_b32 s13, s13
	s_cbranch_execz .LBB4_8585
; %bb.8584:                             ;   in Loop: Header=BB4_8566 Depth=3
	v_dual_ashrrev_i32 v13, 31, v12 :: v_dual_bitop2_b32 v8, 7, v114 bitop3:0x40
	v_mov_b32_e32 v9, v3
	s_delay_alu instid0(VALU_DEP_2)
	v_mad_nc_u64_u32 v[10:11], v8, 24, v[6:7]
	flat_store_b64 v[10:11], v[12:13] offset:8
.LBB4_8585:                             ;   in Loop: Header=BB4_8566 Depth=3
	s_wait_xcnt 0x0
	s_or_b32 exec_lo, exec_lo, s13
	v_and_b32_e32 v10, 0x100, v126
	s_mov_b32 s13, -1
	s_delay_alu instid0(VALU_DEP_1)
	v_cmp_ne_u32_e32 vcc_lo, 0, v10
                                        ; implicit-def: $vgpr10_vgpr11
	s_and_saveexec_b32 s15, vcc_lo
	s_cbranch_execz .LBB4_8589
; %bb.8586:                             ;   in Loop: Header=BB4_8566 Depth=3
	v_mad_nc_u64_u32 v[18:19], v8, 24, v[6:7]
	s_delay_alu instid0(VALU_DEP_1)
	v_mad_u32 v19, v9, 24, v19
	flat_load_b32 v10, v[18:19]
	s_wait_loadcnt_dscnt 0x0
	v_cmp_eq_u32_e64 s13, 1, v10
	v_cmp_ne_u32_e32 vcc_lo, 1, v10
                                        ; implicit-def: $vgpr10_vgpr11
	s_wait_xcnt 0x0
	s_and_saveexec_b32 s42, s13
	s_cbranch_execz .LBB4_8588
; %bb.8587:                             ;   in Loop: Header=BB4_8566 Depth=3
	flat_load_b32 v10, v[18:19] offset:4 scope:SCOPE_SYS
	s_wait_loadcnt_dscnt 0x0
	v_ashrrev_i32_e32 v11, 31, v10
.LBB4_8588:                             ;   in Loop: Header=BB4_8566 Depth=3
	s_wait_xcnt 0x0
	s_or_b32 exec_lo, exec_lo, s42
	s_delay_alu instid0(SALU_CYCLE_1)
	s_or_not1_b32 s13, vcc_lo, exec_lo
.LBB4_8589:                             ;   in Loop: Header=BB4_8566 Depth=3
	s_or_b32 exec_lo, exec_lo, s15
	s_and_saveexec_b32 s15, s13
; %bb.8590:                             ;   in Loop: Header=BB4_8566 Depth=3
	v_mul_u64_e32 v[10:11], v[8:9], v[34:35]
; %bb.8591:                             ;   in Loop: Header=BB4_8566 Depth=3
	s_or_b32 exec_lo, exec_lo, s15
	v_cmp_eq_u32_e32 vcc_lo, 0, v2
	s_delay_alu instid0(VALU_DEP_2) | instskip(SKIP_3) | instid1(VALU_DEP_1)
	v_add_nc_u64_e32 v[8:9], v[36:37], v[10:11]
	v_and_b32_e32 v13, 0x2000, v126
	s_mov_b32 s13, exec_lo
	v_cndmask_b32_e32 v2, 0xd0, v118, vcc_lo
	v_add_nc_u32_e32 v2, v0, v2
	ds_store_b64 v2, v[8:9] offset:584
	v_cmpx_ne_u32_e32 0, v13
	s_cbranch_execz .LBB4_8593
; %bb.8592:                             ;   in Loop: Header=BB4_8566 Depth=3
	ds_load_b64 v[8:9], v0 offset:872
	s_wait_dscnt 0x0
	v_add_nc_u64_e32 v[8:9], 1, v[8:9]
	ds_store_b64 v0, v[8:9] offset:872
.LBB4_8593:                             ;   in Loop: Header=BB4_8566 Depth=3
	s_or_b32 exec_lo, exec_lo, s13
	v_mov_b64_e32 v[114:115], v[4:5]
.LBB4_8594:                             ;   in Loop: Header=BB4_8566 Depth=3
	s_or_b32 exec_lo, exec_lo, s14
	s_and_saveexec_b32 s13, s2
	s_cbranch_execz .LBB4_8613
; %bb.8595:                             ;   in Loop: Header=BB4_8566 Depth=3
	s_and_saveexec_b32 s14, s3
	s_delay_alu instid0(SALU_CYCLE_1)
	s_xor_b32 s14, exec_lo, s14
	s_cbranch_execz .LBB4_8610
; %bb.8596:                             ;   in Loop: Header=BB4_8566 Depth=3
	s_and_saveexec_b32 s15, s6
	s_cbranch_execz .LBB4_8609
; %bb.8597:                             ;   in Loop: Header=BB4_8566 Depth=3
	s_mov_b32 s43, exec_lo
	s_mov_b32 s42, exec_lo
	v_mbcnt_lo_u32_b32 v2, s43, 0
	global_wb scope:SCOPE_DEV
	s_wait_storecnt 0x0
	s_wait_loadcnt_dscnt 0x0
	global_inv scope:SCOPE_DEV
	v_cmpx_eq_u32_e32 0, v2
	s_cbranch_execz .LBB4_8599
; %bb.8598:                             ;   in Loop: Header=BB4_8566 Depth=3
	s_bcnt1_i32_b32 s43, s43
	s_delay_alu instid0(SALU_CYCLE_1)
	v_dual_mov_b32 v5, v3 :: v_dual_mov_b32 v4, s43
	s_wait_loadcnt 0x0
	ds_add_u64 v0, v[4:5]
	s_trap 2
.LBB4_8599:                             ;   in Loop: Header=BB4_8566 Depth=3
	s_or_b32 exec_lo, exec_lo, s42
	s_trap 2
	ds_load_b64 v[4:5], v0
	s_wait_dscnt 0x0
	v_add_nc_u64_e32 v[48:49], v[48:49], v[52:53]
	s_mov_b32 s42, exec_lo
	s_delay_alu instid0(VALU_DEP_1)
	v_cmpx_lt_u64_e64 v[4:5], v[48:49]
	s_cbranch_execz .LBB4_8608
; %bb.8600:                             ;   in Loop: Header=BB4_8566 Depth=3
	s_mov_b32 s43, 0
	s_mov_b32 s75, 0
                                        ; implicit-def: $sgpr73
                                        ; implicit-def: $sgpr74
	s_branch .LBB4_8602
.LBB4_8601:                             ;   in Loop: Header=BB4_8602 Depth=4
	s_or_b32 exec_lo, exec_lo, s77
	s_delay_alu instid0(SALU_CYCLE_1) | instskip(NEXT) | instid1(SALU_CYCLE_1)
	s_and_b32 s76, exec_lo, s78
	s_or_b32 s43, s76, s43
	s_and_not1_b32 s73, s73, exec_lo
	s_and_b32 s76, s74, exec_lo
	s_delay_alu instid0(SALU_CYCLE_1)
	s_or_b32 s73, s73, s76
	s_and_not1_b32 exec_lo, exec_lo, s43
	s_cbranch_execz .LBB4_8606
.LBB4_8602:                             ;   Parent Loop BB4_47 Depth=1
                                        ;     Parent Loop BB4_8563 Depth=2
                                        ;       Parent Loop BB4_8566 Depth=3
                                        ; =>      This Inner Loop Header: Depth=4
	s_add_co_i32 s75, s75, 1
	s_delay_alu instid0(SALU_CYCLE_1) | instskip(SKIP_1) | instid1(SALU_CYCLE_1)
	s_cmp_lg_u32 s75, 0x2710
	s_cselect_b32 s76, -1, 0
	s_and_b32 vcc_lo, exec_lo, s76
	s_cbranch_vccz .LBB4_8604
; %bb.8603:                             ;   in Loop: Header=BB4_8602 Depth=4
	s_mov_b32 s78, -1
	s_or_b32 s74, s74, exec_lo
	s_and_saveexec_b32 s77, s76
	s_cbranch_execz .LBB4_8601
	s_branch .LBB4_8605
.LBB4_8604:                             ;   in Loop: Header=BB4_8602 Depth=4
	s_trap 2
	ds_load_b64 v[4:5], v0
	s_and_not1_b32 s76, s76, exec_lo
	s_mov_b32 s75, 0
	s_wait_loadcnt_dscnt 0x0
	flat_load_b32 v2, v[4:5] scope:SCOPE_SYS
	s_wait_loadcnt_dscnt 0x0
	global_inv scope:SCOPE_SYS
	v_cmp_eq_u32_e32 vcc_lo, 0, v2
	s_and_b32 s77, vcc_lo, exec_lo
	s_delay_alu instid0(SALU_CYCLE_1)
	s_or_b32 s76, s76, s77
	s_mov_b32 s78, -1
	s_or_b32 s74, s74, exec_lo
	s_wait_xcnt 0x0
	s_and_saveexec_b32 s77, s76
	s_cbranch_execz .LBB4_8601
.LBB4_8605:                             ;   in Loop: Header=BB4_8602 Depth=4
	s_sleep 1
	s_trap 2
	ds_load_b64 v[4:5], v0
	s_wait_dscnt 0x0
	s_and_not1_b32 s74, s74, exec_lo
	v_cmp_ge_u64_e32 vcc_lo, v[4:5], v[48:49]
	s_or_not1_b32 s78, vcc_lo, exec_lo
	s_branch .LBB4_8601
.LBB4_8606:                             ;   in Loop: Header=BB4_8566 Depth=3
	s_or_b32 exec_lo, exec_lo, s43
	s_and_saveexec_b32 s43, s73
	s_delay_alu instid0(SALU_CYCLE_1)
	s_xor_b32 s43, exec_lo, s43
	s_cbranch_execz .LBB4_8608
; %bb.8607:                             ;   in Loop: Header=BB4_8566 Depth=3
	ds_store_b32 v0, v64
	s_trap 2
.LBB4_8608:                             ;   in Loop: Header=BB4_8566 Depth=3
	s_or_b32 exec_lo, exec_lo, s42
	;;#ASMSTART
	s_wakeup
	;;#ASMEND
.LBB4_8609:                             ;   in Loop: Header=BB4_8566 Depth=3
	s_or_b32 exec_lo, exec_lo, s15
.LBB4_8610:                             ;   in Loop: Header=BB4_8566 Depth=3
	s_and_not1_saveexec_b32 s14, s14
	s_cbranch_execz .LBB4_8612
; %bb.8611:                             ;   in Loop: Header=BB4_8566 Depth=3
	global_wb scope:SCOPE_DEV
	s_wait_storecnt 0x0
	s_wait_loadcnt_dscnt 0x0
	global_inv scope:SCOPE_DEV
	s_barrier_signal -1
	s_barrier_wait -1
.LBB4_8612:                             ;   in Loop: Header=BB4_8566 Depth=3
	s_or_b32 exec_lo, exec_lo, s14
.LBB4_8613:                             ;   in Loop: Header=BB4_8566 Depth=3
	s_delay_alu instid0(SALU_CYCLE_1) | instskip(SKIP_4) | instid1(VALU_DEP_1)
	s_or_b32 exec_lo, exec_lo, s13
	s_trap 2
	ds_load_b32 v2, v0
	v_and_b32_e32 v4, 0x4000, v126
	s_xor_b32 s13, s1, -1
	v_cmp_ne_u32_e32 vcc_lo, 0, v4
	s_and_b32 s14, s13, vcc_lo
	s_delay_alu instid0(SALU_CYCLE_1)
	s_and_saveexec_b32 s13, s14
	s_cbranch_execz .LBB4_8632
; %bb.8614:                             ;   in Loop: Header=BB4_8566 Depth=3
	s_and_saveexec_b32 s14, s3
	s_delay_alu instid0(SALU_CYCLE_1)
	s_xor_b32 s14, exec_lo, s14
	s_cbranch_execz .LBB4_8629
; %bb.8615:                             ;   in Loop: Header=BB4_8566 Depth=3
	s_and_saveexec_b32 s15, s6
	s_cbranch_execz .LBB4_8628
; %bb.8616:                             ;   in Loop: Header=BB4_8566 Depth=3
	s_mov_b32 s43, exec_lo
	s_mov_b32 s42, exec_lo
	v_mbcnt_lo_u32_b32 v4, s43, 0
	global_wb scope:SCOPE_DEV
	s_wait_storecnt 0x0
	s_wait_loadcnt_dscnt 0x0
	global_inv scope:SCOPE_DEV
	v_cmpx_eq_u32_e32 0, v4
	s_cbranch_execz .LBB4_8618
; %bb.8617:                             ;   in Loop: Header=BB4_8566 Depth=3
	s_bcnt1_i32_b32 s43, s43
	s_delay_alu instid0(SALU_CYCLE_1)
	v_dual_mov_b32 v5, v3 :: v_dual_mov_b32 v4, s43
	s_wait_loadcnt 0x0
	ds_add_u64 v0, v[4:5]
	s_trap 2
.LBB4_8618:                             ;   in Loop: Header=BB4_8566 Depth=3
	s_or_b32 exec_lo, exec_lo, s42
	s_trap 2
	ds_load_b64 v[4:5], v0
	s_wait_dscnt 0x0
	v_add_nc_u64_e32 v[48:49], v[48:49], v[52:53]
	s_mov_b32 s42, exec_lo
	s_delay_alu instid0(VALU_DEP_1)
	v_cmpx_lt_u64_e64 v[4:5], v[48:49]
	s_cbranch_execz .LBB4_8627
; %bb.8619:                             ;   in Loop: Header=BB4_8566 Depth=3
	s_mov_b32 s43, 0
	s_mov_b32 s75, 0
                                        ; implicit-def: $sgpr73
                                        ; implicit-def: $sgpr74
	s_branch .LBB4_8621
.LBB4_8620:                             ;   in Loop: Header=BB4_8621 Depth=4
	s_or_b32 exec_lo, exec_lo, s77
	s_delay_alu instid0(SALU_CYCLE_1) | instskip(NEXT) | instid1(SALU_CYCLE_1)
	s_and_b32 s76, exec_lo, s78
	s_or_b32 s43, s76, s43
	s_and_not1_b32 s73, s73, exec_lo
	s_and_b32 s76, s74, exec_lo
	s_delay_alu instid0(SALU_CYCLE_1)
	s_or_b32 s73, s73, s76
	s_and_not1_b32 exec_lo, exec_lo, s43
	s_cbranch_execz .LBB4_8625
.LBB4_8621:                             ;   Parent Loop BB4_47 Depth=1
                                        ;     Parent Loop BB4_8563 Depth=2
                                        ;       Parent Loop BB4_8566 Depth=3
                                        ; =>      This Inner Loop Header: Depth=4
	s_add_co_i32 s75, s75, 1
	s_delay_alu instid0(SALU_CYCLE_1) | instskip(SKIP_1) | instid1(SALU_CYCLE_1)
	s_cmp_lg_u32 s75, 0x2710
	s_cselect_b32 s76, -1, 0
	s_and_b32 vcc_lo, exec_lo, s76
	s_cbranch_vccz .LBB4_8623
; %bb.8622:                             ;   in Loop: Header=BB4_8621 Depth=4
	s_mov_b32 s78, -1
	s_or_b32 s74, s74, exec_lo
	s_and_saveexec_b32 s77, s76
	s_cbranch_execz .LBB4_8620
	s_branch .LBB4_8624
.LBB4_8623:                             ;   in Loop: Header=BB4_8621 Depth=4
	s_trap 2
	ds_load_b64 v[4:5], v0
	s_and_not1_b32 s76, s76, exec_lo
	s_mov_b32 s75, 0
	s_wait_loadcnt_dscnt 0x0
	flat_load_b32 v4, v[4:5] scope:SCOPE_SYS
	s_wait_loadcnt_dscnt 0x0
	global_inv scope:SCOPE_SYS
	v_cmp_eq_u32_e32 vcc_lo, 0, v4
	s_and_b32 s77, vcc_lo, exec_lo
	s_delay_alu instid0(SALU_CYCLE_1)
	s_or_b32 s76, s76, s77
	s_mov_b32 s78, -1
	s_or_b32 s74, s74, exec_lo
	s_wait_xcnt 0x0
	s_and_saveexec_b32 s77, s76
	s_cbranch_execz .LBB4_8620
.LBB4_8624:                             ;   in Loop: Header=BB4_8621 Depth=4
	s_sleep 1
	s_trap 2
	ds_load_b64 v[4:5], v0
	s_wait_dscnt 0x0
	s_and_not1_b32 s74, s74, exec_lo
	v_cmp_ge_u64_e32 vcc_lo, v[4:5], v[48:49]
	s_or_not1_b32 s78, vcc_lo, exec_lo
	s_branch .LBB4_8620
.LBB4_8625:                             ;   in Loop: Header=BB4_8566 Depth=3
	s_or_b32 exec_lo, exec_lo, s43
	s_and_saveexec_b32 s43, s73
	s_delay_alu instid0(SALU_CYCLE_1)
	s_xor_b32 s43, exec_lo, s43
	s_cbranch_execz .LBB4_8627
; %bb.8626:                             ;   in Loop: Header=BB4_8566 Depth=3
	ds_store_b32 v0, v64
	s_trap 2
.LBB4_8627:                             ;   in Loop: Header=BB4_8566 Depth=3
	s_or_b32 exec_lo, exec_lo, s42
	;;#ASMSTART
	s_wakeup
	;;#ASMEND
.LBB4_8628:                             ;   in Loop: Header=BB4_8566 Depth=3
	s_or_b32 exec_lo, exec_lo, s15
.LBB4_8629:                             ;   in Loop: Header=BB4_8566 Depth=3
	s_and_not1_saveexec_b32 s14, s14
	s_cbranch_execz .LBB4_8631
; %bb.8630:                             ;   in Loop: Header=BB4_8566 Depth=3
	global_wb scope:SCOPE_DEV
	s_wait_storecnt 0x0
	s_wait_loadcnt_dscnt 0x0
	global_inv scope:SCOPE_DEV
	s_barrier_signal -1
	s_barrier_wait -1
.LBB4_8631:                             ;   in Loop: Header=BB4_8566 Depth=3
	s_or_b32 exec_lo, exec_lo, s14
.LBB4_8632:                             ;   in Loop: Header=BB4_8566 Depth=3
	s_delay_alu instid0(SALU_CYCLE_1)
	s_or_b32 exec_lo, exec_lo, s13
	s_trap 2
	ds_load_b64 v[4:5], v0
	s_wait_dscnt 0x0
	v_cmp_eq_u64_e32 vcc_lo, 0, v[4:5]
	s_cbranch_vccnz .LBB4_8641
; %bb.8633:                             ;   in Loop: Header=BB4_8566 Depth=3
	s_trap 2
	ds_load_b64 v[18:19], v0
	s_wait_dscnt 0x0
	v_cmp_eq_u64_e32 vcc_lo, 0, v[18:19]
	s_cbranch_vccnz .LBB4_8641
; %bb.8634:                             ;   in Loop: Header=BB4_8566 Depth=3
	s_trap 2
	ds_load_b64 v[20:21], v0
	v_cmp_eq_u32_e64 s13, 0, v2
	s_delay_alu instid0(VALU_DEP_1)
	v_cndmask_b32_e64 v2, 0, v12, s13
	s_mov_b32 s13, -1
	s_wait_dscnt 0x0
	v_cmp_ne_u64_e32 vcc_lo, 0, v[20:21]
	s_cbranch_vccz .LBB4_8672
; %bb.8635:                             ;   in Loop: Header=BB4_8566 Depth=3
	s_and_saveexec_b32 s14, s11
	s_cbranch_execz .LBB4_8637
; %bb.8636:                             ;   in Loop: Header=BB4_8566 Depth=3
	ds_load_b32 v8, v0 offset:720
	s_wait_dscnt 0x0
	v_and_b32_e32 v8, 15, v8
	s_delay_alu instid0(VALU_DEP_1)
	v_cmp_eq_u32_e32 vcc_lo, 0, v8
	s_or_not1_b32 s13, vcc_lo, exec_lo
.LBB4_8637:                             ;   in Loop: Header=BB4_8566 Depth=3
	s_or_b32 exec_lo, exec_lo, s14
	s_and_saveexec_b32 s14, s12
	s_cbranch_execz .LBB4_8639
; %bb.8638:                             ;   in Loop: Header=BB4_8566 Depth=3
	ds_load_b32 v8, v0 offset:784
	s_wait_dscnt 0x0
	v_and_b32_e32 v8, 15, v8
	s_delay_alu instid0(VALU_DEP_1) | instskip(SKIP_3) | instid1(SALU_CYCLE_1)
	v_cmp_eq_u32_e32 vcc_lo, 0, v8
	s_and_b32 s15, s13, vcc_lo
	s_and_not1_b32 s13, s13, exec_lo
	s_and_b32 s15, s15, exec_lo
	s_or_b32 s13, s13, s15
.LBB4_8639:                             ;   in Loop: Header=BB4_8566 Depth=3
	s_or_b32 exec_lo, exec_lo, s14
	s_xor_b32 s13, s13, -1
	v_dual_mov_b32 v13, 0 :: v_dual_mov_b32 v15, v2
	v_cndmask_b32_e64 v8, 0, 1, s13
	v_mov_b32_e32 v22, v0
	s_mov_b32 s13, -1
	s_delay_alu instid0(VALU_DEP_2)
	v_cmp_ne_u32_e32 vcc_lo, 0, v8
	v_mov_b32_e32 v8, v119
	s_cbranch_vccz .LBB4_8646
; %bb.8640:                             ;   in Loop: Header=BB4_8566 Depth=3
	s_and_saveexec_b32 s15, s13
	s_cbranch_execnz .LBB4_8661
	s_branch .LBB4_8671
.LBB4_8641:                             ;   in Loop: Header=BB4_8566 Depth=3
	s_mov_b32 s13, 0
	s_and_saveexec_b32 s14, s2
	s_cbranch_execnz .LBB4_8702
.LBB4_8642:                             ;   in Loop: Header=BB4_8566 Depth=3
	s_or_b32 exec_lo, exec_lo, s14
                                        ; implicit-def: $vgpr2
	s_and_saveexec_b32 s14, s10
	s_delay_alu instid0(SALU_CYCLE_1)
	s_xor_b32 s14, exec_lo, s14
	s_cbranch_execz .LBB4_8720
.LBB4_8643:                             ;   in Loop: Header=BB4_8566 Depth=3
	v_and_b32_e32 v2, 16, v126
	s_delay_alu instid0(VALU_DEP_1) | instskip(SKIP_2) | instid1(SALU_CYCLE_1)
	v_cmp_ne_u32_e32 vcc_lo, 0, v2
	v_and_b32_e32 v2, 16, v126
	s_and_b32 s15, vcc_lo, s13
	s_and_saveexec_b32 s13, s15
	s_cbranch_execz .LBB4_8645
; %bb.8644:                             ;   in Loop: Header=BB4_8566 Depth=3
	v_mov_b32_e32 v2, 1
	global_wb scope:SCOPE_SYS
	s_wait_storecnt 0x0
	s_wait_loadcnt_dscnt 0x0
	global_inv scope:SCOPE_SYS
.LBB4_8645:                             ;   in Loop: Header=BB4_8566 Depth=3
	s_or_b32 exec_lo, exec_lo, s13
	s_and_not1_saveexec_b32 s13, s14
	s_cbranch_execz .LBB4_8739
	s_branch .LBB4_8721
.LBB4_8646:                             ;   in Loop: Header=BB4_8566 Depth=3
	v_ashrrev_i32_e32 v8, 31, v2
	s_mov_b32 s13, exec_lo
	s_delay_alu instid0(VALU_DEP_1) | instskip(NEXT) | instid1(VALU_DEP_1)
	v_lshrrev_b32_e32 v8, 22, v8
	v_add_nc_u32_e32 v8, v2, v8
	s_delay_alu instid0(VALU_DEP_1) | instskip(NEXT) | instid1(VALU_DEP_1)
	v_ashrrev_i32_e32 v13, 10, v8
	v_sub_nc_u32_e32 v24, v13, v119
	s_delay_alu instid0(VALU_DEP_1)
	v_cmpx_lt_i32_e32 0, v24
	s_cbranch_execz .LBB4_8650
; %bb.8647:                             ;   in Loop: Header=BB4_8566 Depth=3
	scratch_load_b64 v[22:23], off, s33 offset:216 ; 8-byte Folded Reload
	s_mov_b32 s14, 0
	s_wait_loadcnt 0x0
	v_add_nc_u64_e32 v[8:9], v[4:5], v[22:23]
	v_add_nc_u64_e32 v[10:11], v[18:19], v[22:23]
	;; [unrolled: 1-line block ×3, first 2 shown]
.LBB4_8648:                             ;   Parent Loop BB4_47 Depth=1
                                        ;     Parent Loop BB4_8563 Depth=2
                                        ;       Parent Loop BB4_8566 Depth=3
                                        ; =>      This Inner Loop Header: Depth=4
	s_clause 0x1
	global_load_b128 v[26:29], v[8:9], off th:TH_LOAD_NT
	global_load_b128 v[100:103], v[8:9], off offset:512 th:TH_LOAD_NT
	v_sub_nc_u32_e32 v24, v24, v52
	s_wait_xcnt 0x0
	v_add_nc_u64_e32 v[8:9], v[8:9], v[80:81]
	s_wait_loadcnt 0x1
	global_store_b128 v[10:11], v[26:29], off th:TH_STORE_NT
	s_wait_loadcnt 0x0
	global_store_b128 v[10:11], v[100:103], off offset:512 th:TH_STORE_NT
	s_clause 0x1
	global_store_b128 v[22:23], v[26:29], off th:TH_STORE_NT
	global_store_b128 v[22:23], v[100:103], off offset:512 th:TH_STORE_NT
	v_cmp_gt_i32_e32 vcc_lo, 1, v24
	s_wait_xcnt 0x2
	v_add_nc_u64_e32 v[10:11], v[10:11], v[80:81]
	s_wait_xcnt 0x0
	v_add_nc_u64_e32 v[22:23], v[22:23], v[80:81]
	s_or_b32 s14, vcc_lo, s14
	s_delay_alu instid0(SALU_CYCLE_1)
	s_and_not1_b32 exec_lo, exec_lo, s14
	s_cbranch_execnz .LBB4_8648
; %bb.8649:                             ;   in Loop: Header=BB4_8566 Depth=3
	s_or_b32 exec_lo, exec_lo, s14
.LBB4_8650:                             ;   in Loop: Header=BB4_8566 Depth=3
	s_delay_alu instid0(SALU_CYCLE_1) | instskip(SKIP_3) | instid1(VALU_DEP_1)
	s_or_b32 exec_lo, exec_lo, s13
	v_dual_mov_b32 v13, 0 :: v_dual_lshlrev_b32 v28, 10, v13
	s_mov_b32 s13, 0
	s_mov_b32 s73, exec_lo
                                        ; implicit-def: $vgpr15
                                        ; implicit-def: $vgpr22
                                        ; implicit-def: $vgpr8
	v_cmpx_ne_u32_e64 v2, v28
	s_cbranch_execz .LBB4_8660
; %bb.8651:                             ;   in Loop: Header=BB4_8566 Depth=3
	scratch_load_b32 v9, off, s33 offset:196 ; 4-byte Folded Reload
	v_lshlrev_b32_e32 v8, 5, v24
	v_sub_nc_u32_e32 v10, v2, v28
	s_mov_b32 s74, exec_lo
	s_delay_alu instid0(VALU_DEP_1) | instskip(SKIP_1) | instid1(VALU_DEP_1)
	v_ashrrev_i32_e32 v11, 31, v10
	s_wait_loadcnt 0x0
	v_dual_lshrrev_b32 v11, 23, v11 :: v_dual_sub_nc_u32 v8, v9, v8
	s_delay_alu instid0(VALU_DEP_1) | instskip(NEXT) | instid1(VALU_DEP_1)
	v_ashrrev_i32_e32 v9, 31, v8
	v_lshrrev_b32_e32 v9, 27, v9
	s_delay_alu instid0(VALU_DEP_1) | instskip(NEXT) | instid1(VALU_DEP_1)
	v_add_nc_u32_e32 v9, v8, v9
	v_and_b32_e32 v13, 0xffffffe0, v9
	s_delay_alu instid0(VALU_DEP_1) | instskip(NEXT) | instid1(VALU_DEP_1)
	v_dual_add_nc_u32 v11, v10, v11 :: v_dual_sub_nc_u32 v30, v8, v13
	v_and_b32_e32 v29, 0xfffffe00, v11
	v_dual_ashrrev_i32 v9, 5, v9 :: v_dual_ashrrev_i32 v11, 9, v11
	s_delay_alu instid0(VALU_DEP_2) | instskip(NEXT) | instid1(VALU_DEP_1)
	v_dual_lshlrev_b32 v8, 4, v30 :: v_dual_sub_nc_u32 v31, v10, v29
	v_lshl_add_u32 v8, v9, 9, v8
	s_delay_alu instid0(VALU_DEP_2) | instskip(NEXT) | instid1(VALU_DEP_1)
	v_cmp_lt_i32_e64 s13, 15, v31
	v_add_co_ci_u32_e64 v11, null, 0, v11, s13
	s_delay_alu instid0(VALU_DEP_1) | instskip(SKIP_1) | instid1(VALU_DEP_1)
	v_dual_sub_nc_u32 v13, v10, v8 :: v_dual_sub_nc_u32 v66, v11, v9
	s_wait_xcnt 0x0
	v_cmpx_lt_i32_e32 15, v13
	s_cbranch_execz .LBB4_8657
; %bb.8652:                             ;   in Loop: Header=BB4_8566 Depth=3
	v_add_nc_u32_e32 v8, v8, v28
	s_mov_b32 s75, 0
	s_delay_alu instid0(VALU_DEP_1) | instskip(NEXT) | instid1(VALU_DEP_1)
	v_ashrrev_i32_e32 v9, 31, v8
	v_add_nc_u64_e32 v[22:23], v[8:9], v[4:5]
	v_add_nc_u64_e32 v[24:25], v[8:9], v[18:19]
	;; [unrolled: 1-line block ×3, first 2 shown]
.LBB4_8653:                             ;   Parent Loop BB4_47 Depth=1
                                        ;     Parent Loop BB4_8563 Depth=2
                                        ;       Parent Loop BB4_8566 Depth=3
                                        ; =>      This Loop Header: Depth=4
                                        ;           Child Loop BB4_8654 Depth 5
	global_load_b128 v[8:11], v[22:23], off th:TH_LOAD_NT
	s_mov_b64 s[42:43], 0
	s_mov_b32 s76, -1
.LBB4_8654:                             ;   Parent Loop BB4_47 Depth=1
                                        ;     Parent Loop BB4_8563 Depth=2
                                        ;       Parent Loop BB4_8566 Depth=3
                                        ;         Parent Loop BB4_8653 Depth=4
                                        ; =>        This Inner Loop Header: Depth=5
	s_cmp_eq_u32 s42, 1
	s_cselect_b32 vcc_lo, -1, 0
	s_cmp_eq_u32 s42, 0
	s_wait_xcnt 0x0
	v_dual_cndmask_b32 v85, v25, v27 :: v_dual_cndmask_b32 v84, v24, v26
	s_cselect_b32 s14, -1, 0
	s_and_b32 s15, exec_lo, s76
	s_mov_b64 s[42:43], 1
	s_mov_b32 s76, 0
	v_add_nc_u64_e32 v[100:101], 0x200, v[84:85]
	s_wait_loadcnt 0x0
	global_store_b128 v[84:85], v[8:11], off th:TH_STORE_NT
	v_dual_cndmask_b32 v27, v27, v101 :: v_dual_cndmask_b32 v26, v26, v100
	v_dual_cndmask_b32 v25, v25, v101, s14 :: v_dual_cndmask_b32 v24, v24, v100, s14
	s_mov_b32 vcc_lo, s15
	s_cbranch_vccnz .LBB4_8654
; %bb.8655:                             ;   in Loop: Header=BB4_8653 Depth=4
	v_dual_sub_nc_u32 v13, v13, v70 :: v_dual_sub_nc_u32 v66, v66, v52
	s_delay_alu instid0(VALU_DEP_2)
	v_add_nc_u64_e32 v[24:25], v[24:25], v[86:87]
	v_add_nc_u64_e32 v[26:27], v[26:27], v[86:87]
	s_wait_xcnt 0x1
	v_add_nc_u64_e32 v[22:23], v[62:63], v[22:23]
	v_cmp_gt_i32_e32 vcc_lo, 16, v13
	s_or_b32 s75, vcc_lo, s75
	s_wait_xcnt 0x0
	s_and_not1_b32 exec_lo, exec_lo, s75
	s_cbranch_execnz .LBB4_8653
; %bb.8656:                             ;   in Loop: Header=BB4_8566 Depth=3
	s_or_b32 exec_lo, exec_lo, s75
.LBB4_8657:                             ;   in Loop: Header=BB4_8566 Depth=3
	s_delay_alu instid0(SALU_CYCLE_1) | instskip(SKIP_3) | instid1(VALU_DEP_1)
	s_or_b32 exec_lo, exec_lo, s74
	v_dual_mov_b32 v13, 0 :: v_dual_bitop2_b32 v9, 15, v2 bitop3:0x40
	s_mov_b32 s14, 0
	s_mov_b32 s15, exec_lo
                                        ; implicit-def: $vgpr22
                                        ; implicit-def: $vgpr8
	v_cndmask_b32_e64 v15, v31, v9, s13
	s_delay_alu instid0(VALU_DEP_1)
	v_cmpx_ne_u32_e32 0, v15
	s_cbranch_execz .LBB4_8659
; %bb.8658:                             ;   in Loop: Header=BB4_8566 Depth=3
	v_cmp_lt_i32_e32 vcc_lo, 0, v66
	s_mov_b32 s14, exec_lo
	v_dual_cndmask_b32 v8, 0, v52 :: v_dual_sub_nc_u32 v9, v31, v9
	s_delay_alu instid0(VALU_DEP_1) | instskip(NEXT) | instid1(VALU_DEP_1)
	v_dual_cndmask_b32 v9, 0, v9, s13 :: v_dual_sub_nc_u32 v8, v8, v66
	v_add3_u32 v13, v29, v28, v9
	s_delay_alu instid0(VALU_DEP_2) | instskip(NEXT) | instid1(VALU_DEP_1)
	v_lshl_add_u32 v22, v8, 5, v30
	v_ashrrev_i32_e32 v8, 31, v22
	s_delay_alu instid0(VALU_DEP_1) | instskip(NEXT) | instid1(VALU_DEP_1)
	v_lshrrev_b32_e32 v8, 27, v8
	v_add_nc_u32_e32 v8, v22, v8
	s_delay_alu instid0(VALU_DEP_1)
	v_ashrrev_i32_e32 v8, 5, v8
.LBB4_8659:                             ;   in Loop: Header=BB4_8566 Depth=3
	s_or_b32 exec_lo, exec_lo, s15
	s_delay_alu instid0(SALU_CYCLE_1)
	s_and_b32 s13, s14, exec_lo
.LBB4_8660:                             ;   in Loop: Header=BB4_8566 Depth=3
	s_or_b32 exec_lo, exec_lo, s73
	s_and_saveexec_b32 s15, s13
	s_cbranch_execz .LBB4_8671
.LBB4_8661:                             ;   in Loop: Header=BB4_8566 Depth=3
	v_ashrrev_i32_e32 v9, 31, v15
	s_mov_b32 s13, exec_lo
	s_delay_alu instid0(VALU_DEP_1) | instskip(NEXT) | instid1(VALU_DEP_1)
	v_lshrrev_b32_e32 v9, 23, v9
	v_add_nc_u32_e32 v9, v15, v9
	s_delay_alu instid0(VALU_DEP_1) | instskip(NEXT) | instid1(VALU_DEP_1)
	v_dual_ashrrev_i32 v25, 9, v9 :: v_dual_ashrrev_i32 v9, 31, v22
	v_dual_sub_nc_u32 v23, v25, v8 :: v_dual_lshrrev_b32 v24, 27, v9
	s_delay_alu instid0(VALU_DEP_1)
	v_cmpx_lt_i32_e32 0, v23
	s_cbranch_execz .LBB4_8665
; %bb.8662:                             ;   in Loop: Header=BB4_8566 Depth=3
	s_delay_alu instid0(VALU_DEP_2) | instskip(SKIP_2) | instid1(VALU_DEP_2)
	v_add_nc_u32_e32 v9, v22, v24
	v_add_nc_u64_e32 v[28:29], 0x1e0, v[4:5]
	s_mov_b32 s14, 0
	v_and_b32_e32 v9, 0xffffffe0, v9
	s_delay_alu instid0(VALU_DEP_1) | instskip(NEXT) | instid1(VALU_DEP_1)
	v_dual_lshlrev_b32 v8, 9, v8 :: v_dual_sub_nc_u32 v9, v22, v9
	v_add3_u32 v26, v13, v9, v8
	s_delay_alu instid0(VALU_DEP_1) | instskip(NEXT) | instid1(VALU_DEP_1)
	v_ashrrev_i32_e32 v27, 31, v26
	v_add_nc_u64_e32 v[8:9], v[26:27], v[18:19]
	v_add_nc_u64_e32 v[10:11], v[26:27], v[20:21]
	v_add_nc_u64_e32 v[20:21], v[28:29], v[26:27]
.LBB4_8663:                             ;   Parent Loop BB4_47 Depth=1
                                        ;     Parent Loop BB4_8563 Depth=2
                                        ;       Parent Loop BB4_8566 Depth=3
                                        ; =>      This Inner Loop Header: Depth=4
	s_clause 0xf
	flat_load_u8 v26, v[20:21] offset:-480 th:TH_LOAD_NT
	flat_load_u8 v27, v[20:21] offset:-448 th:TH_LOAD_NT
	;; [unrolled: 1-line block ×15, first 2 shown]
	flat_load_u8 v117, v[20:21] th:TH_LOAD_NT
	v_sub_nc_u32_e32 v23, v23, v52
	s_wait_xcnt 0x0
	v_add_nc_u64_e32 v[20:21], v[20:21], v[70:71]
	s_wait_loadcnt_dscnt 0xf0f
	flat_store_b8 v[8:9], v26 th:TH_STORE_NT
	s_wait_loadcnt_dscnt 0xe0f
	flat_store_b8 v[8:9], v27 offset:32 th:TH_STORE_NT
	s_wait_loadcnt_dscnt 0xd0f
	flat_store_b8 v[8:9], v28 offset:64 th:TH_STORE_NT
	;; [unrolled: 2-line block ×15, first 2 shown]
	s_clause 0xf
	flat_store_b8 v[10:11], v26 th:TH_STORE_NT
	flat_store_b8 v[10:11], v27 offset:32 th:TH_STORE_NT
	flat_store_b8 v[10:11], v28 offset:64 th:TH_STORE_NT
	;; [unrolled: 1-line block ×15, first 2 shown]
	v_cmp_gt_i32_e32 vcc_lo, 1, v23
	s_wait_xcnt 0x10
	v_add_nc_u64_e32 v[8:9], v[8:9], v[70:71]
	s_wait_xcnt 0x0
	v_add_nc_u64_e32 v[10:11], v[10:11], v[70:71]
	s_or_b32 s14, vcc_lo, s14
	s_delay_alu instid0(SALU_CYCLE_1)
	s_and_not1_b32 exec_lo, exec_lo, s14
	s_cbranch_execnz .LBB4_8663
; %bb.8664:                             ;   in Loop: Header=BB4_8566 Depth=3
	s_or_b32 exec_lo, exec_lo, s14
.LBB4_8665:                             ;   in Loop: Header=BB4_8566 Depth=3
	s_delay_alu instid0(SALU_CYCLE_1) | instskip(SKIP_1) | instid1(VALU_DEP_1)
	s_or_b32 exec_lo, exec_lo, s13
	v_lshlrev_b32_e32 v8, 9, v25
	v_cmp_ne_u32_e32 vcc_lo, v15, v8
	s_and_b32 exec_lo, exec_lo, vcc_lo
	s_cbranch_execz .LBB4_8671
; %bb.8666:                             ;   in Loop: Header=BB4_8566 Depth=3
	v_dual_add_nc_u32 v9, v22, v24 :: v_dual_lshlrev_b32 v10, 5, v23
	s_delay_alu instid0(VALU_DEP_1) | instskip(NEXT) | instid1(VALU_DEP_1)
	v_and_b32_e32 v9, 0xffffffe0, v9
	v_sub_nc_u32_e32 v9, v22, v9
	s_delay_alu instid0(VALU_DEP_1) | instskip(NEXT) | instid1(VALU_DEP_1)
	v_sub_nc_u32_e32 v9, v9, v10
	v_add_nc_u32_e32 v8, v8, v9
	s_delay_alu instid0(VALU_DEP_1) | instskip(NEXT) | instid1(VALU_DEP_1)
	v_sub_nc_u32_e32 v15, v15, v8
	v_cmp_lt_i32_e32 vcc_lo, 0, v15
	s_and_b32 exec_lo, exec_lo, vcc_lo
	s_cbranch_execz .LBB4_8671
; %bb.8667:                             ;   in Loop: Header=BB4_8566 Depth=3
	s_trap 2
	ds_load_b64 v[10:11], v0
	ds_load_b128 v[20:23], v0
	v_add_nc_u32_e32 v24, v8, v13
	s_mov_b32 s73, 0
	s_delay_alu instid0(VALU_DEP_1) | instskip(SKIP_1) | instid1(VALU_DEP_1)
	v_ashrrev_i32_e32 v25, 31, v24
	s_wait_dscnt 0x1
	v_add_nc_u64_e32 v[8:9], v[10:11], v[24:25]
	s_wait_dscnt 0x0
	v_add_nc_u64_e32 v[10:11], v[20:21], v[24:25]
	v_add_nc_u64_e32 v[20:21], v[22:23], v[24:25]
.LBB4_8668:                             ;   Parent Loop BB4_47 Depth=1
                                        ;     Parent Loop BB4_8563 Depth=2
                                        ;       Parent Loop BB4_8566 Depth=3
                                        ; =>      This Loop Header: Depth=4
                                        ;           Child Loop BB4_8669 Depth 5
	flat_load_u8 v13, v[8:9] th:TH_LOAD_NT
	s_mov_b64 s[42:43], 0
	s_mov_b32 s74, -1
.LBB4_8669:                             ;   Parent Loop BB4_47 Depth=1
                                        ;     Parent Loop BB4_8563 Depth=2
                                        ;       Parent Loop BB4_8566 Depth=3
                                        ;         Parent Loop BB4_8668 Depth=4
                                        ; =>        This Inner Loop Header: Depth=5
	s_cmp_eq_u32 s42, 1
	s_cselect_b32 vcc_lo, -1, 0
	s_cmp_eq_u32 s42, 0
	s_wait_xcnt 0x0
	v_dual_cndmask_b32 v23, v11, v21 :: v_dual_cndmask_b32 v22, v10, v20
	s_cselect_b32 s13, -1, 0
	s_and_b32 s14, exec_lo, s74
	s_mov_b64 s[42:43], 1
	s_mov_b32 s74, 0
	v_add_nc_u64_e32 v[24:25], 32, v[22:23]
	s_wait_loadcnt_dscnt 0x0
	flat_store_b8 v[22:23], v13 th:TH_STORE_NT
	v_dual_cndmask_b32 v21, v21, v25 :: v_dual_cndmask_b32 v20, v20, v24
	v_dual_cndmask_b32 v11, v11, v25, s13 :: v_dual_cndmask_b32 v10, v10, v24, s13
	s_mov_b32 vcc_lo, s14
	s_cbranch_vccnz .LBB4_8669
; %bb.8670:                             ;   in Loop: Header=BB4_8668 Depth=4
	v_sub_nc_u32_e32 v15, v15, v54
	s_delay_alu instid0(VALU_DEP_2)
	v_add_nc_u64_e32 v[10:11], v[10:11], v[82:83]
	v_add_nc_u64_e32 v[20:21], v[20:21], v[82:83]
	s_wait_xcnt 0x1
	v_add_nc_u64_e32 v[8:9], v[96:97], v[8:9]
	v_cmp_gt_i32_e32 vcc_lo, 1, v15
	s_or_b32 s73, vcc_lo, s73
	s_wait_xcnt 0x0
	s_and_not1_b32 exec_lo, exec_lo, s73
	s_cbranch_execnz .LBB4_8668
.LBB4_8671:                             ;   in Loop: Header=BB4_8566 Depth=3
	s_or_b32 exec_lo, exec_lo, s15
	s_mov_b32 s13, 0
.LBB4_8672:                             ;   in Loop: Header=BB4_8566 Depth=3
	s_delay_alu instid0(SALU_CYCLE_1)
	s_and_b32 vcc_lo, exec_lo, s13
	s_cbranch_vccz .LBB4_8701
; %bb.8673:                             ;   in Loop: Header=BB4_8566 Depth=3
	s_mov_b32 s13, -1
	s_and_saveexec_b32 s14, s11
	s_cbranch_execz .LBB4_8675
; %bb.8674:                             ;   in Loop: Header=BB4_8566 Depth=3
	ds_load_b32 v8, v0 offset:720
	s_wait_dscnt 0x0
	v_and_b32_e32 v8, 15, v8
	s_delay_alu instid0(VALU_DEP_1)
	v_cmp_eq_u32_e32 vcc_lo, 0, v8
	s_or_not1_b32 s13, vcc_lo, exec_lo
.LBB4_8675:                             ;   in Loop: Header=BB4_8566 Depth=3
	s_or_b32 exec_lo, exec_lo, s14
	s_and_saveexec_b32 s14, s7
	s_cbranch_execz .LBB4_8677
; %bb.8676:                             ;   in Loop: Header=BB4_8566 Depth=3
	ds_load_b32 v8, v0 offset:784
	s_wait_dscnt 0x0
	v_and_b32_e32 v8, 15, v8
	s_delay_alu instid0(VALU_DEP_1) | instskip(SKIP_3) | instid1(SALU_CYCLE_1)
	v_cmp_eq_u32_e32 vcc_lo, 0, v8
	s_and_b32 s15, s13, vcc_lo
	s_and_not1_b32 s13, s13, exec_lo
	s_and_b32 s15, s15, exec_lo
	s_or_b32 s13, s13, s15
.LBB4_8677:                             ;   in Loop: Header=BB4_8566 Depth=3
	s_or_b32 exec_lo, exec_lo, s14
	s_xor_b32 s13, s13, -1
	v_dual_mov_b32 v10, 0 :: v_dual_mov_b32 v11, v2
	v_cndmask_b32_e64 v8, 0, 1, s13
	v_mov_b32_e32 v13, v0
	s_mov_b32 s15, -1
	s_delay_alu instid0(VALU_DEP_2)
	v_cmp_ne_u32_e32 vcc_lo, 0, v8
	v_mov_b32_e32 v8, v119
	s_cbranch_vccz .LBB4_8679
; %bb.8678:                             ;   in Loop: Header=BB4_8566 Depth=3
	s_and_saveexec_b32 s13, s15
	s_cbranch_execnz .LBB4_8692
	s_branch .LBB4_8700
.LBB4_8679:                             ;   in Loop: Header=BB4_8566 Depth=3
	v_ashrrev_i32_e32 v8, 31, v2
	s_mov_b32 s13, exec_lo
	s_delay_alu instid0(VALU_DEP_1) | instskip(NEXT) | instid1(VALU_DEP_1)
	v_lshrrev_b32_e32 v8, 21, v8
	v_add_nc_u32_e32 v8, v2, v8
	s_delay_alu instid0(VALU_DEP_1) | instskip(NEXT) | instid1(VALU_DEP_1)
	v_ashrrev_i32_e32 v13, 11, v8
	v_sub_nc_u32_e32 v20, v13, v119
	s_delay_alu instid0(VALU_DEP_1)
	v_cmpx_lt_i32_e32 0, v20
	s_cbranch_execz .LBB4_8683
; %bb.8680:                             ;   in Loop: Header=BB4_8566 Depth=3
	v_mov_b64_e32 v[8:9], v[18:19]
	v_mov_b64_e32 v[10:11], v[4:5]
	s_mov_b32 s14, 0
.LBB4_8681:                             ;   Parent Loop BB4_47 Depth=1
                                        ;     Parent Loop BB4_8563 Depth=2
                                        ;       Parent Loop BB4_8566 Depth=3
                                        ; =>      This Inner Loop Header: Depth=4
	s_delay_alu instid0(VALU_DEP_1)
	v_add_nc_u64_e32 v[30:31], v[98:99], v[10:11]
	v_sub_nc_u32_e32 v20, v20, v52
	v_add_nc_u64_e32 v[10:11], v[10:11], v[68:69]
	s_clause 0x2
	global_load_b128 v[22:25], v[30:31], off th:TH_LOAD_NT
	global_load_b128 v[26:29], v[30:31], off offset:512 th:TH_LOAD_NT
	global_load_b128 v[100:103], v[30:31], off offset:1024 th:TH_LOAD_NT
	s_wait_loadcnt 0x3
	global_load_b128 v[40:43], v[30:31], off offset:1536 th:TH_LOAD_NT
	s_wait_xcnt 0x0
	v_add_nc_u64_e32 v[30:31], v[98:99], v[8:9]
	v_cmp_gt_i32_e32 vcc_lo, 1, v20
	v_add_nc_u64_e32 v[8:9], v[8:9], v[68:69]
	s_wait_loadcnt 0x3
	global_store_b128 v[30:31], v[22:25], off th:TH_STORE_NT
	s_wait_loadcnt 0x2
	global_store_b128 v[30:31], v[26:29], off offset:512 th:TH_STORE_NT
	s_wait_loadcnt 0x1
	global_store_b128 v[30:31], v[100:103], off offset:1024 th:TH_STORE_NT
	;; [unrolled: 2-line block ×3, first 2 shown]
	s_or_b32 s14, vcc_lo, s14
	s_wait_xcnt 0x0
	s_and_not1_b32 exec_lo, exec_lo, s14
	s_cbranch_execnz .LBB4_8681
; %bb.8682:                             ;   in Loop: Header=BB4_8566 Depth=3
	s_or_b32 exec_lo, exec_lo, s14
	s_clause 0x1
	scratch_load_b64 v[40:41], off, s33 offset:232
	scratch_load_b64 v[42:43], off, s33 offset:240
.LBB4_8683:                             ;   in Loop: Header=BB4_8566 Depth=3
	s_wait_xcnt 0x0
	s_or_b32 exec_lo, exec_lo, s13
	v_dual_mov_b32 v10, 0 :: v_dual_lshlrev_b32 v15, 11, v13
	s_mov_b32 s15, 0
	s_mov_b32 s14, exec_lo
                                        ; implicit-def: $vgpr11
                                        ; implicit-def: $vgpr13
                                        ; implicit-def: $vgpr8
	s_delay_alu instid0(VALU_DEP_1)
	v_cmpx_ne_u32_e64 v2, v15
	s_cbranch_execz .LBB4_8691
; %bb.8684:                             ;   in Loop: Header=BB4_8566 Depth=3
	scratch_load_b32 v9, off, s33 offset:196 ; 4-byte Folded Reload
	v_dual_lshlrev_b32 v8, 5, v20 :: v_dual_sub_nc_u32 v10, v2, v15
	s_mov_b32 s15, exec_lo
	s_delay_alu instid0(VALU_DEP_1) | instskip(SKIP_1) | instid1(VALU_DEP_1)
	v_ashrrev_i32_e32 v11, 31, v10
	s_wait_loadcnt 0x0
	v_dual_lshrrev_b32 v11, 23, v11 :: v_dual_sub_nc_u32 v8, v9, v8
	s_delay_alu instid0(VALU_DEP_1) | instskip(NEXT) | instid1(VALU_DEP_1)
	v_ashrrev_i32_e32 v9, 31, v8
	v_lshrrev_b32_e32 v9, 27, v9
	s_delay_alu instid0(VALU_DEP_1) | instskip(NEXT) | instid1(VALU_DEP_1)
	v_add_nc_u32_e32 v9, v8, v9
	v_and_b32_e32 v13, 0xffffffe0, v9
	s_delay_alu instid0(VALU_DEP_1) | instskip(NEXT) | instid1(VALU_DEP_1)
	v_dual_add_nc_u32 v11, v10, v11 :: v_dual_sub_nc_u32 v21, v8, v13
	v_and_b32_e32 v20, 0xfffffe00, v11
	v_dual_ashrrev_i32 v9, 5, v9 :: v_dual_ashrrev_i32 v11, 9, v11
	s_delay_alu instid0(VALU_DEP_2) | instskip(NEXT) | instid1(VALU_DEP_1)
	v_dual_lshlrev_b32 v8, 4, v21 :: v_dual_sub_nc_u32 v22, v10, v20
	v_lshl_add_u32 v8, v9, 9, v8
	s_delay_alu instid0(VALU_DEP_2) | instskip(NEXT) | instid1(VALU_DEP_4)
	v_cmp_lt_i32_e32 vcc_lo, 15, v22
	v_add_co_ci_u32_e64 v11, null, 0, v11, vcc_lo
	s_delay_alu instid0(VALU_DEP_1) | instskip(SKIP_1) | instid1(VALU_DEP_1)
	v_dual_sub_nc_u32 v10, v10, v8 :: v_dual_sub_nc_u32 v23, v11, v9
	s_wait_xcnt 0x0
	v_cmpx_lt_i32_e32 15, v10
	s_cbranch_execz .LBB4_8688
; %bb.8685:                             ;   in Loop: Header=BB4_8566 Depth=3
	v_add_nc_u32_e32 v8, v8, v15
	s_mov_b32 s42, 0
	s_delay_alu instid0(VALU_DEP_1)
	v_ashrrev_i32_e32 v9, 31, v8
.LBB4_8686:                             ;   Parent Loop BB4_47 Depth=1
                                        ;     Parent Loop BB4_8563 Depth=2
                                        ;       Parent Loop BB4_8566 Depth=3
                                        ; =>      This Inner Loop Header: Depth=4
	s_delay_alu instid0(VALU_DEP_1) | instskip(SKIP_3) | instid1(VALU_DEP_3)
	v_add_nc_u64_e32 v[24:25], v[4:5], v[8:9]
	v_dual_sub_nc_u32 v10, v10, v70 :: v_dual_sub_nc_u32 v23, v23, v52
	v_add_nc_u64_e32 v[28:29], v[18:19], v[8:9]
	v_add_nc_u64_e32 v[8:9], v[8:9], v[70:71]
	v_cmp_gt_i32_e64 s13, 16, v10
	global_load_b128 v[24:27], v[24:25], off th:TH_LOAD_NT
	s_or_b32 s42, s13, s42
	s_wait_loadcnt 0x0
	global_store_b128 v[28:29], v[24:27], off th:TH_STORE_NT
	s_wait_xcnt 0x0
	s_and_not1_b32 exec_lo, exec_lo, s42
	s_cbranch_execnz .LBB4_8686
; %bb.8687:                             ;   in Loop: Header=BB4_8566 Depth=3
	s_or_b32 exec_lo, exec_lo, s42
.LBB4_8688:                             ;   in Loop: Header=BB4_8566 Depth=3
	s_delay_alu instid0(SALU_CYCLE_1) | instskip(SKIP_3) | instid1(VALU_DEP_1)
	s_or_b32 exec_lo, exec_lo, s15
	v_dual_mov_b32 v10, 0 :: v_dual_bitop2_b32 v9, 15, v2 bitop3:0x40
	s_mov_b32 s15, 0
	s_mov_b32 s42, exec_lo
                                        ; implicit-def: $vgpr13
                                        ; implicit-def: $vgpr8
	v_cndmask_b32_e32 v11, v22, v9, vcc_lo
	s_delay_alu instid0(VALU_DEP_1)
	v_cmpx_ne_u32_e32 0, v11
	s_cbranch_execz .LBB4_8690
; %bb.8689:                             ;   in Loop: Header=BB4_8566 Depth=3
	v_cmp_lt_i32_e64 s13, 0, v23
	s_mov_b32 s15, exec_lo
	v_dual_sub_nc_u32 v9, v22, v9 :: v_dual_cndmask_b32 v8, 0, v52, s13
	s_delay_alu instid0(VALU_DEP_1) | instskip(NEXT) | instid1(VALU_DEP_1)
	v_dual_cndmask_b32 v9, 0, v9 :: v_dual_sub_nc_u32 v8, v8, v23
	v_add3_u32 v10, v20, v15, v9
	s_delay_alu instid0(VALU_DEP_2) | instskip(NEXT) | instid1(VALU_DEP_1)
	v_lshl_add_u32 v13, v8, 5, v21
	v_ashrrev_i32_e32 v8, 31, v13
	s_delay_alu instid0(VALU_DEP_1) | instskip(NEXT) | instid1(VALU_DEP_1)
	v_lshrrev_b32_e32 v8, 27, v8
	v_add_nc_u32_e32 v8, v13, v8
	s_delay_alu instid0(VALU_DEP_1)
	v_ashrrev_i32_e32 v8, 5, v8
.LBB4_8690:                             ;   in Loop: Header=BB4_8566 Depth=3
	s_or_b32 exec_lo, exec_lo, s42
	s_delay_alu instid0(SALU_CYCLE_1)
	s_and_b32 s15, s15, exec_lo
.LBB4_8691:                             ;   in Loop: Header=BB4_8566 Depth=3
	s_or_b32 exec_lo, exec_lo, s14
	s_and_saveexec_b32 s13, s15
	s_cbranch_execz .LBB4_8700
.LBB4_8692:                             ;   in Loop: Header=BB4_8566 Depth=3
	v_ashrrev_i32_e32 v9, 31, v11
	s_mov_b32 s14, exec_lo
	s_delay_alu instid0(VALU_DEP_1) | instskip(NEXT) | instid1(VALU_DEP_1)
	v_lshrrev_b32_e32 v9, 23, v9
	v_add_nc_u32_e32 v9, v11, v9
	s_delay_alu instid0(VALU_DEP_1) | instskip(NEXT) | instid1(VALU_DEP_1)
	v_ashrrev_i32_e32 v20, 9, v9
	v_sub_nc_u32_e32 v15, v20, v8
	s_delay_alu instid0(VALU_DEP_1)
	v_cmpx_lt_i32_e32 0, v15
	s_cbranch_execz .LBB4_8696
; %bb.8693:                             ;   in Loop: Header=BB4_8566 Depth=3
	v_dual_ashrrev_i32 v9, 31, v13 :: v_dual_lshlrev_b32 v8, 9, v8
	s_mov_b32 s15, 0
	s_delay_alu instid0(VALU_DEP_1) | instskip(NEXT) | instid1(VALU_DEP_1)
	v_lshrrev_b32_e32 v9, 27, v9
	v_add_nc_u32_e32 v9, v13, v9
	s_delay_alu instid0(VALU_DEP_1) | instskip(NEXT) | instid1(VALU_DEP_1)
	v_and_b32_e32 v9, 0xffffffe0, v9
	v_sub_nc_u32_e32 v9, v13, v9
	s_delay_alu instid0(VALU_DEP_1) | instskip(NEXT) | instid1(VALU_DEP_1)
	v_add3_u32 v8, v10, v9, v8
	v_ashrrev_i32_e32 v9, 31, v8
.LBB4_8694:                             ;   Parent Loop BB4_47 Depth=1
                                        ;     Parent Loop BB4_8563 Depth=2
                                        ;       Parent Loop BB4_8566 Depth=3
                                        ; =>      This Inner Loop Header: Depth=4
	s_delay_alu instid0(VALU_DEP_1)
	v_add_nc_u64_e32 v[22:23], v[8:9], v[4:5]
	v_sub_nc_u32_e32 v15, v15, v52
	v_add_nc_u64_e32 v[4:5], v[4:5], v[70:71]
	s_clause 0xf
	flat_load_u8 v21, v[22:23] th:TH_LOAD_NT
	flat_load_u8 v24, v[22:23] offset:32 th:TH_LOAD_NT
	flat_load_u8 v25, v[22:23] offset:64 th:TH_LOAD_NT
	;; [unrolled: 1-line block ×15, first 2 shown]
	s_wait_xcnt 0x0
	v_add_nc_u64_e32 v[22:23], v[8:9], v[18:19]
	v_add_nc_u64_e32 v[18:19], v[18:19], v[70:71]
	v_cmp_gt_i32_e32 vcc_lo, 1, v15
	s_wait_loadcnt_dscnt 0xf0f
	flat_store_b8 v[22:23], v21 th:TH_STORE_NT
	s_wait_loadcnt_dscnt 0xe0f
	flat_store_b8 v[22:23], v24 offset:32 th:TH_STORE_NT
	s_wait_loadcnt_dscnt 0xd0f
	flat_store_b8 v[22:23], v25 offset:64 th:TH_STORE_NT
	;; [unrolled: 2-line block ×15, first 2 shown]
	s_or_b32 s15, vcc_lo, s15
	s_wait_xcnt 0x0
	s_and_not1_b32 exec_lo, exec_lo, s15
	s_cbranch_execnz .LBB4_8694
; %bb.8695:                             ;   in Loop: Header=BB4_8566 Depth=3
	s_or_b32 exec_lo, exec_lo, s15
.LBB4_8696:                             ;   in Loop: Header=BB4_8566 Depth=3
	s_delay_alu instid0(SALU_CYCLE_1) | instskip(SKIP_1) | instid1(VALU_DEP_1)
	s_or_b32 exec_lo, exec_lo, s14
	v_lshlrev_b32_e32 v4, 9, v20
	v_cmp_ne_u32_e32 vcc_lo, v11, v4
	s_and_b32 exec_lo, exec_lo, vcc_lo
	s_cbranch_execz .LBB4_8700
; %bb.8697:                             ;   in Loop: Header=BB4_8566 Depth=3
	v_dual_ashrrev_i32 v5, 31, v13 :: v_dual_lshlrev_b32 v8, 5, v15
	s_delay_alu instid0(VALU_DEP_1) | instskip(NEXT) | instid1(VALU_DEP_1)
	v_lshrrev_b32_e32 v5, 27, v5
	v_add_nc_u32_e32 v5, v13, v5
	s_delay_alu instid0(VALU_DEP_1) | instskip(NEXT) | instid1(VALU_DEP_1)
	v_and_b32_e32 v5, 0xffffffe0, v5
	v_sub_nc_u32_e32 v5, v13, v5
	s_delay_alu instid0(VALU_DEP_1) | instskip(NEXT) | instid1(VALU_DEP_1)
	v_sub_nc_u32_e32 v5, v5, v8
	v_add_nc_u32_e32 v8, v4, v5
	s_delay_alu instid0(VALU_DEP_1) | instskip(NEXT) | instid1(VALU_DEP_1)
	v_sub_nc_u32_e32 v11, v11, v8
	v_cmp_lt_i32_e32 vcc_lo, 0, v11
	s_and_b32 exec_lo, exec_lo, vcc_lo
	s_cbranch_execz .LBB4_8700
; %bb.8698:                             ;   in Loop: Header=BB4_8566 Depth=3
	s_trap 2
	ds_load_b64 v[4:5], v0
	v_add_nc_u32_e32 v8, v8, v10
	s_mov_b32 s14, 0
	s_delay_alu instid0(VALU_DEP_1)
	v_ashrrev_i32_e32 v9, 31, v8
.LBB4_8699:                             ;   Parent Loop BB4_47 Depth=1
                                        ;     Parent Loop BB4_8563 Depth=2
                                        ;       Parent Loop BB4_8566 Depth=3
                                        ; =>      This Inner Loop Header: Depth=4
	s_wait_dscnt 0x0
	s_delay_alu instid0(VALU_DEP_1) | instskip(SKIP_2) | instid1(VALU_DEP_2)
	v_add_nc_u64_e32 v[18:19], v[4:5], v[8:9]
	v_sub_nc_u32_e32 v11, v11, v54
	v_add_nc_u64_e32 v[8:9], v[8:9], v[54:55]
	v_cmp_gt_i32_e32 vcc_lo, 1, v11
	flat_load_u8 v10, v[18:19] th:TH_LOAD_NT
	s_or_b32 s14, vcc_lo, s14
	s_wait_loadcnt_dscnt 0x0
	flat_store_b8 v[18:19], v10 th:TH_STORE_NT
	s_wait_xcnt 0x0
	s_and_not1_b32 exec_lo, exec_lo, s14
	s_cbranch_execnz .LBB4_8699
.LBB4_8700:                             ;   in Loop: Header=BB4_8566 Depth=3
	s_or_b32 exec_lo, exec_lo, s13
.LBB4_8701:                             ;   in Loop: Header=BB4_8566 Depth=3
	v_cmp_lt_i32_e64 s13, 0, v2
	s_and_saveexec_b32 s14, s2
	s_cbranch_execz .LBB4_8642
.LBB4_8702:                             ;   in Loop: Header=BB4_8566 Depth=3
	s_and_saveexec_b32 s15, s3
	s_delay_alu instid0(SALU_CYCLE_1)
	s_xor_b32 s15, exec_lo, s15
	s_cbranch_execz .LBB4_8717
; %bb.8703:                             ;   in Loop: Header=BB4_8566 Depth=3
	s_and_saveexec_b32 s42, s6
	s_cbranch_execz .LBB4_8716
; %bb.8704:                             ;   in Loop: Header=BB4_8566 Depth=3
	s_mov_b32 s73, exec_lo
	s_mov_b32 s43, exec_lo
	v_mbcnt_lo_u32_b32 v2, s73, 0
	global_wb scope:SCOPE_DEV
	s_wait_storecnt 0x0
	s_wait_loadcnt_dscnt 0x0
	global_inv scope:SCOPE_DEV
	v_cmpx_eq_u32_e32 0, v2
	s_cbranch_execz .LBB4_8706
; %bb.8705:                             ;   in Loop: Header=BB4_8566 Depth=3
	s_bcnt1_i32_b32 s73, s73
	s_delay_alu instid0(SALU_CYCLE_1)
	v_dual_mov_b32 v5, v3 :: v_dual_mov_b32 v4, s73
	s_wait_loadcnt 0x0
	ds_add_u64 v0, v[4:5]
	s_trap 2
.LBB4_8706:                             ;   in Loop: Header=BB4_8566 Depth=3
	s_or_b32 exec_lo, exec_lo, s43
	s_trap 2
	ds_load_b64 v[4:5], v0
	s_wait_dscnt 0x0
	v_add_nc_u64_e32 v[48:49], v[48:49], v[52:53]
	s_mov_b32 s43, exec_lo
	s_delay_alu instid0(VALU_DEP_1)
	v_cmpx_lt_u64_e64 v[4:5], v[48:49]
	s_cbranch_execz .LBB4_8715
; %bb.8707:                             ;   in Loop: Header=BB4_8566 Depth=3
	s_mov_b32 s73, 0
	s_mov_b32 s76, 0
                                        ; implicit-def: $sgpr74
                                        ; implicit-def: $sgpr75
	s_branch .LBB4_8709
.LBB4_8708:                             ;   in Loop: Header=BB4_8709 Depth=4
	s_or_b32 exec_lo, exec_lo, s78
	s_delay_alu instid0(SALU_CYCLE_1) | instskip(NEXT) | instid1(SALU_CYCLE_1)
	s_and_b32 s77, exec_lo, s79
	s_or_b32 s73, s77, s73
	s_and_not1_b32 s74, s74, exec_lo
	s_and_b32 s77, s75, exec_lo
	s_delay_alu instid0(SALU_CYCLE_1)
	s_or_b32 s74, s74, s77
	s_and_not1_b32 exec_lo, exec_lo, s73
	s_cbranch_execz .LBB4_8713
.LBB4_8709:                             ;   Parent Loop BB4_47 Depth=1
                                        ;     Parent Loop BB4_8563 Depth=2
                                        ;       Parent Loop BB4_8566 Depth=3
                                        ; =>      This Inner Loop Header: Depth=4
	s_add_co_i32 s76, s76, 1
	s_delay_alu instid0(SALU_CYCLE_1) | instskip(SKIP_1) | instid1(SALU_CYCLE_1)
	s_cmp_lg_u32 s76, 0x2710
	s_cselect_b32 s77, -1, 0
	s_and_b32 vcc_lo, exec_lo, s77
	s_cbranch_vccz .LBB4_8711
; %bb.8710:                             ;   in Loop: Header=BB4_8709 Depth=4
	s_mov_b32 s79, -1
	s_or_b32 s75, s75, exec_lo
	s_and_saveexec_b32 s78, s77
	s_cbranch_execz .LBB4_8708
	s_branch .LBB4_8712
.LBB4_8711:                             ;   in Loop: Header=BB4_8709 Depth=4
	s_trap 2
	ds_load_b64 v[4:5], v0
	s_and_not1_b32 s77, s77, exec_lo
	s_mov_b32 s76, 0
	s_wait_loadcnt_dscnt 0x0
	flat_load_b32 v2, v[4:5] scope:SCOPE_SYS
	s_wait_loadcnt_dscnt 0x0
	global_inv scope:SCOPE_SYS
	v_cmp_eq_u32_e32 vcc_lo, 0, v2
	s_and_b32 s78, vcc_lo, exec_lo
	s_delay_alu instid0(SALU_CYCLE_1)
	s_or_b32 s77, s77, s78
	s_mov_b32 s79, -1
	s_or_b32 s75, s75, exec_lo
	s_wait_xcnt 0x0
	s_and_saveexec_b32 s78, s77
	s_cbranch_execz .LBB4_8708
.LBB4_8712:                             ;   in Loop: Header=BB4_8709 Depth=4
	s_sleep 1
	s_trap 2
	ds_load_b64 v[4:5], v0
	s_wait_dscnt 0x0
	s_and_not1_b32 s75, s75, exec_lo
	v_cmp_ge_u64_e32 vcc_lo, v[4:5], v[48:49]
	s_or_not1_b32 s79, vcc_lo, exec_lo
	s_branch .LBB4_8708
.LBB4_8713:                             ;   in Loop: Header=BB4_8566 Depth=3
	s_or_b32 exec_lo, exec_lo, s73
	s_and_saveexec_b32 s73, s74
	s_delay_alu instid0(SALU_CYCLE_1)
	s_xor_b32 s73, exec_lo, s73
	s_cbranch_execz .LBB4_8715
; %bb.8714:                             ;   in Loop: Header=BB4_8566 Depth=3
	ds_store_b32 v0, v64
	s_trap 2
.LBB4_8715:                             ;   in Loop: Header=BB4_8566 Depth=3
	s_or_b32 exec_lo, exec_lo, s43
	;;#ASMSTART
	s_wakeup
	;;#ASMEND
.LBB4_8716:                             ;   in Loop: Header=BB4_8566 Depth=3
	s_or_b32 exec_lo, exec_lo, s42
.LBB4_8717:                             ;   in Loop: Header=BB4_8566 Depth=3
	s_and_not1_saveexec_b32 s15, s15
	s_cbranch_execz .LBB4_8719
; %bb.8718:                             ;   in Loop: Header=BB4_8566 Depth=3
	global_wb scope:SCOPE_DEV
	s_wait_storecnt 0x0
	s_wait_loadcnt_dscnt 0x0
	global_inv scope:SCOPE_DEV
	s_barrier_signal -1
	s_barrier_wait -1
.LBB4_8719:                             ;   in Loop: Header=BB4_8566 Depth=3
	s_or_b32 exec_lo, exec_lo, s15
	s_delay_alu instid0(SALU_CYCLE_1) | instskip(SKIP_1) | instid1(SALU_CYCLE_1)
	s_or_b32 exec_lo, exec_lo, s14
                                        ; implicit-def: $vgpr2
	s_and_saveexec_b32 s14, s10
	s_xor_b32 s14, exec_lo, s14
	s_cbranch_execnz .LBB4_8643
.LBB4_8720:                             ;   in Loop: Header=BB4_8566 Depth=3
	s_and_not1_saveexec_b32 s13, s14
	s_cbranch_execz .LBB4_8739
.LBB4_8721:                             ;   in Loop: Header=BB4_8566 Depth=3
	s_and_saveexec_b32 s14, s3
	s_delay_alu instid0(SALU_CYCLE_1)
	s_xor_b32 s14, exec_lo, s14
	s_cbranch_execz .LBB4_8736
; %bb.8722:                             ;   in Loop: Header=BB4_8566 Depth=3
	s_and_saveexec_b32 s15, s6
	s_cbranch_execz .LBB4_8735
; %bb.8723:                             ;   in Loop: Header=BB4_8566 Depth=3
	s_mov_b32 s43, exec_lo
	s_mov_b32 s42, exec_lo
	v_mbcnt_lo_u32_b32 v2, s43, 0
	;;#ASMSTART
	s_waitcnt lgkmcnt(0) vmcnt(0)
	;;#ASMEND
	s_delay_alu instid0(VALU_DEP_1)
	v_cmpx_eq_u32_e32 0, v2
	s_cbranch_execz .LBB4_8725
; %bb.8724:                             ;   in Loop: Header=BB4_8566 Depth=3
	s_bcnt1_i32_b32 s43, s43
	s_delay_alu instid0(SALU_CYCLE_1)
	v_dual_mov_b32 v5, v3 :: v_dual_mov_b32 v4, s43
	s_wait_storecnt 0x0
	s_wait_loadcnt_dscnt 0x0
	ds_add_u64 v0, v[4:5]
	s_trap 2
.LBB4_8725:                             ;   in Loop: Header=BB4_8566 Depth=3
	s_or_b32 exec_lo, exec_lo, s42
	s_trap 2
	ds_load_b64 v[4:5], v0
	s_wait_dscnt 0x0
	v_add_nc_u64_e32 v[48:49], v[48:49], v[52:53]
	s_mov_b32 s42, exec_lo
	s_delay_alu instid0(VALU_DEP_1)
	v_cmpx_lt_u64_e64 v[4:5], v[48:49]
	s_cbranch_execz .LBB4_8734
; %bb.8726:                             ;   in Loop: Header=BB4_8566 Depth=3
	s_mov_b32 s43, 0
	s_mov_b32 s75, 0
                                        ; implicit-def: $sgpr73
                                        ; implicit-def: $sgpr74
	s_branch .LBB4_8728
.LBB4_8727:                             ;   in Loop: Header=BB4_8728 Depth=4
	s_or_b32 exec_lo, exec_lo, s77
	s_delay_alu instid0(SALU_CYCLE_1) | instskip(NEXT) | instid1(SALU_CYCLE_1)
	s_and_b32 s76, exec_lo, s78
	s_or_b32 s43, s76, s43
	s_and_not1_b32 s73, s73, exec_lo
	s_and_b32 s76, s74, exec_lo
	s_delay_alu instid0(SALU_CYCLE_1)
	s_or_b32 s73, s73, s76
	s_and_not1_b32 exec_lo, exec_lo, s43
	s_cbranch_execz .LBB4_8732
.LBB4_8728:                             ;   Parent Loop BB4_47 Depth=1
                                        ;     Parent Loop BB4_8563 Depth=2
                                        ;       Parent Loop BB4_8566 Depth=3
                                        ; =>      This Inner Loop Header: Depth=4
	s_add_co_i32 s75, s75, 1
	s_delay_alu instid0(SALU_CYCLE_1) | instskip(SKIP_1) | instid1(SALU_CYCLE_1)
	s_cmp_lg_u32 s75, 0x2710
	s_cselect_b32 s76, -1, 0
	s_and_b32 vcc_lo, exec_lo, s76
	s_cbranch_vccz .LBB4_8730
; %bb.8729:                             ;   in Loop: Header=BB4_8728 Depth=4
	s_mov_b32 s78, -1
	s_or_b32 s74, s74, exec_lo
	s_and_saveexec_b32 s77, s76
	s_cbranch_execz .LBB4_8727
	s_branch .LBB4_8731
.LBB4_8730:                             ;   in Loop: Header=BB4_8728 Depth=4
	s_trap 2
	ds_load_b64 v[4:5], v0
	s_and_not1_b32 s76, s76, exec_lo
	s_mov_b32 s75, 0
	s_wait_storecnt 0x0
	s_wait_loadcnt_dscnt 0x0
	flat_load_b32 v2, v[4:5] scope:SCOPE_SYS
	s_wait_loadcnt_dscnt 0x0
	global_inv scope:SCOPE_SYS
	v_cmp_eq_u32_e32 vcc_lo, 0, v2
	s_and_b32 s77, vcc_lo, exec_lo
	s_delay_alu instid0(SALU_CYCLE_1)
	s_or_b32 s76, s76, s77
	s_mov_b32 s78, -1
	s_or_b32 s74, s74, exec_lo
	s_wait_xcnt 0x0
	s_and_saveexec_b32 s77, s76
	s_cbranch_execz .LBB4_8727
.LBB4_8731:                             ;   in Loop: Header=BB4_8728 Depth=4
	s_sleep 1
	s_trap 2
	ds_load_b64 v[4:5], v0
	s_wait_dscnt 0x0
	s_and_not1_b32 s74, s74, exec_lo
	v_cmp_ge_u64_e32 vcc_lo, v[4:5], v[48:49]
	s_or_not1_b32 s78, vcc_lo, exec_lo
	s_branch .LBB4_8727
.LBB4_8732:                             ;   in Loop: Header=BB4_8566 Depth=3
	s_or_b32 exec_lo, exec_lo, s43
	s_and_saveexec_b32 s43, s73
	s_delay_alu instid0(SALU_CYCLE_1)
	s_xor_b32 s43, exec_lo, s43
	s_cbranch_execz .LBB4_8734
; %bb.8733:                             ;   in Loop: Header=BB4_8566 Depth=3
	ds_store_b32 v0, v64
	s_trap 2
.LBB4_8734:                             ;   in Loop: Header=BB4_8566 Depth=3
	s_or_b32 exec_lo, exec_lo, s42
	;;#ASMSTART
	s_wakeup
	;;#ASMEND
.LBB4_8735:                             ;   in Loop: Header=BB4_8566 Depth=3
	s_or_b32 exec_lo, exec_lo, s15
.LBB4_8736:                             ;   in Loop: Header=BB4_8566 Depth=3
	s_and_not1_saveexec_b32 s14, s14
	s_cbranch_execz .LBB4_8738
; %bb.8737:                             ;   in Loop: Header=BB4_8566 Depth=3
	;;#ASMSTART
	s_waitcnt lgkmcnt(0) vmcnt(0)
	;;#ASMEND
	s_barrier_signal -1
	s_barrier_wait -1
.LBB4_8738:                             ;   in Loop: Header=BB4_8566 Depth=3
	s_or_b32 exec_lo, exec_lo, s14
	v_and_b32_e32 v2, 16, v126
.LBB4_8739:                             ;   in Loop: Header=BB4_8566 Depth=3
	s_or_b32 exec_lo, exec_lo, s13
	s_delay_alu instid0(VALU_DEP_1) | instskip(SKIP_1) | instid1(SALU_CYCLE_1)
	v_cmp_ne_u32_e32 vcc_lo, 0, v2
	s_xor_b32 s13, s4, -1
	s_and_b32 s14, vcc_lo, s13
	s_delay_alu instid0(SALU_CYCLE_1)
	s_and_saveexec_b32 s13, s14
	s_cbranch_execz .LBB4_8741
; %bb.8740:                             ;   in Loop: Header=BB4_8566 Depth=3
	global_wb scope:SCOPE_SYS
	s_wait_storecnt 0x0
	s_wait_loadcnt_dscnt 0x0
	flat_store_b32 v[38:39], v64 scope:SCOPE_SYS
.LBB4_8741:                             ;   in Loop: Header=BB4_8566 Depth=3
	s_wait_xcnt 0x0
	s_or_b32 exec_lo, exec_lo, s13
	v_and_b32_e32 v2, 48, v126
	s_mov_b32 s13, exec_lo
	s_delay_alu instid0(VALU_DEP_1)
	v_cmpx_ne_u32_e32 0, v2
	s_cbranch_execz .LBB4_8565
; %bb.8742:                             ;   in Loop: Header=BB4_8566 Depth=3
	v_add_nc_u64_e32 v[114:115], 2, v[114:115]
	global_wb scope:SCOPE_SYS
	s_wait_storecnt 0x0
	s_wait_loadcnt_dscnt 0x0
	flat_store_b64 v[32:33], v[114:115] scope:SCOPE_SYS
	s_branch .LBB4_8565
.LBB4_8743:                             ;   in Loop: Header=BB4_8563 Depth=2
	s_or_b32 exec_lo, exec_lo, s62
.LBB4_8744:                             ;   in Loop: Header=BB4_8563 Depth=2
	s_delay_alu instid0(SALU_CYCLE_1) | instskip(NEXT) | instid1(SALU_CYCLE_1)
	s_or_b32 exec_lo, exec_lo, s29
	s_mov_b32 s14, exec_lo
	v_cmpx_gt_i32_e32 2, v2
	s_cbranch_execz .LBB4_8820
; %bb.8745:                             ;   in Loop: Header=BB4_8563 Depth=2
	v_cmp_eq_u32_e64 s29, 0, v2
	s_mov_b32 s15, 0
	s_branch .LBB4_8747
.LBB4_8746:                             ;   in Loop: Header=BB4_8747 Depth=3
	s_wait_xcnt 0x0
	s_or_b32 exec_lo, exec_lo, s13
	v_add_nc_u32_e32 v14, v12, v14
	s_mov_b32 s29, 0
	s_and_not1_b32 exec_lo, exec_lo, s15
	s_cbranch_execz .LBB4_8819
.LBB4_8747:                             ;   Parent Loop BB4_47 Depth=1
                                        ;     Parent Loop BB4_8563 Depth=2
                                        ; =>    This Loop Header: Depth=3
                                        ;         Child Loop BB4_8753 Depth 4
                                        ;         Child Loop BB4_8781 Depth 4
	;; [unrolled: 1-line block ×3, first 2 shown]
	s_delay_alu instid0(VALU_DEP_1) | instskip(SKIP_2) | instid1(VALU_DEP_2)
	v_sub_nc_u32_e32 v2, v1, v14
	v_and_b32_e32 v4, 12, v126
	s_mov_b32 s42, exec_lo
	v_min_i32_e32 v12, v12, v2
	s_delay_alu instid0(VALU_DEP_2)
	v_cmpx_ne_u32_e32 0, v4
	s_cbranch_execz .LBB4_8773
; %bb.8748:                             ;   in Loop: Header=BB4_8747 Depth=3
	v_and_b32_e32 v2, 8, v126
	v_add_nc_u64_e32 v[4:5], 2, v[114:115]
	s_mov_b32 s43, exec_lo
	s_wait_loadcnt_dscnt 0x1
	s_delay_alu instid0(VALU_DEP_2) | instskip(NEXT) | instid1(VALU_DEP_1)
	v_add_nc_u64_e32 v[8:9], v[50:51], v[2:3]
	v_cmpx_lt_u64_e64 v[8:9], v[4:5]
	s_cbranch_execz .LBB4_8760
; %bb.8749:                             ;   in Loop: Header=BB4_8747 Depth=3
	v_and_b32_e32 v8, 64, v126
	s_mov_b32 s62, 0
	s_mov_b32 s74, 0
                                        ; implicit-def: $sgpr63
                                        ; implicit-def: $sgpr72
                                        ; implicit-def: $sgpr73
	s_delay_alu instid0(VALU_DEP_1)
	v_cmp_eq_u32_e32 vcc_lo, 0, v8
	s_branch .LBB4_8753
.LBB4_8750:                             ;   in Loop: Header=BB4_8753 Depth=4
	s_wait_loadcnt_dscnt 0x0
	v_add_nc_u64_e32 v[10:11], v[50:51], v[2:3]
	s_or_b32 s77, s77, exec_lo
	s_delay_alu instid0(VALU_DEP_1)
	v_cmp_ge_u64_e64 s13, v[10:11], v[4:5]
	s_or_not1_b32 s76, s13, exec_lo
.LBB4_8751:                             ;   in Loop: Header=BB4_8753 Depth=4
	s_or_b32 exec_lo, exec_lo, s79
	s_delay_alu instid0(SALU_CYCLE_1)
	s_and_not1_b32 s13, s73, exec_lo
	s_and_b32 s73, s77, exec_lo
	s_and_not1_b32 s72, s72, exec_lo
	s_and_b32 s76, s76, exec_lo
	s_or_b32 s73, s13, s73
	s_or_b32 s72, s72, s76
.LBB4_8752:                             ;   in Loop: Header=BB4_8753 Depth=4
	s_or_b32 exec_lo, exec_lo, s75
	s_delay_alu instid0(SALU_CYCLE_1) | instskip(NEXT) | instid1(SALU_CYCLE_1)
	s_and_b32 s13, exec_lo, s72
	s_or_b32 s62, s13, s62
	s_and_not1_b32 s13, s63, exec_lo
	s_and_b32 s63, s73, exec_lo
	s_delay_alu instid0(SALU_CYCLE_1)
	s_or_b32 s63, s13, s63
	s_and_not1_b32 exec_lo, exec_lo, s62
	s_cbranch_execz .LBB4_8757
.LBB4_8753:                             ;   Parent Loop BB4_47 Depth=1
                                        ;     Parent Loop BB4_8563 Depth=2
                                        ;       Parent Loop BB4_8747 Depth=3
                                        ; =>      This Inner Loop Header: Depth=4
	s_sleep 1
	s_wait_loadcnt_dscnt 0x0
	flat_load_b64 v[50:51], v[32:33] scope:SCOPE_SYS
	s_or_b32 s73, s73, exec_lo
	s_or_b32 s72, s72, exec_lo
                                        ; implicit-def: $vgpr8
	s_wait_xcnt 0x0
	s_and_saveexec_b32 s75, vcc_lo
	s_cbranch_execz .LBB4_8752
; %bb.8754:                             ;   in Loop: Header=BB4_8753 Depth=4
	s_cmp_lt_i32 s74, 0x270f
	s_mov_b32 s76, -1
	s_cselect_b32 s78, -1, 0
	s_cmp_gt_i32 s74, 0x270e
	s_cbranch_scc0 .LBB4_8756
; %bb.8755:                             ;   in Loop: Header=BB4_8753 Depth=4
	s_trap 2
	ds_load_b64 v[8:9], v0
	s_and_not1_b32 s74, s78, exec_lo
	s_mov_b32 s77, 0
	s_wait_storecnt 0x0
	s_wait_loadcnt_dscnt 0x0
	flat_load_b32 v8, v[8:9] scope:SCOPE_SYS
	s_wait_loadcnt_dscnt 0x0
	global_inv scope:SCOPE_SYS
	v_cmp_eq_u32_e64 s13, 0, v8
	s_and_b32 s13, s13, exec_lo
	s_delay_alu instid0(SALU_CYCLE_1)
	s_or_b32 s78, s74, s13
	s_mov_b32 s74, 0
	s_wait_xcnt 0x0
	s_and_saveexec_b32 s79, s78
	s_cbranch_execz .LBB4_8751
	s_branch .LBB4_8750
.LBB4_8756:                             ;   in Loop: Header=BB4_8753 Depth=4
	s_add_co_i32 s74, s74, 1
	s_mov_b32 s77, -1
                                        ; implicit-def: $vgpr8
	s_and_saveexec_b32 s79, s78
	s_cbranch_execz .LBB4_8751
	s_branch .LBB4_8750
.LBB4_8757:                             ;   in Loop: Header=BB4_8747 Depth=3
	s_or_b32 exec_lo, exec_lo, s62
	s_xor_b32 s13, s63, -1
	s_delay_alu instid0(SALU_CYCLE_1) | instskip(NEXT) | instid1(SALU_CYCLE_1)
	s_and_saveexec_b32 s62, s13
	s_xor_b32 s13, exec_lo, s62
	s_cbranch_execz .LBB4_8759
; %bb.8758:                             ;   in Loop: Header=BB4_8747 Depth=3
	v_or_b32_e32 v126, 64, v126
	s_wait_storecnt 0x0
	s_wait_loadcnt_dscnt 0x0
	ds_store_b32 v0, v8
	s_trap 2
.LBB4_8759:                             ;   in Loop: Header=BB4_8747 Depth=3
	s_or_b32 exec_lo, exec_lo, s13
.LBB4_8760:                             ;   in Loop: Header=BB4_8747 Depth=3
	s_delay_alu instid0(SALU_CYCLE_1) | instskip(SKIP_2) | instid1(VALU_DEP_1)
	s_or_b32 exec_lo, exec_lo, s43
	v_and_b32_e32 v8, 0x108, v126
	;;#ASMSTART
	s_wakeup
	;;#ASMEND
	v_cmp_ne_u32_e32 vcc_lo, 0x108, v8
                                        ; implicit-def: $vgpr8_vgpr9
	s_and_saveexec_b32 s13, vcc_lo
	s_delay_alu instid0(SALU_CYCLE_1)
	s_xor_b32 s13, exec_lo, s13
; %bb.8761:                             ;   in Loop: Header=BB4_8747 Depth=3
	v_dual_mov_b32 v9, v3 :: v_dual_bitop2_b32 v8, 7, v114 bitop3:0x40
                                        ; implicit-def: $vgpr114_vgpr115
; %bb.8762:                             ;   in Loop: Header=BB4_8747 Depth=3
	s_and_not1_saveexec_b32 s13, s13
	s_cbranch_execz .LBB4_8764
; %bb.8763:                             ;   in Loop: Header=BB4_8747 Depth=3
	v_dual_ashrrev_i32 v13, 31, v12 :: v_dual_bitop2_b32 v8, 7, v114 bitop3:0x40
	v_mov_b32_e32 v9, v3
	s_delay_alu instid0(VALU_DEP_2)
	v_mad_nc_u64_u32 v[10:11], v8, 24, v[6:7]
	flat_store_b64 v[10:11], v[12:13] offset:8
.LBB4_8764:                             ;   in Loop: Header=BB4_8747 Depth=3
	s_wait_xcnt 0x0
	s_or_b32 exec_lo, exec_lo, s13
	v_and_b32_e32 v10, 0x100, v126
	s_mov_b32 s13, -1
	s_delay_alu instid0(VALU_DEP_1)
	v_cmp_ne_u32_e32 vcc_lo, 0, v10
                                        ; implicit-def: $vgpr10_vgpr11
	s_and_saveexec_b32 s43, vcc_lo
	s_cbranch_execz .LBB4_8768
; %bb.8765:                             ;   in Loop: Header=BB4_8747 Depth=3
	v_mad_nc_u64_u32 v[16:17], v8, 24, v[6:7]
	s_delay_alu instid0(VALU_DEP_1)
	v_mad_u32 v17, v9, 24, v17
	flat_load_b32 v10, v[16:17]
	s_wait_loadcnt_dscnt 0x0
	v_cmp_eq_u32_e64 s13, 1, v10
	v_cmp_ne_u32_e32 vcc_lo, 1, v10
                                        ; implicit-def: $vgpr10_vgpr11
	s_wait_xcnt 0x0
	s_and_saveexec_b32 s62, s13
	s_cbranch_execz .LBB4_8767
; %bb.8766:                             ;   in Loop: Header=BB4_8747 Depth=3
	flat_load_b32 v10, v[16:17] offset:4 scope:SCOPE_SYS
	s_wait_loadcnt_dscnt 0x0
	v_ashrrev_i32_e32 v11, 31, v10
.LBB4_8767:                             ;   in Loop: Header=BB4_8747 Depth=3
	s_wait_xcnt 0x0
	s_or_b32 exec_lo, exec_lo, s62
	s_delay_alu instid0(SALU_CYCLE_1)
	s_or_not1_b32 s13, vcc_lo, exec_lo
.LBB4_8768:                             ;   in Loop: Header=BB4_8747 Depth=3
	s_or_b32 exec_lo, exec_lo, s43
	s_and_saveexec_b32 s43, s13
; %bb.8769:                             ;   in Loop: Header=BB4_8747 Depth=3
	v_mul_u64_e32 v[10:11], v[8:9], v[34:35]
; %bb.8770:                             ;   in Loop: Header=BB4_8747 Depth=3
	s_or_b32 exec_lo, exec_lo, s43
	v_cmp_eq_u32_e32 vcc_lo, 0, v2
	s_delay_alu instid0(VALU_DEP_2) | instskip(SKIP_3) | instid1(VALU_DEP_1)
	v_add_nc_u64_e32 v[8:9], v[36:37], v[10:11]
	v_and_b32_e32 v13, 0x2000, v126
	s_mov_b32 s13, exec_lo
	v_cndmask_b32_e32 v2, 0xd0, v118, vcc_lo
	v_add_nc_u32_e32 v2, v0, v2
	ds_store_b64 v2, v[8:9] offset:584
	v_cmpx_ne_u32_e32 0, v13
	s_cbranch_execz .LBB4_8772
; %bb.8771:                             ;   in Loop: Header=BB4_8747 Depth=3
	ds_load_b64 v[8:9], v0 offset:872
	s_wait_dscnt 0x0
	v_add_nc_u64_e32 v[8:9], 1, v[8:9]
	ds_store_b64 v0, v[8:9] offset:872
.LBB4_8772:                             ;   in Loop: Header=BB4_8747 Depth=3
	s_or_b32 exec_lo, exec_lo, s13
	v_mov_b64_e32 v[114:115], v[4:5]
.LBB4_8773:                             ;   in Loop: Header=BB4_8747 Depth=3
	s_or_b32 exec_lo, exec_lo, s42
	s_xor_b32 s13, s29, -1
	s_delay_alu instid0(SALU_CYCLE_1) | instskip(NEXT) | instid1(SALU_CYCLE_1)
	s_and_b32 s13, exec_lo, s13
	s_or_b32 s15, s13, s15
	s_and_saveexec_b32 s13, s2
	s_cbranch_execz .LBB4_8792
; %bb.8774:                             ;   in Loop: Header=BB4_8747 Depth=3
	s_and_saveexec_b32 s29, s3
	s_delay_alu instid0(SALU_CYCLE_1)
	s_xor_b32 s29, exec_lo, s29
	s_cbranch_execz .LBB4_8789
; %bb.8775:                             ;   in Loop: Header=BB4_8747 Depth=3
	s_and_saveexec_b32 s42, s6
	s_cbranch_execz .LBB4_8788
; %bb.8776:                             ;   in Loop: Header=BB4_8747 Depth=3
	s_mov_b32 s62, exec_lo
	s_mov_b32 s43, exec_lo
	v_mbcnt_lo_u32_b32 v2, s62, 0
	global_wb scope:SCOPE_DEV
	s_wait_storecnt 0x0
	s_wait_loadcnt_dscnt 0x0
	global_inv scope:SCOPE_DEV
	v_cmpx_eq_u32_e32 0, v2
	s_cbranch_execz .LBB4_8778
; %bb.8777:                             ;   in Loop: Header=BB4_8747 Depth=3
	s_bcnt1_i32_b32 s62, s62
	s_delay_alu instid0(SALU_CYCLE_1)
	v_dual_mov_b32 v5, v3 :: v_dual_mov_b32 v4, s62
	s_wait_loadcnt 0x0
	ds_add_u64 v0, v[4:5]
	s_trap 2
.LBB4_8778:                             ;   in Loop: Header=BB4_8747 Depth=3
	s_or_b32 exec_lo, exec_lo, s43
	s_trap 2
	ds_load_b64 v[4:5], v0
	s_wait_dscnt 0x0
	v_add_nc_u64_e32 v[48:49], v[48:49], v[52:53]
	s_mov_b32 s43, exec_lo
	s_delay_alu instid0(VALU_DEP_1)
	v_cmpx_lt_u64_e64 v[4:5], v[48:49]
	s_cbranch_execz .LBB4_8787
; %bb.8779:                             ;   in Loop: Header=BB4_8747 Depth=3
	s_mov_b32 s62, 0
	s_mov_b32 s73, 0
                                        ; implicit-def: $sgpr63
                                        ; implicit-def: $sgpr72
	s_branch .LBB4_8781
.LBB4_8780:                             ;   in Loop: Header=BB4_8781 Depth=4
	s_or_b32 exec_lo, exec_lo, s75
	s_delay_alu instid0(SALU_CYCLE_1) | instskip(NEXT) | instid1(SALU_CYCLE_1)
	s_and_b32 s74, exec_lo, s76
	s_or_b32 s62, s74, s62
	s_and_not1_b32 s63, s63, exec_lo
	s_and_b32 s74, s72, exec_lo
	s_delay_alu instid0(SALU_CYCLE_1)
	s_or_b32 s63, s63, s74
	s_and_not1_b32 exec_lo, exec_lo, s62
	s_cbranch_execz .LBB4_8785
.LBB4_8781:                             ;   Parent Loop BB4_47 Depth=1
                                        ;     Parent Loop BB4_8563 Depth=2
                                        ;       Parent Loop BB4_8747 Depth=3
                                        ; =>      This Inner Loop Header: Depth=4
	s_add_co_i32 s73, s73, 1
	s_delay_alu instid0(SALU_CYCLE_1) | instskip(SKIP_1) | instid1(SALU_CYCLE_1)
	s_cmp_lg_u32 s73, 0x2710
	s_cselect_b32 s74, -1, 0
	s_and_b32 vcc_lo, exec_lo, s74
	s_cbranch_vccz .LBB4_8783
; %bb.8782:                             ;   in Loop: Header=BB4_8781 Depth=4
	s_mov_b32 s76, -1
	s_or_b32 s72, s72, exec_lo
	s_and_saveexec_b32 s75, s74
	s_cbranch_execz .LBB4_8780
	s_branch .LBB4_8784
.LBB4_8783:                             ;   in Loop: Header=BB4_8781 Depth=4
	s_trap 2
	ds_load_b64 v[4:5], v0
	s_and_not1_b32 s74, s74, exec_lo
	s_mov_b32 s73, 0
	s_wait_loadcnt_dscnt 0x0
	flat_load_b32 v2, v[4:5] scope:SCOPE_SYS
	s_wait_loadcnt_dscnt 0x0
	global_inv scope:SCOPE_SYS
	v_cmp_eq_u32_e32 vcc_lo, 0, v2
	s_and_b32 s75, vcc_lo, exec_lo
	s_delay_alu instid0(SALU_CYCLE_1)
	s_or_b32 s74, s74, s75
	s_mov_b32 s76, -1
	s_or_b32 s72, s72, exec_lo
	s_wait_xcnt 0x0
	s_and_saveexec_b32 s75, s74
	s_cbranch_execz .LBB4_8780
.LBB4_8784:                             ;   in Loop: Header=BB4_8781 Depth=4
	s_sleep 1
	s_trap 2
	ds_load_b64 v[4:5], v0
	s_wait_dscnt 0x0
	s_and_not1_b32 s72, s72, exec_lo
	v_cmp_ge_u64_e32 vcc_lo, v[4:5], v[48:49]
	s_or_not1_b32 s76, vcc_lo, exec_lo
	s_branch .LBB4_8780
.LBB4_8785:                             ;   in Loop: Header=BB4_8747 Depth=3
	s_or_b32 exec_lo, exec_lo, s62
	s_and_saveexec_b32 s62, s63
	s_delay_alu instid0(SALU_CYCLE_1)
	s_xor_b32 s62, exec_lo, s62
	s_cbranch_execz .LBB4_8787
; %bb.8786:                             ;   in Loop: Header=BB4_8747 Depth=3
	ds_store_b32 v0, v64
	s_trap 2
.LBB4_8787:                             ;   in Loop: Header=BB4_8747 Depth=3
	s_or_b32 exec_lo, exec_lo, s43
	;;#ASMSTART
	s_wakeup
	;;#ASMEND
.LBB4_8788:                             ;   in Loop: Header=BB4_8747 Depth=3
	s_or_b32 exec_lo, exec_lo, s42
.LBB4_8789:                             ;   in Loop: Header=BB4_8747 Depth=3
	s_and_not1_saveexec_b32 s29, s29
	s_cbranch_execz .LBB4_8791
; %bb.8790:                             ;   in Loop: Header=BB4_8747 Depth=3
	global_wb scope:SCOPE_DEV
	s_wait_storecnt 0x0
	s_wait_loadcnt_dscnt 0x0
	global_inv scope:SCOPE_DEV
	s_barrier_signal -1
	s_barrier_wait -1
.LBB4_8791:                             ;   in Loop: Header=BB4_8747 Depth=3
	s_or_b32 exec_lo, exec_lo, s29
.LBB4_8792:                             ;   in Loop: Header=BB4_8747 Depth=3
	s_delay_alu instid0(SALU_CYCLE_1) | instskip(SKIP_1) | instid1(SALU_CYCLE_1)
	s_or_b32 exec_lo, exec_lo, s13
                                        ; implicit-def: $vgpr2
	s_and_saveexec_b32 s13, s10
	s_xor_b32 s29, exec_lo, s13
	s_cbranch_execz .LBB4_8796
; %bb.8793:                             ;   in Loop: Header=BB4_8747 Depth=3
	s_trap 2
	ds_load_b32 v2, v0
	v_cmp_lt_i32_e32 vcc_lo, 0, v12
	s_wait_dscnt 0x0
	v_readfirstlane_b32 s13, v2
	v_and_b32_e32 v2, 16, v126
	s_cmp_eq_u32 s13, 0
	s_delay_alu instid0(VALU_DEP_1) | instskip(SKIP_3) | instid1(SALU_CYCLE_1)
	v_cmp_ne_u32_e64 s13, 0, v2
	s_cselect_b32 s42, -1, 0
	v_and_b32_e32 v2, 16, v126
	s_and_b32 s42, vcc_lo, s42
	s_and_b32 s42, s13, s42
	s_delay_alu instid0(SALU_CYCLE_1)
	s_and_saveexec_b32 s13, s42
	s_cbranch_execz .LBB4_8795
; %bb.8794:                             ;   in Loop: Header=BB4_8747 Depth=3
	v_mov_b32_e32 v2, 1
	global_wb scope:SCOPE_SYS
	s_wait_loadcnt 0x0
	s_wait_storecnt 0x0
	global_inv scope:SCOPE_SYS
.LBB4_8795:                             ;   in Loop: Header=BB4_8747 Depth=3
	s_or_b32 exec_lo, exec_lo, s13
	s_and_not1_saveexec_b32 s13, s29
	s_cbranch_execz .LBB4_8815
	s_branch .LBB4_8797
.LBB4_8796:                             ;   in Loop: Header=BB4_8747 Depth=3
	s_and_not1_saveexec_b32 s13, s29
	s_cbranch_execz .LBB4_8815
.LBB4_8797:                             ;   in Loop: Header=BB4_8747 Depth=3
	s_and_saveexec_b32 s29, s3
	s_delay_alu instid0(SALU_CYCLE_1)
	s_xor_b32 s29, exec_lo, s29
	s_cbranch_execz .LBB4_8812
; %bb.8798:                             ;   in Loop: Header=BB4_8747 Depth=3
	s_and_saveexec_b32 s42, s6
	s_cbranch_execz .LBB4_8811
; %bb.8799:                             ;   in Loop: Header=BB4_8747 Depth=3
	s_mov_b32 s62, exec_lo
	s_mov_b32 s43, exec_lo
	v_mbcnt_lo_u32_b32 v2, s62, 0
	;;#ASMSTART
	s_waitcnt lgkmcnt(0) vmcnt(0)
	;;#ASMEND
	s_delay_alu instid0(VALU_DEP_1)
	v_cmpx_eq_u32_e32 0, v2
	s_cbranch_execz .LBB4_8801
; %bb.8800:                             ;   in Loop: Header=BB4_8747 Depth=3
	s_bcnt1_i32_b32 s62, s62
	s_delay_alu instid0(SALU_CYCLE_1)
	v_dual_mov_b32 v5, v3 :: v_dual_mov_b32 v4, s62
	s_wait_storecnt 0x0
	s_wait_loadcnt_dscnt 0x0
	ds_add_u64 v0, v[4:5]
	s_trap 2
.LBB4_8801:                             ;   in Loop: Header=BB4_8747 Depth=3
	s_or_b32 exec_lo, exec_lo, s43
	s_trap 2
	ds_load_b64 v[4:5], v0
	s_wait_dscnt 0x0
	v_add_nc_u64_e32 v[48:49], v[48:49], v[52:53]
	s_mov_b32 s43, exec_lo
	s_delay_alu instid0(VALU_DEP_1)
	v_cmpx_lt_u64_e64 v[4:5], v[48:49]
	s_cbranch_execz .LBB4_8810
; %bb.8802:                             ;   in Loop: Header=BB4_8747 Depth=3
	s_mov_b32 s62, 0
	s_mov_b32 s73, 0
                                        ; implicit-def: $sgpr63
                                        ; implicit-def: $sgpr72
	s_branch .LBB4_8804
.LBB4_8803:                             ;   in Loop: Header=BB4_8804 Depth=4
	s_or_b32 exec_lo, exec_lo, s75
	s_delay_alu instid0(SALU_CYCLE_1) | instskip(NEXT) | instid1(SALU_CYCLE_1)
	s_and_b32 s74, exec_lo, s76
	s_or_b32 s62, s74, s62
	s_and_not1_b32 s63, s63, exec_lo
	s_and_b32 s74, s72, exec_lo
	s_delay_alu instid0(SALU_CYCLE_1)
	s_or_b32 s63, s63, s74
	s_and_not1_b32 exec_lo, exec_lo, s62
	s_cbranch_execz .LBB4_8808
.LBB4_8804:                             ;   Parent Loop BB4_47 Depth=1
                                        ;     Parent Loop BB4_8563 Depth=2
                                        ;       Parent Loop BB4_8747 Depth=3
                                        ; =>      This Inner Loop Header: Depth=4
	s_add_co_i32 s73, s73, 1
	s_delay_alu instid0(SALU_CYCLE_1) | instskip(SKIP_1) | instid1(SALU_CYCLE_1)
	s_cmp_lg_u32 s73, 0x2710
	s_cselect_b32 s74, -1, 0
	s_and_b32 vcc_lo, exec_lo, s74
	s_cbranch_vccz .LBB4_8806
; %bb.8805:                             ;   in Loop: Header=BB4_8804 Depth=4
	s_mov_b32 s76, -1
	s_or_b32 s72, s72, exec_lo
	s_and_saveexec_b32 s75, s74
	s_cbranch_execz .LBB4_8803
	s_branch .LBB4_8807
.LBB4_8806:                             ;   in Loop: Header=BB4_8804 Depth=4
	s_trap 2
	ds_load_b64 v[4:5], v0
	s_and_not1_b32 s74, s74, exec_lo
	s_mov_b32 s73, 0
	s_wait_storecnt 0x0
	s_wait_loadcnt_dscnt 0x0
	flat_load_b32 v2, v[4:5] scope:SCOPE_SYS
	s_wait_loadcnt_dscnt 0x0
	global_inv scope:SCOPE_SYS
	v_cmp_eq_u32_e32 vcc_lo, 0, v2
	s_and_b32 s75, vcc_lo, exec_lo
	s_delay_alu instid0(SALU_CYCLE_1)
	s_or_b32 s74, s74, s75
	s_mov_b32 s76, -1
	s_or_b32 s72, s72, exec_lo
	s_wait_xcnt 0x0
	s_and_saveexec_b32 s75, s74
	s_cbranch_execz .LBB4_8803
.LBB4_8807:                             ;   in Loop: Header=BB4_8804 Depth=4
	s_sleep 1
	s_trap 2
	ds_load_b64 v[4:5], v0
	s_wait_dscnt 0x0
	s_and_not1_b32 s72, s72, exec_lo
	v_cmp_ge_u64_e32 vcc_lo, v[4:5], v[48:49]
	s_or_not1_b32 s76, vcc_lo, exec_lo
	s_branch .LBB4_8803
.LBB4_8808:                             ;   in Loop: Header=BB4_8747 Depth=3
	s_or_b32 exec_lo, exec_lo, s62
	s_and_saveexec_b32 s62, s63
	s_delay_alu instid0(SALU_CYCLE_1)
	s_xor_b32 s62, exec_lo, s62
	s_cbranch_execz .LBB4_8810
; %bb.8809:                             ;   in Loop: Header=BB4_8747 Depth=3
	ds_store_b32 v0, v64
	s_trap 2
.LBB4_8810:                             ;   in Loop: Header=BB4_8747 Depth=3
	s_or_b32 exec_lo, exec_lo, s43
	;;#ASMSTART
	s_wakeup
	;;#ASMEND
.LBB4_8811:                             ;   in Loop: Header=BB4_8747 Depth=3
	s_or_b32 exec_lo, exec_lo, s42
.LBB4_8812:                             ;   in Loop: Header=BB4_8747 Depth=3
	s_and_not1_saveexec_b32 s29, s29
	s_cbranch_execz .LBB4_8814
; %bb.8813:                             ;   in Loop: Header=BB4_8747 Depth=3
	;;#ASMSTART
	s_waitcnt lgkmcnt(0) vmcnt(0)
	;;#ASMEND
	s_barrier_signal -1
	s_barrier_wait -1
.LBB4_8814:                             ;   in Loop: Header=BB4_8747 Depth=3
	s_or_b32 exec_lo, exec_lo, s29
	v_and_b32_e32 v2, 16, v126
.LBB4_8815:                             ;   in Loop: Header=BB4_8747 Depth=3
	s_or_b32 exec_lo, exec_lo, s13
	s_delay_alu instid0(VALU_DEP_1) | instskip(SKIP_1) | instid1(SALU_CYCLE_1)
	v_cmp_ne_u32_e32 vcc_lo, 0, v2
	s_xor_b32 s13, s4, -1
	s_and_b32 s29, vcc_lo, s13
	s_delay_alu instid0(SALU_CYCLE_1)
	s_and_saveexec_b32 s13, s29
	s_cbranch_execz .LBB4_8817
; %bb.8816:                             ;   in Loop: Header=BB4_8747 Depth=3
	global_wb scope:SCOPE_SYS
	s_wait_storecnt 0x0
	s_wait_loadcnt_dscnt 0x0
	flat_store_b32 v[38:39], v64 scope:SCOPE_SYS
.LBB4_8817:                             ;   in Loop: Header=BB4_8747 Depth=3
	s_wait_xcnt 0x0
	s_or_b32 exec_lo, exec_lo, s13
	v_and_b32_e32 v2, 48, v126
	s_mov_b32 s13, exec_lo
	s_delay_alu instid0(VALU_DEP_1)
	v_cmpx_ne_u32_e32 0, v2
	s_cbranch_execz .LBB4_8746
; %bb.8818:                             ;   in Loop: Header=BB4_8747 Depth=3
	v_add_nc_u64_e32 v[114:115], 2, v[114:115]
	global_wb scope:SCOPE_SYS
	s_wait_storecnt 0x0
	s_wait_loadcnt_dscnt 0x0
	flat_store_b64 v[32:33], v[114:115] scope:SCOPE_SYS
	s_branch .LBB4_8746
.LBB4_8819:                             ;   in Loop: Header=BB4_8563 Depth=2
	s_or_b32 exec_lo, exec_lo, s15
.LBB4_8820:                             ;   in Loop: Header=BB4_8563 Depth=2
	s_delay_alu instid0(SALU_CYCLE_1)
	s_or_b32 exec_lo, exec_lo, s14
	s_add_co_i32 s13, s18, 1
	s_cmp_eq_u32 s18, s58
	s_cbranch_scc1 .LBB4_8822
; %bb.8821:                             ;   in Loop: Header=BB4_8563 Depth=2
	s_mov_b32 s18, s13
	s_branch .LBB4_8563
.LBB4_8822:                             ;   in Loop: Header=BB4_47 Depth=1
	s_clause 0x1
	scratch_load_b64 v[10:11], off, s33 offset:208
	scratch_load_b64 v[8:9], off, s33 offset:200 th:TH_LOAD_LU
	s_wait_loadcnt 0x1
	v_mul_u64_e32 v[4:5], s[40:41], v[10:11]
	s_wait_loadcnt 0x0
	s_delay_alu instid0(VALU_DEP_1) | instskip(NEXT) | instid1(VALU_DEP_1)
	v_sub_nc_u64_e32 v[8:9], v[8:9], v[4:5]
	v_min_i64 v[8:9], v[10:11], v[8:9]
	s_delay_alu instid0(VALU_DEP_1) | instskip(SKIP_1) | instid1(VALU_DEP_2)
	v_dual_mov_b32 v9, 0 :: v_dual_max_i32 v1, 0, v8
	v_cmp_lt_i32_e32 vcc_lo, 0, v8
	v_dual_mov_b32 v8, 0 :: v_dual_add_nc_u32 v2, 31, v1
	s_and_b32 s13, s59, vcc_lo
	s_delay_alu instid0(VALU_DEP_1) | instskip(NEXT) | instid1(VALU_DEP_1)
	v_lshrrev_b32_e32 v2, 1, v2
	v_and_b32_e32 v2, 0x3ffffff0, v2
	s_delay_alu instid0(VALU_DEP_1)
	v_max_i32_e32 v2, s47, v2
	s_wait_xcnt 0x0
	s_and_saveexec_b32 s14, s13
	s_cbranch_execz .LBB4_8962
; %bb.8823:                             ;   in Loop: Header=BB4_47 Depth=1
	scratch_load_b64 v[8:9], off, s33 offset:188 th:TH_LOAD_LU ; 8-byte Folded Reload
	s_mov_b32 s29, 1
	s_mov_b32 s18, -1
	s_mov_b32 s15, 0
	s_wait_loadcnt 0x0
	v_add_nc_u64_e32 v[10:11], v[4:5], v[8:9]
	v_mov_b32_e32 v8, 0
	s_branch .LBB4_8825
.LBB4_8824:                             ;   in Loop: Header=BB4_8825 Depth=2
	s_wait_xcnt 0x0
	s_or_b32 exec_lo, exec_lo, s13
	v_dual_mov_b32 v9, s29 :: v_dual_add_nc_u32 v8, v2, v8
	s_xor_b32 s13, s18, -1
	s_mov_b32 s18, 0
	s_mov_b32 s29, 2
	s_delay_alu instid0(VALU_DEP_1) | instskip(SKIP_1) | instid1(SALU_CYCLE_1)
	v_cmp_ge_i32_e32 vcc_lo, v8, v1
	s_or_b32 s13, s13, vcc_lo
	s_and_b32 s13, exec_lo, s13
	s_delay_alu instid0(SALU_CYCLE_1) | instskip(NEXT) | instid1(SALU_CYCLE_1)
	s_or_b32 s15, s13, s15
	s_and_not1_b32 exec_lo, exec_lo, s15
	s_cbranch_execz .LBB4_8961
.LBB4_8825:                             ;   Parent Loop BB4_47 Depth=1
                                        ; =>  This Loop Header: Depth=2
                                        ;       Child Loop BB4_8833 Depth 3
                                        ;       Child Loop BB4_8857 Depth 3
	;; [unrolled: 1-line block ×9, first 2 shown]
	s_wait_xcnt 0x0
	s_and_saveexec_b32 s13, s0
	s_cbranch_execz .LBB4_8827
; %bb.8826:                             ;   in Loop: Header=BB4_8825 Depth=2
	s_trap 2
	ds_load_b128 v[12:15], v0
	s_wait_dscnt 0x0
	v_add_nc_u64_e32 v[4:5], v[14:15], v[10:11]
	v_cmp_ne_u64_e32 vcc_lo, 0, v[14:15]
	v_ashrrev_i32_e32 v9, 31, v8
	v_add_nc_u64_e32 v[12:13], v[12:13], v[10:11]
	s_delay_alu instid0(VALU_DEP_2) | instskip(NEXT) | instid1(VALU_DEP_1)
	v_add_nc_u64_e32 v[4:5], v[4:5], v[8:9]
	v_cndmask_b32_e32 v5, 0, v5, vcc_lo
	s_delay_alu instid0(VALU_DEP_3) | instskip(NEXT) | instid1(VALU_DEP_3)
	v_add_nc_u64_e32 v[12:13], v[12:13], v[8:9]
	v_cndmask_b32_e32 v4, 0, v4, vcc_lo
	ds_store_b64 v0, v[12:13]
	ds_store_b64 v0, v[4:5]
.LBB4_8827:                             ;   in Loop: Header=BB4_8825 Depth=2
	s_or_b32 exec_lo, exec_lo, s13
	v_and_b32_e32 v4, 4, v126
	s_mov_b32 s42, exec_lo
	s_delay_alu instid0(VALU_DEP_1)
	v_cmpx_ne_u32_e32 0, v4
	s_cbranch_execz .LBB4_8849
; %bb.8828:                             ;   in Loop: Header=BB4_8825 Depth=2
	v_add_nc_u64_e32 v[4:5], 2, v[114:115]
	s_mov_b32 s43, exec_lo
	s_wait_loadcnt_dscnt 0x1
	s_delay_alu instid0(VALU_DEP_1)
	v_cmpx_lt_u64_e64 v[50:51], v[4:5]
	s_cbranch_execz .LBB4_8840
; %bb.8829:                             ;   in Loop: Header=BB4_8825 Depth=2
	v_and_b32_e32 v9, 64, v126
	s_mov_b32 s62, 0
	s_mov_b32 s74, 0
                                        ; implicit-def: $sgpr63
                                        ; implicit-def: $sgpr72
                                        ; implicit-def: $sgpr73
	s_delay_alu instid0(VALU_DEP_1)
	v_cmp_eq_u32_e32 vcc_lo, 0, v9
	s_branch .LBB4_8833
.LBB4_8830:                             ;   in Loop: Header=BB4_8833 Depth=3
	s_wait_loadcnt_dscnt 0x0
	v_cmp_ge_u64_e64 s13, v[50:51], v[4:5]
	s_or_b32 s77, s77, exec_lo
	s_or_not1_b32 s76, s13, exec_lo
.LBB4_8831:                             ;   in Loop: Header=BB4_8833 Depth=3
	s_or_b32 exec_lo, exec_lo, s79
	s_delay_alu instid0(SALU_CYCLE_1)
	s_and_not1_b32 s13, s73, exec_lo
	s_and_b32 s73, s77, exec_lo
	s_and_not1_b32 s72, s72, exec_lo
	s_and_b32 s76, s76, exec_lo
	s_or_b32 s73, s13, s73
	s_or_b32 s72, s72, s76
.LBB4_8832:                             ;   in Loop: Header=BB4_8833 Depth=3
	s_or_b32 exec_lo, exec_lo, s75
	s_delay_alu instid0(SALU_CYCLE_1) | instskip(NEXT) | instid1(SALU_CYCLE_1)
	s_and_b32 s13, exec_lo, s72
	s_or_b32 s62, s13, s62
	s_and_not1_b32 s13, s63, exec_lo
	s_and_b32 s63, s73, exec_lo
	s_delay_alu instid0(SALU_CYCLE_1)
	s_or_b32 s63, s13, s63
	s_and_not1_b32 exec_lo, exec_lo, s62
	s_cbranch_execz .LBB4_8837
.LBB4_8833:                             ;   Parent Loop BB4_47 Depth=1
                                        ;     Parent Loop BB4_8825 Depth=2
                                        ; =>    This Inner Loop Header: Depth=3
	s_sleep 1
	s_wait_loadcnt_dscnt 0x0
	flat_load_b64 v[50:51], v[32:33] scope:SCOPE_SYS
	s_or_b32 s73, s73, exec_lo
	s_or_b32 s72, s72, exec_lo
                                        ; implicit-def: $vgpr9
	s_wait_xcnt 0x0
	s_and_saveexec_b32 s75, vcc_lo
	s_cbranch_execz .LBB4_8832
; %bb.8834:                             ;   in Loop: Header=BB4_8833 Depth=3
	s_cmp_lt_i32 s74, 0x270f
	s_mov_b32 s76, -1
	s_cselect_b32 s78, -1, 0
	s_cmp_gt_i32 s74, 0x270e
	s_cbranch_scc0 .LBB4_8836
; %bb.8835:                             ;   in Loop: Header=BB4_8833 Depth=3
	s_trap 2
	ds_load_b64 v[12:13], v0
	s_and_not1_b32 s74, s78, exec_lo
	s_mov_b32 s77, 0
	s_wait_storecnt 0x0
	s_wait_loadcnt_dscnt 0x0
	flat_load_b32 v9, v[12:13] scope:SCOPE_SYS
	s_wait_loadcnt_dscnt 0x0
	global_inv scope:SCOPE_SYS
	v_cmp_eq_u32_e64 s13, 0, v9
	s_and_b32 s13, s13, exec_lo
	s_delay_alu instid0(SALU_CYCLE_1)
	s_or_b32 s78, s74, s13
	s_mov_b32 s74, 0
	s_wait_xcnt 0x0
	s_and_saveexec_b32 s79, s78
	s_cbranch_execz .LBB4_8831
	s_branch .LBB4_8830
.LBB4_8836:                             ;   in Loop: Header=BB4_8833 Depth=3
	s_add_co_i32 s74, s74, 1
	s_mov_b32 s77, -1
                                        ; implicit-def: $vgpr9
	s_and_saveexec_b32 s79, s78
	s_cbranch_execz .LBB4_8831
	s_branch .LBB4_8830
.LBB4_8837:                             ;   in Loop: Header=BB4_8825 Depth=2
	s_or_b32 exec_lo, exec_lo, s62
	s_xor_b32 s13, s63, -1
	s_delay_alu instid0(SALU_CYCLE_1) | instskip(NEXT) | instid1(SALU_CYCLE_1)
	s_and_saveexec_b32 s62, s13
	s_xor_b32 s13, exec_lo, s62
	s_cbranch_execz .LBB4_8839
; %bb.8838:                             ;   in Loop: Header=BB4_8825 Depth=2
	v_or_b32_e32 v126, 64, v126
	s_wait_storecnt 0x0
	s_wait_loadcnt_dscnt 0x0
	ds_store_b32 v0, v9
	s_trap 2
.LBB4_8839:                             ;   in Loop: Header=BB4_8825 Depth=2
	s_or_b32 exec_lo, exec_lo, s13
.LBB4_8840:                             ;   in Loop: Header=BB4_8825 Depth=2
	s_delay_alu instid0(SALU_CYCLE_1)
	s_or_b32 exec_lo, exec_lo, s43
	v_and_b32_e32 v9, 0x100, v126
	v_dual_mov_b32 v13, v3 :: v_dual_bitop2_b32 v12, 7, v114 bitop3:0x40
	s_mov_b32 s13, -1
	s_mov_b32 s43, exec_lo
	;;#ASMSTART
	s_wakeup
	;;#ASMEND
                                        ; implicit-def: $vgpr14_vgpr15
	v_cmpx_ne_u32_e32 0, v9
	s_cbranch_execz .LBB4_8844
; %bb.8841:                             ;   in Loop: Header=BB4_8825 Depth=2
	v_mad_nc_u64_u32 v[16:17], v12, 24, v[6:7]
	s_mov_b32 s62, exec_lo
                                        ; implicit-def: $vgpr14_vgpr15
	flat_load_b32 v9, v[16:17]
	s_wait_loadcnt_dscnt 0x0
	v_cmp_ne_u32_e32 vcc_lo, 1, v9
	s_wait_xcnt 0x0
	v_cmpx_eq_u32_e32 1, v9
	s_cbranch_execz .LBB4_8843
; %bb.8842:                             ;   in Loop: Header=BB4_8825 Depth=2
	flat_load_b32 v14, v[16:17] offset:4 scope:SCOPE_SYS
	s_wait_loadcnt_dscnt 0x0
	v_ashrrev_i32_e32 v15, 31, v14
.LBB4_8843:                             ;   in Loop: Header=BB4_8825 Depth=2
	s_wait_xcnt 0x0
	s_or_b32 exec_lo, exec_lo, s62
	s_delay_alu instid0(SALU_CYCLE_1)
	s_or_not1_b32 s13, vcc_lo, exec_lo
.LBB4_8844:                             ;   in Loop: Header=BB4_8825 Depth=2
	s_or_b32 exec_lo, exec_lo, s43
	s_and_saveexec_b32 s43, s13
; %bb.8845:                             ;   in Loop: Header=BB4_8825 Depth=2
	v_mul_u64_e32 v[14:15], v[12:13], v[34:35]
; %bb.8846:                             ;   in Loop: Header=BB4_8825 Depth=2
	s_or_b32 exec_lo, exec_lo, s43
	s_delay_alu instid0(VALU_DEP_1)
	v_add_nc_u64_e32 v[12:13], v[36:37], v[14:15]
	v_and_b32_e32 v9, 0x2000, v126
	s_mov_b32 s13, exec_lo
	ds_store_b64 v0, v[12:13] offset:720
	v_cmpx_ne_u32_e32 0, v9
	s_cbranch_execz .LBB4_8848
; %bb.8847:                             ;   in Loop: Header=BB4_8825 Depth=2
	ds_load_b64 v[12:13], v0 offset:872
	s_wait_dscnt 0x0
	v_add_nc_u64_e32 v[12:13], 1, v[12:13]
	ds_store_b64 v0, v[12:13] offset:872
.LBB4_8848:                             ;   in Loop: Header=BB4_8825 Depth=2
	s_or_b32 exec_lo, exec_lo, s13
	v_mov_b64_e32 v[114:115], v[4:5]
.LBB4_8849:                             ;   in Loop: Header=BB4_8825 Depth=2
	s_or_b32 exec_lo, exec_lo, s42
	s_and_saveexec_b32 s13, s2
	s_cbranch_execz .LBB4_8868
; %bb.8850:                             ;   in Loop: Header=BB4_8825 Depth=2
	s_and_saveexec_b32 s42, s3
	s_delay_alu instid0(SALU_CYCLE_1)
	s_xor_b32 s42, exec_lo, s42
	s_cbranch_execz .LBB4_8865
; %bb.8851:                             ;   in Loop: Header=BB4_8825 Depth=2
	s_and_saveexec_b32 s43, s6
	s_cbranch_execz .LBB4_8864
; %bb.8852:                             ;   in Loop: Header=BB4_8825 Depth=2
	s_mov_b32 s63, exec_lo
	s_mov_b32 s62, exec_lo
	v_mbcnt_lo_u32_b32 v4, s63, 0
	global_wb scope:SCOPE_DEV
	s_wait_storecnt 0x0
	s_wait_loadcnt_dscnt 0x0
	global_inv scope:SCOPE_DEV
	v_cmpx_eq_u32_e32 0, v4
	s_cbranch_execz .LBB4_8854
; %bb.8853:                             ;   in Loop: Header=BB4_8825 Depth=2
	s_bcnt1_i32_b32 s63, s63
	s_delay_alu instid0(SALU_CYCLE_1)
	v_dual_mov_b32 v5, v3 :: v_dual_mov_b32 v4, s63
	s_wait_loadcnt 0x0
	ds_add_u64 v0, v[4:5]
	s_trap 2
.LBB4_8854:                             ;   in Loop: Header=BB4_8825 Depth=2
	s_or_b32 exec_lo, exec_lo, s62
	s_trap 2
	ds_load_b64 v[4:5], v0
	s_wait_dscnt 0x0
	v_add_nc_u64_e32 v[48:49], v[48:49], v[52:53]
	s_mov_b32 s62, exec_lo
	s_delay_alu instid0(VALU_DEP_1)
	v_cmpx_lt_u64_e64 v[4:5], v[48:49]
	s_cbranch_execz .LBB4_8863
; %bb.8855:                             ;   in Loop: Header=BB4_8825 Depth=2
	s_mov_b32 s63, 0
	s_mov_b32 s74, 0
                                        ; implicit-def: $sgpr72
                                        ; implicit-def: $sgpr73
	s_branch .LBB4_8857
.LBB4_8856:                             ;   in Loop: Header=BB4_8857 Depth=3
	s_or_b32 exec_lo, exec_lo, s76
	s_delay_alu instid0(SALU_CYCLE_1) | instskip(NEXT) | instid1(SALU_CYCLE_1)
	s_and_b32 s75, exec_lo, s77
	s_or_b32 s63, s75, s63
	s_and_not1_b32 s72, s72, exec_lo
	s_and_b32 s75, s73, exec_lo
	s_delay_alu instid0(SALU_CYCLE_1)
	s_or_b32 s72, s72, s75
	s_and_not1_b32 exec_lo, exec_lo, s63
	s_cbranch_execz .LBB4_8861
.LBB4_8857:                             ;   Parent Loop BB4_47 Depth=1
                                        ;     Parent Loop BB4_8825 Depth=2
                                        ; =>    This Inner Loop Header: Depth=3
	s_add_co_i32 s74, s74, 1
	s_delay_alu instid0(SALU_CYCLE_1) | instskip(SKIP_1) | instid1(SALU_CYCLE_1)
	s_cmp_lg_u32 s74, 0x2710
	s_cselect_b32 s75, -1, 0
	s_and_b32 vcc_lo, exec_lo, s75
	s_cbranch_vccz .LBB4_8859
; %bb.8858:                             ;   in Loop: Header=BB4_8857 Depth=3
	s_mov_b32 s77, -1
	s_or_b32 s73, s73, exec_lo
	s_and_saveexec_b32 s76, s75
	s_cbranch_execz .LBB4_8856
	s_branch .LBB4_8860
.LBB4_8859:                             ;   in Loop: Header=BB4_8857 Depth=3
	s_trap 2
	ds_load_b64 v[4:5], v0
	s_and_not1_b32 s75, s75, exec_lo
	s_mov_b32 s74, 0
	s_wait_loadcnt_dscnt 0x0
	flat_load_b32 v4, v[4:5] scope:SCOPE_SYS
	s_wait_loadcnt_dscnt 0x0
	global_inv scope:SCOPE_SYS
	v_cmp_eq_u32_e32 vcc_lo, 0, v4
	s_and_b32 s76, vcc_lo, exec_lo
	s_delay_alu instid0(SALU_CYCLE_1)
	s_or_b32 s75, s75, s76
	s_mov_b32 s77, -1
	s_or_b32 s73, s73, exec_lo
	s_wait_xcnt 0x0
	s_and_saveexec_b32 s76, s75
	s_cbranch_execz .LBB4_8856
.LBB4_8860:                             ;   in Loop: Header=BB4_8857 Depth=3
	s_sleep 1
	s_trap 2
	ds_load_b64 v[4:5], v0
	s_wait_dscnt 0x0
	s_and_not1_b32 s73, s73, exec_lo
	v_cmp_ge_u64_e32 vcc_lo, v[4:5], v[48:49]
	s_or_not1_b32 s77, vcc_lo, exec_lo
	s_branch .LBB4_8856
.LBB4_8861:                             ;   in Loop: Header=BB4_8825 Depth=2
	s_or_b32 exec_lo, exec_lo, s63
	s_and_saveexec_b32 s63, s72
	s_delay_alu instid0(SALU_CYCLE_1)
	s_xor_b32 s63, exec_lo, s63
	s_cbranch_execz .LBB4_8863
; %bb.8862:                             ;   in Loop: Header=BB4_8825 Depth=2
	ds_store_b32 v0, v64
	s_trap 2
.LBB4_8863:                             ;   in Loop: Header=BB4_8825 Depth=2
	s_or_b32 exec_lo, exec_lo, s62
	;;#ASMSTART
	s_wakeup
	;;#ASMEND
.LBB4_8864:                             ;   in Loop: Header=BB4_8825 Depth=2
	s_or_b32 exec_lo, exec_lo, s43
.LBB4_8865:                             ;   in Loop: Header=BB4_8825 Depth=2
	s_and_not1_saveexec_b32 s42, s42
	s_cbranch_execz .LBB4_8867
; %bb.8866:                             ;   in Loop: Header=BB4_8825 Depth=2
	global_wb scope:SCOPE_DEV
	s_wait_storecnt 0x0
	s_wait_loadcnt_dscnt 0x0
	global_inv scope:SCOPE_DEV
	s_barrier_signal -1
	s_barrier_wait -1
.LBB4_8867:                             ;   in Loop: Header=BB4_8825 Depth=2
	s_or_b32 exec_lo, exec_lo, s42
.LBB4_8868:                             ;   in Loop: Header=BB4_8825 Depth=2
	s_delay_alu instid0(SALU_CYCLE_1) | instskip(SKIP_4) | instid1(VALU_DEP_1)
	s_or_b32 exec_lo, exec_lo, s13
	s_trap 2
	ds_load_b32 v9, v0
	v_and_b32_e32 v4, 0x4000, v126
	s_xor_b32 s13, s1, -1
	v_cmp_ne_u32_e32 vcc_lo, 0, v4
	s_and_b32 s42, s13, vcc_lo
	s_delay_alu instid0(SALU_CYCLE_1)
	s_and_saveexec_b32 s13, s42
	s_cbranch_execz .LBB4_8887
; %bb.8869:                             ;   in Loop: Header=BB4_8825 Depth=2
	s_and_saveexec_b32 s42, s3
	s_delay_alu instid0(SALU_CYCLE_1)
	s_xor_b32 s42, exec_lo, s42
	s_cbranch_execz .LBB4_8884
; %bb.8870:                             ;   in Loop: Header=BB4_8825 Depth=2
	s_and_saveexec_b32 s43, s6
	s_cbranch_execz .LBB4_8883
; %bb.8871:                             ;   in Loop: Header=BB4_8825 Depth=2
	s_mov_b32 s63, exec_lo
	s_mov_b32 s62, exec_lo
	v_mbcnt_lo_u32_b32 v4, s63, 0
	global_wb scope:SCOPE_DEV
	s_wait_storecnt 0x0
	s_wait_loadcnt_dscnt 0x0
	global_inv scope:SCOPE_DEV
	v_cmpx_eq_u32_e32 0, v4
	s_cbranch_execz .LBB4_8873
; %bb.8872:                             ;   in Loop: Header=BB4_8825 Depth=2
	s_bcnt1_i32_b32 s63, s63
	s_delay_alu instid0(SALU_CYCLE_1)
	v_dual_mov_b32 v5, v3 :: v_dual_mov_b32 v4, s63
	s_wait_loadcnt 0x0
	ds_add_u64 v0, v[4:5]
	s_trap 2
.LBB4_8873:                             ;   in Loop: Header=BB4_8825 Depth=2
	s_or_b32 exec_lo, exec_lo, s62
	s_trap 2
	ds_load_b64 v[4:5], v0
	s_wait_dscnt 0x0
	v_add_nc_u64_e32 v[48:49], v[48:49], v[52:53]
	s_mov_b32 s62, exec_lo
	s_delay_alu instid0(VALU_DEP_1)
	v_cmpx_lt_u64_e64 v[4:5], v[48:49]
	s_cbranch_execz .LBB4_8882
; %bb.8874:                             ;   in Loop: Header=BB4_8825 Depth=2
	s_mov_b32 s63, 0
	s_mov_b32 s74, 0
                                        ; implicit-def: $sgpr72
                                        ; implicit-def: $sgpr73
	s_branch .LBB4_8876
.LBB4_8875:                             ;   in Loop: Header=BB4_8876 Depth=3
	s_or_b32 exec_lo, exec_lo, s76
	s_delay_alu instid0(SALU_CYCLE_1) | instskip(NEXT) | instid1(SALU_CYCLE_1)
	s_and_b32 s75, exec_lo, s77
	s_or_b32 s63, s75, s63
	s_and_not1_b32 s72, s72, exec_lo
	s_and_b32 s75, s73, exec_lo
	s_delay_alu instid0(SALU_CYCLE_1)
	s_or_b32 s72, s72, s75
	s_and_not1_b32 exec_lo, exec_lo, s63
	s_cbranch_execz .LBB4_8880
.LBB4_8876:                             ;   Parent Loop BB4_47 Depth=1
                                        ;     Parent Loop BB4_8825 Depth=2
                                        ; =>    This Inner Loop Header: Depth=3
	s_add_co_i32 s74, s74, 1
	s_delay_alu instid0(SALU_CYCLE_1) | instskip(SKIP_1) | instid1(SALU_CYCLE_1)
	s_cmp_lg_u32 s74, 0x2710
	s_cselect_b32 s75, -1, 0
	s_and_b32 vcc_lo, exec_lo, s75
	s_cbranch_vccz .LBB4_8878
; %bb.8877:                             ;   in Loop: Header=BB4_8876 Depth=3
	s_mov_b32 s77, -1
	s_or_b32 s73, s73, exec_lo
	s_and_saveexec_b32 s76, s75
	s_cbranch_execz .LBB4_8875
	s_branch .LBB4_8879
.LBB4_8878:                             ;   in Loop: Header=BB4_8876 Depth=3
	s_trap 2
	ds_load_b64 v[4:5], v0
	s_and_not1_b32 s75, s75, exec_lo
	s_mov_b32 s74, 0
	s_wait_loadcnt_dscnt 0x0
	flat_load_b32 v4, v[4:5] scope:SCOPE_SYS
	s_wait_loadcnt_dscnt 0x0
	global_inv scope:SCOPE_SYS
	v_cmp_eq_u32_e32 vcc_lo, 0, v4
	s_and_b32 s76, vcc_lo, exec_lo
	s_delay_alu instid0(SALU_CYCLE_1)
	s_or_b32 s75, s75, s76
	s_mov_b32 s77, -1
	s_or_b32 s73, s73, exec_lo
	s_wait_xcnt 0x0
	s_and_saveexec_b32 s76, s75
	s_cbranch_execz .LBB4_8875
.LBB4_8879:                             ;   in Loop: Header=BB4_8876 Depth=3
	s_sleep 1
	s_trap 2
	ds_load_b64 v[4:5], v0
	s_wait_dscnt 0x0
	s_and_not1_b32 s73, s73, exec_lo
	v_cmp_ge_u64_e32 vcc_lo, v[4:5], v[48:49]
	s_or_not1_b32 s77, vcc_lo, exec_lo
	s_branch .LBB4_8875
.LBB4_8880:                             ;   in Loop: Header=BB4_8825 Depth=2
	s_or_b32 exec_lo, exec_lo, s63
	s_and_saveexec_b32 s63, s72
	s_delay_alu instid0(SALU_CYCLE_1)
	s_xor_b32 s63, exec_lo, s63
	s_cbranch_execz .LBB4_8882
; %bb.8881:                             ;   in Loop: Header=BB4_8825 Depth=2
	ds_store_b32 v0, v64
	s_trap 2
.LBB4_8882:                             ;   in Loop: Header=BB4_8825 Depth=2
	s_or_b32 exec_lo, exec_lo, s62
	;;#ASMSTART
	s_wakeup
	;;#ASMEND
.LBB4_8883:                             ;   in Loop: Header=BB4_8825 Depth=2
	s_or_b32 exec_lo, exec_lo, s43
.LBB4_8884:                             ;   in Loop: Header=BB4_8825 Depth=2
	s_and_not1_saveexec_b32 s42, s42
	s_cbranch_execz .LBB4_8886
; %bb.8885:                             ;   in Loop: Header=BB4_8825 Depth=2
	global_wb scope:SCOPE_DEV
	s_wait_storecnt 0x0
	s_wait_loadcnt_dscnt 0x0
	global_inv scope:SCOPE_DEV
	s_barrier_signal -1
	s_barrier_wait -1
.LBB4_8886:                             ;   in Loop: Header=BB4_8825 Depth=2
	s_or_b32 exec_lo, exec_lo, s42
.LBB4_8887:                             ;   in Loop: Header=BB4_8825 Depth=2
	s_delay_alu instid0(SALU_CYCLE_1) | instskip(SKIP_3) | instid1(VALU_DEP_1)
	s_or_b32 exec_lo, exec_lo, s13
	s_trap 2
	ds_load_b64 v[4:5], v0
	v_sub_nc_u32_e32 v12, v1, v8
	v_min_i32_e32 v2, v2, v12
	s_wait_dscnt 0x0
	v_cmp_eq_u64_e32 vcc_lo, 0, v[4:5]
	s_cbranch_vccnz .LBB4_8895
; %bb.8888:                             ;   in Loop: Header=BB4_8825 Depth=2
	s_trap 2
	ds_load_b64 v[12:13], v0
	s_wait_dscnt 0x0
	v_cmp_eq_u64_e32 vcc_lo, 0, v[12:13]
	s_cbranch_vccnz .LBB4_8895
; %bb.8889:                             ;   in Loop: Header=BB4_8825 Depth=2
	s_mov_b32 s13, -1
	s_and_saveexec_b32 s42, s11
	s_cbranch_execz .LBB4_8891
; %bb.8890:                             ;   in Loop: Header=BB4_8825 Depth=2
	ds_load_b32 v14, v0 offset:720
	s_wait_dscnt 0x0
	v_and_b32_e32 v14, 15, v14
	s_delay_alu instid0(VALU_DEP_1)
	v_cmp_eq_u32_e32 vcc_lo, 0, v14
	s_or_not1_b32 s13, vcc_lo, exec_lo
.LBB4_8891:                             ;   in Loop: Header=BB4_8825 Depth=2
	s_or_b32 exec_lo, exec_lo, s42
	s_and_saveexec_b32 s42, s7
	s_cbranch_execz .LBB4_8893
; %bb.8892:                             ;   in Loop: Header=BB4_8825 Depth=2
	ds_load_b32 v14, v0 offset:784
	s_wait_dscnt 0x0
	v_and_b32_e32 v14, 15, v14
	s_delay_alu instid0(VALU_DEP_1) | instskip(SKIP_3) | instid1(SALU_CYCLE_1)
	v_cmp_eq_u32_e32 vcc_lo, 0, v14
	s_and_b32 s43, s13, vcc_lo
	s_and_not1_b32 s13, s13, exec_lo
	s_and_b32 s43, s43, exec_lo
	s_or_b32 s13, s13, s43
.LBB4_8893:                             ;   in Loop: Header=BB4_8825 Depth=2
	s_or_b32 exec_lo, exec_lo, s42
	v_cmp_eq_u32_e32 vcc_lo, 0, v9
	s_xor_b32 s13, s13, -1
	s_mov_b32 s43, -1
	v_cndmask_b32_e64 v14, 0, 1, s13
	v_dual_mov_b32 v16, 0 :: v_dual_cndmask_b32 v9, 0, v2
	v_mov_b32_e32 v18, v0
	s_delay_alu instid0(VALU_DEP_3) | instskip(NEXT) | instid1(VALU_DEP_3)
	v_cmp_ne_u32_e32 vcc_lo, 0, v14
	v_dual_mov_b32 v14, v119 :: v_dual_mov_b32 v17, v9
	s_cbranch_vccz .LBB4_8900
; %bb.8894:                             ;   in Loop: Header=BB4_8825 Depth=2
	s_and_saveexec_b32 s13, s43
	s_cbranch_execnz .LBB4_8913
	s_branch .LBB4_8921
.LBB4_8895:                             ;   in Loop: Header=BB4_8825 Depth=2
	s_mov_b32 s13, 0
	s_and_saveexec_b32 s42, s2
	s_cbranch_execnz .LBB4_8922
.LBB4_8896:                             ;   in Loop: Header=BB4_8825 Depth=2
	s_or_b32 exec_lo, exec_lo, s42
	s_and_saveexec_b32 s42, s10
	s_delay_alu instid0(SALU_CYCLE_1)
	s_xor_b32 s42, exec_lo, s42
	s_cbranch_execz .LBB4_8940
.LBB4_8897:                             ;   in Loop: Header=BB4_8825 Depth=2
	v_and_b32_e32 v4, 16, v126
	s_delay_alu instid0(VALU_DEP_1) | instskip(SKIP_1) | instid1(SALU_CYCLE_1)
	v_cmp_ne_u32_e32 vcc_lo, 0, v4
	s_and_b32 s43, vcc_lo, s13
	s_and_saveexec_b32 s13, s43
	s_cbranch_execz .LBB4_8899
; %bb.8898:                             ;   in Loop: Header=BB4_8825 Depth=2
	global_wb scope:SCOPE_SYS
	s_wait_storecnt 0x0
	s_wait_loadcnt_dscnt 0x0
	global_inv scope:SCOPE_SYS
.LBB4_8899:                             ;   in Loop: Header=BB4_8825 Depth=2
	s_or_b32 exec_lo, exec_lo, s13
	s_and_not1_saveexec_b32 s13, s42
	s_cbranch_execz .LBB4_8959
	s_branch .LBB4_8941
.LBB4_8900:                             ;   in Loop: Header=BB4_8825 Depth=2
	v_ashrrev_i32_e32 v14, 31, v9
	s_mov_b32 s13, exec_lo
	s_delay_alu instid0(VALU_DEP_1) | instskip(NEXT) | instid1(VALU_DEP_1)
	v_lshrrev_b32_e32 v14, 21, v14
	v_add_nc_u32_e32 v14, v9, v14
	s_delay_alu instid0(VALU_DEP_1) | instskip(NEXT) | instid1(VALU_DEP_1)
	v_ashrrev_i32_e32 v18, 11, v14
	v_sub_nc_u32_e32 v20, v18, v119
	s_delay_alu instid0(VALU_DEP_1)
	v_cmpx_lt_i32_e32 0, v20
	s_cbranch_execz .LBB4_8904
; %bb.8901:                             ;   in Loop: Header=BB4_8825 Depth=2
	v_mov_b64_e32 v[14:15], v[12:13]
	v_mov_b64_e32 v[16:17], v[4:5]
	s_mov_b32 s42, 0
.LBB4_8902:                             ;   Parent Loop BB4_47 Depth=1
                                        ;     Parent Loop BB4_8825 Depth=2
                                        ; =>    This Inner Loop Header: Depth=3
	s_delay_alu instid0(VALU_DEP_1)
	v_add_nc_u64_e32 v[30:31], v[98:99], v[16:17]
	v_sub_nc_u32_e32 v20, v20, v52
	v_add_nc_u64_e32 v[16:17], v[16:17], v[68:69]
	s_clause 0x2
	global_load_b128 v[22:25], v[30:31], off th:TH_LOAD_NT
	global_load_b128 v[26:29], v[30:31], off offset:512 th:TH_LOAD_NT
	global_load_b128 v[100:103], v[30:31], off offset:1024 th:TH_LOAD_NT
	s_wait_loadcnt 0x3
	global_load_b128 v[40:43], v[30:31], off offset:1536 th:TH_LOAD_NT
	s_wait_xcnt 0x0
	v_add_nc_u64_e32 v[30:31], v[98:99], v[14:15]
	v_cmp_gt_i32_e32 vcc_lo, 1, v20
	v_add_nc_u64_e32 v[14:15], v[14:15], v[68:69]
	s_wait_loadcnt 0x3
	global_store_b128 v[30:31], v[22:25], off th:TH_STORE_NT
	s_wait_loadcnt 0x2
	global_store_b128 v[30:31], v[26:29], off offset:512 th:TH_STORE_NT
	s_wait_loadcnt 0x1
	global_store_b128 v[30:31], v[100:103], off offset:1024 th:TH_STORE_NT
	;; [unrolled: 2-line block ×3, first 2 shown]
	s_or_b32 s42, vcc_lo, s42
	s_wait_xcnt 0x0
	s_and_not1_b32 exec_lo, exec_lo, s42
	s_cbranch_execnz .LBB4_8902
; %bb.8903:                             ;   in Loop: Header=BB4_8825 Depth=2
	s_or_b32 exec_lo, exec_lo, s42
	s_clause 0x1
	scratch_load_b64 v[40:41], off, s33 offset:232
	scratch_load_b64 v[42:43], off, s33 offset:240
.LBB4_8904:                             ;   in Loop: Header=BB4_8825 Depth=2
	s_wait_xcnt 0x0
	s_or_b32 exec_lo, exec_lo, s13
	v_dual_mov_b32 v16, 0 :: v_dual_lshlrev_b32 v19, 11, v18
	s_mov_b32 s43, 0
	s_mov_b32 s42, exec_lo
                                        ; implicit-def: $vgpr17
                                        ; implicit-def: $vgpr18
                                        ; implicit-def: $vgpr14
	s_delay_alu instid0(VALU_DEP_1)
	v_cmpx_ne_u32_e64 v9, v19
	s_cbranch_execz .LBB4_8912
; %bb.8905:                             ;   in Loop: Header=BB4_8825 Depth=2
	scratch_load_b32 v15, off, s33 offset:196 ; 4-byte Folded Reload
	v_dual_lshlrev_b32 v14, 5, v20 :: v_dual_sub_nc_u32 v16, v9, v19
	s_mov_b32 s43, exec_lo
	s_delay_alu instid0(VALU_DEP_1) | instskip(SKIP_1) | instid1(VALU_DEP_1)
	v_ashrrev_i32_e32 v17, 31, v16
	s_wait_loadcnt 0x0
	v_dual_lshrrev_b32 v17, 23, v17 :: v_dual_sub_nc_u32 v14, v15, v14
	s_delay_alu instid0(VALU_DEP_1) | instskip(NEXT) | instid1(VALU_DEP_1)
	v_ashrrev_i32_e32 v15, 31, v14
	v_lshrrev_b32_e32 v15, 27, v15
	s_delay_alu instid0(VALU_DEP_1) | instskip(NEXT) | instid1(VALU_DEP_1)
	v_add_nc_u32_e32 v15, v14, v15
	v_and_b32_e32 v18, 0xffffffe0, v15
	s_delay_alu instid0(VALU_DEP_1) | instskip(NEXT) | instid1(VALU_DEP_1)
	v_dual_add_nc_u32 v17, v16, v17 :: v_dual_sub_nc_u32 v21, v14, v18
	v_and_b32_e32 v20, 0xfffffe00, v17
	v_dual_ashrrev_i32 v15, 5, v15 :: v_dual_ashrrev_i32 v17, 9, v17
	s_delay_alu instid0(VALU_DEP_2) | instskip(NEXT) | instid1(VALU_DEP_1)
	v_dual_lshlrev_b32 v14, 4, v21 :: v_dual_sub_nc_u32 v22, v16, v20
	v_lshl_add_u32 v14, v15, 9, v14
	s_delay_alu instid0(VALU_DEP_2) | instskip(NEXT) | instid1(VALU_DEP_4)
	v_cmp_lt_i32_e32 vcc_lo, 15, v22
	v_add_co_ci_u32_e64 v17, null, 0, v17, vcc_lo
	s_delay_alu instid0(VALU_DEP_1) | instskip(SKIP_1) | instid1(VALU_DEP_1)
	v_dual_sub_nc_u32 v16, v16, v14 :: v_dual_sub_nc_u32 v23, v17, v15
	s_wait_xcnt 0x0
	v_cmpx_lt_i32_e32 15, v16
	s_cbranch_execz .LBB4_8909
; %bb.8906:                             ;   in Loop: Header=BB4_8825 Depth=2
	v_add_nc_u32_e32 v14, v14, v19
	s_mov_b32 s62, 0
	s_delay_alu instid0(VALU_DEP_1)
	v_ashrrev_i32_e32 v15, 31, v14
.LBB4_8907:                             ;   Parent Loop BB4_47 Depth=1
                                        ;     Parent Loop BB4_8825 Depth=2
                                        ; =>    This Inner Loop Header: Depth=3
	s_delay_alu instid0(VALU_DEP_1) | instskip(SKIP_3) | instid1(VALU_DEP_3)
	v_add_nc_u64_e32 v[24:25], v[4:5], v[14:15]
	v_dual_sub_nc_u32 v16, v16, v70 :: v_dual_sub_nc_u32 v23, v23, v52
	v_add_nc_u64_e32 v[28:29], v[12:13], v[14:15]
	v_add_nc_u64_e32 v[14:15], v[14:15], v[70:71]
	v_cmp_gt_i32_e64 s13, 16, v16
	global_load_b128 v[24:27], v[24:25], off th:TH_LOAD_NT
	s_or_b32 s62, s13, s62
	s_wait_loadcnt 0x0
	global_store_b128 v[28:29], v[24:27], off th:TH_STORE_NT
	s_wait_xcnt 0x0
	s_and_not1_b32 exec_lo, exec_lo, s62
	s_cbranch_execnz .LBB4_8907
; %bb.8908:                             ;   in Loop: Header=BB4_8825 Depth=2
	s_or_b32 exec_lo, exec_lo, s62
.LBB4_8909:                             ;   in Loop: Header=BB4_8825 Depth=2
	s_delay_alu instid0(SALU_CYCLE_1) | instskip(SKIP_3) | instid1(VALU_DEP_1)
	s_or_b32 exec_lo, exec_lo, s43
	v_dual_mov_b32 v16, 0 :: v_dual_bitop2_b32 v15, 15, v9 bitop3:0x40
	s_mov_b32 s43, 0
	s_mov_b32 s62, exec_lo
                                        ; implicit-def: $vgpr18
                                        ; implicit-def: $vgpr14
	v_cndmask_b32_e32 v17, v22, v15, vcc_lo
	s_delay_alu instid0(VALU_DEP_1)
	v_cmpx_ne_u32_e32 0, v17
	s_cbranch_execz .LBB4_8911
; %bb.8910:                             ;   in Loop: Header=BB4_8825 Depth=2
	v_cmp_lt_i32_e64 s13, 0, v23
	s_mov_b32 s43, exec_lo
	v_dual_sub_nc_u32 v15, v22, v15 :: v_dual_cndmask_b32 v14, 0, v52, s13
	s_delay_alu instid0(VALU_DEP_1) | instskip(NEXT) | instid1(VALU_DEP_2)
	v_cndmask_b32_e32 v15, 0, v15, vcc_lo
	v_sub_nc_u32_e32 v14, v14, v23
	s_delay_alu instid0(VALU_DEP_2) | instskip(NEXT) | instid1(VALU_DEP_2)
	v_add3_u32 v16, v20, v19, v15
	v_lshl_add_u32 v18, v14, 5, v21
	s_delay_alu instid0(VALU_DEP_1) | instskip(NEXT) | instid1(VALU_DEP_1)
	v_ashrrev_i32_e32 v14, 31, v18
	v_lshrrev_b32_e32 v14, 27, v14
	s_delay_alu instid0(VALU_DEP_1) | instskip(NEXT) | instid1(VALU_DEP_1)
	v_add_nc_u32_e32 v14, v18, v14
	v_ashrrev_i32_e32 v14, 5, v14
.LBB4_8911:                             ;   in Loop: Header=BB4_8825 Depth=2
	s_or_b32 exec_lo, exec_lo, s62
	s_delay_alu instid0(SALU_CYCLE_1)
	s_and_b32 s43, s43, exec_lo
.LBB4_8912:                             ;   in Loop: Header=BB4_8825 Depth=2
	s_or_b32 exec_lo, exec_lo, s42
	s_and_saveexec_b32 s13, s43
	s_cbranch_execz .LBB4_8921
.LBB4_8913:                             ;   in Loop: Header=BB4_8825 Depth=2
	v_ashrrev_i32_e32 v15, 31, v17
	s_mov_b32 s42, exec_lo
	s_delay_alu instid0(VALU_DEP_1) | instskip(NEXT) | instid1(VALU_DEP_1)
	v_lshrrev_b32_e32 v15, 23, v15
	v_add_nc_u32_e32 v15, v17, v15
	s_delay_alu instid0(VALU_DEP_1) | instskip(NEXT) | instid1(VALU_DEP_1)
	v_dual_ashrrev_i32 v21, 9, v15 :: v_dual_ashrrev_i32 v15, 31, v18
	v_dual_sub_nc_u32 v19, v21, v14 :: v_dual_lshrrev_b32 v20, 27, v15
	s_delay_alu instid0(VALU_DEP_1)
	v_cmpx_lt_i32_e32 0, v19
	s_cbranch_execz .LBB4_8917
; %bb.8914:                             ;   in Loop: Header=BB4_8825 Depth=2
	s_delay_alu instid0(VALU_DEP_2) | instskip(SKIP_1) | instid1(VALU_DEP_1)
	v_dual_add_nc_u32 v15, v18, v20 :: v_dual_lshlrev_b32 v14, 9, v14
	s_mov_b32 s43, 0
	v_and_b32_e32 v15, 0xffffffe0, v15
	s_delay_alu instid0(VALU_DEP_1) | instskip(NEXT) | instid1(VALU_DEP_1)
	v_sub_nc_u32_e32 v15, v18, v15
	v_add3_u32 v14, v16, v15, v14
	s_delay_alu instid0(VALU_DEP_1)
	v_ashrrev_i32_e32 v15, 31, v14
.LBB4_8915:                             ;   Parent Loop BB4_47 Depth=1
                                        ;     Parent Loop BB4_8825 Depth=2
                                        ; =>    This Inner Loop Header: Depth=3
	s_delay_alu instid0(VALU_DEP_1)
	v_add_nc_u64_e32 v[22:23], v[14:15], v[4:5]
	v_sub_nc_u32_e32 v19, v19, v52
	v_add_nc_u64_e32 v[4:5], v[4:5], v[70:71]
	s_clause 0xf
	flat_load_u8 v24, v[22:23] th:TH_LOAD_NT
	flat_load_u8 v25, v[22:23] offset:32 th:TH_LOAD_NT
	flat_load_u8 v26, v[22:23] offset:64 th:TH_LOAD_NT
	;; [unrolled: 1-line block ×15, first 2 shown]
	s_wait_xcnt 0x0
	v_add_nc_u64_e32 v[22:23], v[14:15], v[12:13]
	v_add_nc_u64_e32 v[12:13], v[12:13], v[70:71]
	v_cmp_gt_i32_e32 vcc_lo, 1, v19
	s_wait_loadcnt_dscnt 0xf0f
	flat_store_b8 v[22:23], v24 th:TH_STORE_NT
	s_wait_loadcnt_dscnt 0xe0f
	flat_store_b8 v[22:23], v25 offset:32 th:TH_STORE_NT
	s_wait_loadcnt_dscnt 0xd0f
	flat_store_b8 v[22:23], v26 offset:64 th:TH_STORE_NT
	;; [unrolled: 2-line block ×15, first 2 shown]
	s_or_b32 s43, vcc_lo, s43
	s_wait_xcnt 0x0
	s_and_not1_b32 exec_lo, exec_lo, s43
	s_cbranch_execnz .LBB4_8915
; %bb.8916:                             ;   in Loop: Header=BB4_8825 Depth=2
	s_or_b32 exec_lo, exec_lo, s43
.LBB4_8917:                             ;   in Loop: Header=BB4_8825 Depth=2
	s_delay_alu instid0(SALU_CYCLE_1) | instskip(SKIP_1) | instid1(VALU_DEP_1)
	s_or_b32 exec_lo, exec_lo, s42
	v_lshlrev_b32_e32 v4, 9, v21
	v_cmp_ne_u32_e32 vcc_lo, v17, v4
	s_and_b32 exec_lo, exec_lo, vcc_lo
	s_cbranch_execz .LBB4_8921
; %bb.8918:                             ;   in Loop: Header=BB4_8825 Depth=2
	v_dual_add_nc_u32 v5, v18, v20 :: v_dual_lshlrev_b32 v12, 5, v19
	s_delay_alu instid0(VALU_DEP_1) | instskip(NEXT) | instid1(VALU_DEP_1)
	v_and_b32_e32 v5, 0xffffffe0, v5
	v_sub_nc_u32_e32 v5, v18, v5
	s_delay_alu instid0(VALU_DEP_1) | instskip(NEXT) | instid1(VALU_DEP_1)
	v_sub_nc_u32_e32 v5, v5, v12
	v_add_nc_u32_e32 v12, v4, v5
	s_delay_alu instid0(VALU_DEP_1) | instskip(NEXT) | instid1(VALU_DEP_1)
	v_sub_nc_u32_e32 v14, v17, v12
	v_cmp_lt_i32_e32 vcc_lo, 0, v14
	s_and_b32 exec_lo, exec_lo, vcc_lo
	s_cbranch_execz .LBB4_8921
; %bb.8919:                             ;   in Loop: Header=BB4_8825 Depth=2
	s_trap 2
	ds_load_b64 v[4:5], v0
	v_add_nc_u32_e32 v12, v12, v16
	s_mov_b32 s42, 0
	s_delay_alu instid0(VALU_DEP_1)
	v_ashrrev_i32_e32 v13, 31, v12
.LBB4_8920:                             ;   Parent Loop BB4_47 Depth=1
                                        ;     Parent Loop BB4_8825 Depth=2
                                        ; =>    This Inner Loop Header: Depth=3
	s_wait_dscnt 0x0
	s_delay_alu instid0(VALU_DEP_1) | instskip(SKIP_2) | instid1(VALU_DEP_2)
	v_add_nc_u64_e32 v[16:17], v[4:5], v[12:13]
	v_sub_nc_u32_e32 v14, v14, v54
	v_add_nc_u64_e32 v[12:13], v[12:13], v[54:55]
	v_cmp_gt_i32_e32 vcc_lo, 1, v14
	flat_load_u8 v15, v[16:17] th:TH_LOAD_NT
	s_or_b32 s42, vcc_lo, s42
	s_wait_loadcnt_dscnt 0x0
	flat_store_b8 v[16:17], v15 th:TH_STORE_NT
	s_wait_xcnt 0x0
	s_and_not1_b32 exec_lo, exec_lo, s42
	s_cbranch_execnz .LBB4_8920
.LBB4_8921:                             ;   in Loop: Header=BB4_8825 Depth=2
	s_or_b32 exec_lo, exec_lo, s13
	v_cmp_lt_i32_e64 s13, 0, v9
	s_and_saveexec_b32 s42, s2
	s_cbranch_execz .LBB4_8896
.LBB4_8922:                             ;   in Loop: Header=BB4_8825 Depth=2
	s_and_saveexec_b32 s43, s3
	s_delay_alu instid0(SALU_CYCLE_1)
	s_xor_b32 s43, exec_lo, s43
	s_cbranch_execz .LBB4_8937
; %bb.8923:                             ;   in Loop: Header=BB4_8825 Depth=2
	s_and_saveexec_b32 s62, s6
	s_cbranch_execz .LBB4_8936
; %bb.8924:                             ;   in Loop: Header=BB4_8825 Depth=2
	s_mov_b32 s72, exec_lo
	s_mov_b32 s63, exec_lo
	v_mbcnt_lo_u32_b32 v4, s72, 0
	global_wb scope:SCOPE_DEV
	s_wait_storecnt 0x0
	s_wait_loadcnt_dscnt 0x0
	global_inv scope:SCOPE_DEV
	v_cmpx_eq_u32_e32 0, v4
	s_cbranch_execz .LBB4_8926
; %bb.8925:                             ;   in Loop: Header=BB4_8825 Depth=2
	s_bcnt1_i32_b32 s72, s72
	s_delay_alu instid0(SALU_CYCLE_1)
	v_dual_mov_b32 v5, v3 :: v_dual_mov_b32 v4, s72
	s_wait_loadcnt 0x0
	ds_add_u64 v0, v[4:5]
	s_trap 2
.LBB4_8926:                             ;   in Loop: Header=BB4_8825 Depth=2
	s_or_b32 exec_lo, exec_lo, s63
	s_trap 2
	ds_load_b64 v[4:5], v0
	s_wait_dscnt 0x0
	v_add_nc_u64_e32 v[48:49], v[48:49], v[52:53]
	s_mov_b32 s63, exec_lo
	s_delay_alu instid0(VALU_DEP_1)
	v_cmpx_lt_u64_e64 v[4:5], v[48:49]
	s_cbranch_execz .LBB4_8935
; %bb.8927:                             ;   in Loop: Header=BB4_8825 Depth=2
	s_mov_b32 s72, 0
	s_mov_b32 s75, 0
                                        ; implicit-def: $sgpr73
                                        ; implicit-def: $sgpr74
	s_branch .LBB4_8929
.LBB4_8928:                             ;   in Loop: Header=BB4_8929 Depth=3
	s_or_b32 exec_lo, exec_lo, s77
	s_delay_alu instid0(SALU_CYCLE_1) | instskip(NEXT) | instid1(SALU_CYCLE_1)
	s_and_b32 s76, exec_lo, s78
	s_or_b32 s72, s76, s72
	s_and_not1_b32 s73, s73, exec_lo
	s_and_b32 s76, s74, exec_lo
	s_delay_alu instid0(SALU_CYCLE_1)
	s_or_b32 s73, s73, s76
	s_and_not1_b32 exec_lo, exec_lo, s72
	s_cbranch_execz .LBB4_8933
.LBB4_8929:                             ;   Parent Loop BB4_47 Depth=1
                                        ;     Parent Loop BB4_8825 Depth=2
                                        ; =>    This Inner Loop Header: Depth=3
	s_add_co_i32 s75, s75, 1
	s_delay_alu instid0(SALU_CYCLE_1) | instskip(SKIP_1) | instid1(SALU_CYCLE_1)
	s_cmp_lg_u32 s75, 0x2710
	s_cselect_b32 s76, -1, 0
	s_and_b32 vcc_lo, exec_lo, s76
	s_cbranch_vccz .LBB4_8931
; %bb.8930:                             ;   in Loop: Header=BB4_8929 Depth=3
	s_mov_b32 s78, -1
	s_or_b32 s74, s74, exec_lo
	s_and_saveexec_b32 s77, s76
	s_cbranch_execz .LBB4_8928
	s_branch .LBB4_8932
.LBB4_8931:                             ;   in Loop: Header=BB4_8929 Depth=3
	s_trap 2
	ds_load_b64 v[4:5], v0
	s_and_not1_b32 s76, s76, exec_lo
	s_mov_b32 s75, 0
	s_wait_loadcnt_dscnt 0x0
	flat_load_b32 v4, v[4:5] scope:SCOPE_SYS
	s_wait_loadcnt_dscnt 0x0
	global_inv scope:SCOPE_SYS
	v_cmp_eq_u32_e32 vcc_lo, 0, v4
	s_and_b32 s77, vcc_lo, exec_lo
	s_delay_alu instid0(SALU_CYCLE_1)
	s_or_b32 s76, s76, s77
	s_mov_b32 s78, -1
	s_or_b32 s74, s74, exec_lo
	s_wait_xcnt 0x0
	s_and_saveexec_b32 s77, s76
	s_cbranch_execz .LBB4_8928
.LBB4_8932:                             ;   in Loop: Header=BB4_8929 Depth=3
	s_sleep 1
	s_trap 2
	ds_load_b64 v[4:5], v0
	s_wait_dscnt 0x0
	s_and_not1_b32 s74, s74, exec_lo
	v_cmp_ge_u64_e32 vcc_lo, v[4:5], v[48:49]
	s_or_not1_b32 s78, vcc_lo, exec_lo
	s_branch .LBB4_8928
.LBB4_8933:                             ;   in Loop: Header=BB4_8825 Depth=2
	s_or_b32 exec_lo, exec_lo, s72
	s_and_saveexec_b32 s72, s73
	s_delay_alu instid0(SALU_CYCLE_1)
	s_xor_b32 s72, exec_lo, s72
	s_cbranch_execz .LBB4_8935
; %bb.8934:                             ;   in Loop: Header=BB4_8825 Depth=2
	ds_store_b32 v0, v64
	s_trap 2
.LBB4_8935:                             ;   in Loop: Header=BB4_8825 Depth=2
	s_or_b32 exec_lo, exec_lo, s63
	;;#ASMSTART
	s_wakeup
	;;#ASMEND
.LBB4_8936:                             ;   in Loop: Header=BB4_8825 Depth=2
	s_or_b32 exec_lo, exec_lo, s62
.LBB4_8937:                             ;   in Loop: Header=BB4_8825 Depth=2
	s_and_not1_saveexec_b32 s43, s43
	s_cbranch_execz .LBB4_8939
; %bb.8938:                             ;   in Loop: Header=BB4_8825 Depth=2
	global_wb scope:SCOPE_DEV
	s_wait_storecnt 0x0
	s_wait_loadcnt_dscnt 0x0
	global_inv scope:SCOPE_DEV
	s_barrier_signal -1
	s_barrier_wait -1
.LBB4_8939:                             ;   in Loop: Header=BB4_8825 Depth=2
	s_or_b32 exec_lo, exec_lo, s43
	s_delay_alu instid0(SALU_CYCLE_1) | instskip(SKIP_1) | instid1(SALU_CYCLE_1)
	s_or_b32 exec_lo, exec_lo, s42
	s_and_saveexec_b32 s42, s10
	s_xor_b32 s42, exec_lo, s42
	s_cbranch_execnz .LBB4_8897
.LBB4_8940:                             ;   in Loop: Header=BB4_8825 Depth=2
	s_and_not1_saveexec_b32 s13, s42
	s_cbranch_execz .LBB4_8959
.LBB4_8941:                             ;   in Loop: Header=BB4_8825 Depth=2
	s_and_saveexec_b32 s42, s3
	s_delay_alu instid0(SALU_CYCLE_1)
	s_xor_b32 s42, exec_lo, s42
	s_cbranch_execz .LBB4_8956
; %bb.8942:                             ;   in Loop: Header=BB4_8825 Depth=2
	s_and_saveexec_b32 s43, s6
	s_cbranch_execz .LBB4_8955
; %bb.8943:                             ;   in Loop: Header=BB4_8825 Depth=2
	s_mov_b32 s63, exec_lo
	s_mov_b32 s62, exec_lo
	v_mbcnt_lo_u32_b32 v4, s63, 0
	;;#ASMSTART
	s_waitcnt lgkmcnt(0) vmcnt(0)
	;;#ASMEND
	s_delay_alu instid0(VALU_DEP_1)
	v_cmpx_eq_u32_e32 0, v4
	s_cbranch_execz .LBB4_8945
; %bb.8944:                             ;   in Loop: Header=BB4_8825 Depth=2
	s_bcnt1_i32_b32 s63, s63
	s_delay_alu instid0(SALU_CYCLE_1)
	v_dual_mov_b32 v5, v3 :: v_dual_mov_b32 v4, s63
	s_wait_storecnt 0x0
	s_wait_loadcnt_dscnt 0x0
	ds_add_u64 v0, v[4:5]
	s_trap 2
.LBB4_8945:                             ;   in Loop: Header=BB4_8825 Depth=2
	s_or_b32 exec_lo, exec_lo, s62
	s_trap 2
	ds_load_b64 v[4:5], v0
	s_wait_dscnt 0x0
	v_add_nc_u64_e32 v[48:49], v[48:49], v[52:53]
	s_mov_b32 s62, exec_lo
	s_delay_alu instid0(VALU_DEP_1)
	v_cmpx_lt_u64_e64 v[4:5], v[48:49]
	s_cbranch_execz .LBB4_8954
; %bb.8946:                             ;   in Loop: Header=BB4_8825 Depth=2
	s_mov_b32 s63, 0
	s_mov_b32 s74, 0
                                        ; implicit-def: $sgpr72
                                        ; implicit-def: $sgpr73
	s_branch .LBB4_8948
.LBB4_8947:                             ;   in Loop: Header=BB4_8948 Depth=3
	s_or_b32 exec_lo, exec_lo, s76
	s_delay_alu instid0(SALU_CYCLE_1) | instskip(NEXT) | instid1(SALU_CYCLE_1)
	s_and_b32 s75, exec_lo, s77
	s_or_b32 s63, s75, s63
	s_and_not1_b32 s72, s72, exec_lo
	s_and_b32 s75, s73, exec_lo
	s_delay_alu instid0(SALU_CYCLE_1)
	s_or_b32 s72, s72, s75
	s_and_not1_b32 exec_lo, exec_lo, s63
	s_cbranch_execz .LBB4_8952
.LBB4_8948:                             ;   Parent Loop BB4_47 Depth=1
                                        ;     Parent Loop BB4_8825 Depth=2
                                        ; =>    This Inner Loop Header: Depth=3
	s_add_co_i32 s74, s74, 1
	s_delay_alu instid0(SALU_CYCLE_1) | instskip(SKIP_1) | instid1(SALU_CYCLE_1)
	s_cmp_lg_u32 s74, 0x2710
	s_cselect_b32 s75, -1, 0
	s_and_b32 vcc_lo, exec_lo, s75
	s_cbranch_vccz .LBB4_8950
; %bb.8949:                             ;   in Loop: Header=BB4_8948 Depth=3
	s_mov_b32 s77, -1
	s_or_b32 s73, s73, exec_lo
	s_and_saveexec_b32 s76, s75
	s_cbranch_execz .LBB4_8947
	s_branch .LBB4_8951
.LBB4_8950:                             ;   in Loop: Header=BB4_8948 Depth=3
	s_trap 2
	ds_load_b64 v[4:5], v0
	s_and_not1_b32 s75, s75, exec_lo
	s_mov_b32 s74, 0
	s_wait_storecnt 0x0
	s_wait_loadcnt_dscnt 0x0
	flat_load_b32 v4, v[4:5] scope:SCOPE_SYS
	s_wait_loadcnt_dscnt 0x0
	global_inv scope:SCOPE_SYS
	v_cmp_eq_u32_e32 vcc_lo, 0, v4
	s_and_b32 s76, vcc_lo, exec_lo
	s_delay_alu instid0(SALU_CYCLE_1)
	s_or_b32 s75, s75, s76
	s_mov_b32 s77, -1
	s_or_b32 s73, s73, exec_lo
	s_wait_xcnt 0x0
	s_and_saveexec_b32 s76, s75
	s_cbranch_execz .LBB4_8947
.LBB4_8951:                             ;   in Loop: Header=BB4_8948 Depth=3
	s_sleep 1
	s_trap 2
	ds_load_b64 v[4:5], v0
	s_wait_dscnt 0x0
	s_and_not1_b32 s73, s73, exec_lo
	v_cmp_ge_u64_e32 vcc_lo, v[4:5], v[48:49]
	s_or_not1_b32 s77, vcc_lo, exec_lo
	s_branch .LBB4_8947
.LBB4_8952:                             ;   in Loop: Header=BB4_8825 Depth=2
	s_or_b32 exec_lo, exec_lo, s63
	s_and_saveexec_b32 s63, s72
	s_delay_alu instid0(SALU_CYCLE_1)
	s_xor_b32 s63, exec_lo, s63
	s_cbranch_execz .LBB4_8954
; %bb.8953:                             ;   in Loop: Header=BB4_8825 Depth=2
	ds_store_b32 v0, v64
	s_trap 2
.LBB4_8954:                             ;   in Loop: Header=BB4_8825 Depth=2
	s_or_b32 exec_lo, exec_lo, s62
	;;#ASMSTART
	s_wakeup
	;;#ASMEND
.LBB4_8955:                             ;   in Loop: Header=BB4_8825 Depth=2
	s_or_b32 exec_lo, exec_lo, s43
.LBB4_8956:                             ;   in Loop: Header=BB4_8825 Depth=2
	s_and_not1_saveexec_b32 s42, s42
	s_cbranch_execz .LBB4_8958
; %bb.8957:                             ;   in Loop: Header=BB4_8825 Depth=2
	;;#ASMSTART
	s_waitcnt lgkmcnt(0) vmcnt(0)
	;;#ASMEND
	s_barrier_signal -1
	s_barrier_wait -1
.LBB4_8958:                             ;   in Loop: Header=BB4_8825 Depth=2
	s_or_b32 exec_lo, exec_lo, s42
.LBB4_8959:                             ;   in Loop: Header=BB4_8825 Depth=2
	s_delay_alu instid0(SALU_CYCLE_1) | instskip(SKIP_2) | instid1(VALU_DEP_1)
	s_or_b32 exec_lo, exec_lo, s13
	v_and_b32_e32 v4, 32, v126
	s_mov_b32 s13, exec_lo
	v_cmpx_ne_u32_e32 0, v4
	s_cbranch_execz .LBB4_8824
; %bb.8960:                             ;   in Loop: Header=BB4_8825 Depth=2
	v_add_nc_u64_e32 v[114:115], 2, v[114:115]
	global_wb scope:SCOPE_SYS
	s_wait_storecnt 0x0
	s_wait_loadcnt_dscnt 0x0
	flat_store_b64 v[32:33], v[114:115] scope:SCOPE_SYS
	s_branch .LBB4_8824
.LBB4_8961:                             ;   in Loop: Header=BB4_47 Depth=1
	s_or_b32 exec_lo, exec_lo, s15
.LBB4_8962:                             ;   in Loop: Header=BB4_47 Depth=1
	s_delay_alu instid0(SALU_CYCLE_1) | instskip(NEXT) | instid1(SALU_CYCLE_1)
	s_or_b32 exec_lo, exec_lo, s14
	s_mov_b32 s14, exec_lo
	v_cmpx_gt_i32_e32 2, v9
	s_cbranch_execnz .LBB4_8963
; %bb.9095:                             ;   in Loop: Header=BB4_47 Depth=1
	s_add_pc_i64 .LBB4_46-.Lpost_addpc18
.Lpost_addpc18:
.LBB4_8963:                             ;   in Loop: Header=BB4_47 Depth=1
	v_cmp_eq_u32_e64 s18, 0, v9
	s_mov_b32 s15, 0
	s_branch .LBB4_8965
.LBB4_8964:                             ;   in Loop: Header=BB4_8965 Depth=2
	s_wait_xcnt 0x0
	s_or_b32 exec_lo, exec_lo, s13
	v_add_nc_u32_e32 v8, v2, v8
	s_mov_b32 s18, 0
	s_and_not1_b32 exec_lo, exec_lo, s15
	s_cbranch_execnz .LBB4_8965
; %bb.9097:                             ;   in Loop: Header=BB4_47 Depth=1
	s_add_pc_i64 .LBB4_45-.Lpost_addpc19
.Lpost_addpc19:
.LBB4_8965:                             ;   Parent Loop BB4_47 Depth=1
                                        ; =>  This Loop Header: Depth=2
                                        ;       Child Loop BB4_8971 Depth 3
                                        ;       Child Loop BB4_8995 Depth 3
	;; [unrolled: 1-line block ×3, first 2 shown]
	v_and_b32_e32 v4, 4, v126
	s_mov_b32 s29, exec_lo
	s_delay_alu instid0(VALU_DEP_1)
	v_cmpx_ne_u32_e32 0, v4
	s_cbranch_execz .LBB4_8987
; %bb.8966:                             ;   in Loop: Header=BB4_8965 Depth=2
	v_add_nc_u64_e32 v[4:5], 2, v[114:115]
	s_mov_b32 s42, exec_lo
	s_wait_loadcnt_dscnt 0x1
	s_delay_alu instid0(VALU_DEP_1)
	v_cmpx_lt_u64_e64 v[50:51], v[4:5]
	s_cbranch_execz .LBB4_8978
; %bb.8967:                             ;   in Loop: Header=BB4_8965 Depth=2
	v_and_b32_e32 v9, 64, v126
	s_mov_b32 s43, 0
	s_mov_b32 s73, 0
                                        ; implicit-def: $sgpr62
                                        ; implicit-def: $sgpr63
                                        ; implicit-def: $sgpr72
	s_delay_alu instid0(VALU_DEP_1)
	v_cmp_eq_u32_e32 vcc_lo, 0, v9
	s_branch .LBB4_8971
.LBB4_8968:                             ;   in Loop: Header=BB4_8971 Depth=3
	s_wait_loadcnt_dscnt 0x0
	v_cmp_ge_u64_e64 s13, v[50:51], v[4:5]
	s_or_b32 s76, s76, exec_lo
	s_or_not1_b32 s75, s13, exec_lo
.LBB4_8969:                             ;   in Loop: Header=BB4_8971 Depth=3
	s_or_b32 exec_lo, exec_lo, s78
	s_delay_alu instid0(SALU_CYCLE_1)
	s_and_not1_b32 s13, s72, exec_lo
	s_and_b32 s72, s76, exec_lo
	s_and_not1_b32 s63, s63, exec_lo
	s_and_b32 s75, s75, exec_lo
	s_or_b32 s72, s13, s72
	s_or_b32 s63, s63, s75
.LBB4_8970:                             ;   in Loop: Header=BB4_8971 Depth=3
	s_or_b32 exec_lo, exec_lo, s74
	s_delay_alu instid0(SALU_CYCLE_1) | instskip(NEXT) | instid1(SALU_CYCLE_1)
	s_and_b32 s13, exec_lo, s63
	s_or_b32 s43, s13, s43
	s_and_not1_b32 s13, s62, exec_lo
	s_and_b32 s62, s72, exec_lo
	s_delay_alu instid0(SALU_CYCLE_1)
	s_or_b32 s62, s13, s62
	s_and_not1_b32 exec_lo, exec_lo, s43
	s_cbranch_execz .LBB4_8975
.LBB4_8971:                             ;   Parent Loop BB4_47 Depth=1
                                        ;     Parent Loop BB4_8965 Depth=2
                                        ; =>    This Inner Loop Header: Depth=3
	s_sleep 1
	s_wait_loadcnt_dscnt 0x0
	flat_load_b64 v[50:51], v[32:33] scope:SCOPE_SYS
	s_or_b32 s72, s72, exec_lo
	s_or_b32 s63, s63, exec_lo
                                        ; implicit-def: $vgpr9
	s_wait_xcnt 0x0
	s_and_saveexec_b32 s74, vcc_lo
	s_cbranch_execz .LBB4_8970
; %bb.8972:                             ;   in Loop: Header=BB4_8971 Depth=3
	s_cmp_lt_i32 s73, 0x270f
	s_mov_b32 s75, -1
	s_cselect_b32 s77, -1, 0
	s_cmp_gt_i32 s73, 0x270e
	s_cbranch_scc0 .LBB4_8974
; %bb.8973:                             ;   in Loop: Header=BB4_8971 Depth=3
	s_trap 2
	ds_load_b64 v[10:11], v0
	s_and_not1_b32 s73, s77, exec_lo
	s_mov_b32 s76, 0
	s_wait_storecnt 0x0
	s_wait_loadcnt_dscnt 0x0
	flat_load_b32 v9, v[10:11] scope:SCOPE_SYS
	s_wait_loadcnt_dscnt 0x0
	global_inv scope:SCOPE_SYS
	v_cmp_eq_u32_e64 s13, 0, v9
	s_and_b32 s13, s13, exec_lo
	s_delay_alu instid0(SALU_CYCLE_1)
	s_or_b32 s77, s73, s13
	s_mov_b32 s73, 0
	s_wait_xcnt 0x0
	s_and_saveexec_b32 s78, s77
	s_cbranch_execz .LBB4_8969
	s_branch .LBB4_8968
.LBB4_8974:                             ;   in Loop: Header=BB4_8971 Depth=3
	s_add_co_i32 s73, s73, 1
	s_mov_b32 s76, -1
                                        ; implicit-def: $vgpr9
	s_and_saveexec_b32 s78, s77
	s_cbranch_execz .LBB4_8969
	s_branch .LBB4_8968
.LBB4_8975:                             ;   in Loop: Header=BB4_8965 Depth=2
	s_or_b32 exec_lo, exec_lo, s43
	s_xor_b32 s13, s62, -1
	s_delay_alu instid0(SALU_CYCLE_1) | instskip(NEXT) | instid1(SALU_CYCLE_1)
	s_and_saveexec_b32 s43, s13
	s_xor_b32 s13, exec_lo, s43
	s_cbranch_execz .LBB4_8977
; %bb.8976:                             ;   in Loop: Header=BB4_8965 Depth=2
	v_or_b32_e32 v126, 64, v126
	s_wait_storecnt 0x0
	s_wait_loadcnt_dscnt 0x0
	ds_store_b32 v0, v9
	s_trap 2
.LBB4_8977:                             ;   in Loop: Header=BB4_8965 Depth=2
	s_or_b32 exec_lo, exec_lo, s13
.LBB4_8978:                             ;   in Loop: Header=BB4_8965 Depth=2
	s_delay_alu instid0(SALU_CYCLE_1)
	s_or_b32 exec_lo, exec_lo, s42
	v_and_b32_e32 v9, 0x100, v126
	v_dual_mov_b32 v11, v3 :: v_dual_bitop2_b32 v10, 7, v114 bitop3:0x40
	s_mov_b32 s13, -1
	s_mov_b32 s42, exec_lo
	;;#ASMSTART
	s_wakeup
	;;#ASMEND
                                        ; implicit-def: $vgpr12_vgpr13
	v_cmpx_ne_u32_e32 0, v9
	s_cbranch_execz .LBB4_8982
; %bb.8979:                             ;   in Loop: Header=BB4_8965 Depth=2
	v_mad_nc_u64_u32 v[14:15], v10, 24, v[6:7]
	s_mov_b32 s43, exec_lo
                                        ; implicit-def: $vgpr12_vgpr13
	flat_load_b32 v9, v[14:15]
	s_wait_loadcnt_dscnt 0x0
	v_cmp_ne_u32_e32 vcc_lo, 1, v9
	s_wait_xcnt 0x0
	v_cmpx_eq_u32_e32 1, v9
	s_cbranch_execz .LBB4_8981
; %bb.8980:                             ;   in Loop: Header=BB4_8965 Depth=2
	flat_load_b32 v12, v[14:15] offset:4 scope:SCOPE_SYS
	s_wait_loadcnt_dscnt 0x0
	v_ashrrev_i32_e32 v13, 31, v12
.LBB4_8981:                             ;   in Loop: Header=BB4_8965 Depth=2
	s_wait_xcnt 0x0
	s_or_b32 exec_lo, exec_lo, s43
	s_delay_alu instid0(SALU_CYCLE_1)
	s_or_not1_b32 s13, vcc_lo, exec_lo
.LBB4_8982:                             ;   in Loop: Header=BB4_8965 Depth=2
	s_or_b32 exec_lo, exec_lo, s42
	s_and_saveexec_b32 s42, s13
; %bb.8983:                             ;   in Loop: Header=BB4_8965 Depth=2
	v_mul_u64_e32 v[12:13], v[10:11], v[34:35]
; %bb.8984:                             ;   in Loop: Header=BB4_8965 Depth=2
	s_or_b32 exec_lo, exec_lo, s42
	s_delay_alu instid0(VALU_DEP_1)
	v_add_nc_u64_e32 v[10:11], v[36:37], v[12:13]
	v_and_b32_e32 v9, 0x2000, v126
	s_mov_b32 s13, exec_lo
	ds_store_b64 v0, v[10:11] offset:720
	v_cmpx_ne_u32_e32 0, v9
	s_cbranch_execz .LBB4_8986
; %bb.8985:                             ;   in Loop: Header=BB4_8965 Depth=2
	ds_load_b64 v[10:11], v0 offset:872
	s_wait_dscnt 0x0
	v_add_nc_u64_e32 v[10:11], 1, v[10:11]
	ds_store_b64 v0, v[10:11] offset:872
.LBB4_8986:                             ;   in Loop: Header=BB4_8965 Depth=2
	s_or_b32 exec_lo, exec_lo, s13
	v_mov_b64_e32 v[114:115], v[4:5]
.LBB4_8987:                             ;   in Loop: Header=BB4_8965 Depth=2
	s_or_b32 exec_lo, exec_lo, s29
	s_xor_b32 s13, s18, -1
	s_delay_alu instid0(SALU_CYCLE_1) | instskip(NEXT) | instid1(SALU_CYCLE_1)
	s_and_b32 s13, exec_lo, s13
	s_or_b32 s15, s13, s15
	s_and_saveexec_b32 s13, s2
	s_cbranch_execz .LBB4_9006
; %bb.8988:                             ;   in Loop: Header=BB4_8965 Depth=2
	s_and_saveexec_b32 s18, s3
	s_delay_alu instid0(SALU_CYCLE_1)
	s_xor_b32 s18, exec_lo, s18
	s_cbranch_execz .LBB4_9003
; %bb.8989:                             ;   in Loop: Header=BB4_8965 Depth=2
	s_and_saveexec_b32 s29, s6
	s_cbranch_execz .LBB4_9002
; %bb.8990:                             ;   in Loop: Header=BB4_8965 Depth=2
	s_mov_b32 s43, exec_lo
	s_mov_b32 s42, exec_lo
	v_mbcnt_lo_u32_b32 v4, s43, 0
	global_wb scope:SCOPE_DEV
	s_wait_storecnt 0x0
	s_wait_loadcnt_dscnt 0x0
	global_inv scope:SCOPE_DEV
	v_cmpx_eq_u32_e32 0, v4
	s_cbranch_execz .LBB4_8992
; %bb.8991:                             ;   in Loop: Header=BB4_8965 Depth=2
	s_bcnt1_i32_b32 s43, s43
	s_delay_alu instid0(SALU_CYCLE_1)
	v_dual_mov_b32 v5, v3 :: v_dual_mov_b32 v4, s43
	s_wait_loadcnt 0x0
	ds_add_u64 v0, v[4:5]
	s_trap 2
.LBB4_8992:                             ;   in Loop: Header=BB4_8965 Depth=2
	s_or_b32 exec_lo, exec_lo, s42
	s_trap 2
	ds_load_b64 v[4:5], v0
	s_wait_dscnt 0x0
	v_add_nc_u64_e32 v[48:49], v[48:49], v[52:53]
	s_mov_b32 s42, exec_lo
	s_delay_alu instid0(VALU_DEP_1)
	v_cmpx_lt_u64_e64 v[4:5], v[48:49]
	s_cbranch_execz .LBB4_9001
; %bb.8993:                             ;   in Loop: Header=BB4_8965 Depth=2
	s_mov_b32 s43, 0
	s_mov_b32 s72, 0
                                        ; implicit-def: $sgpr62
                                        ; implicit-def: $sgpr63
	s_branch .LBB4_8995
.LBB4_8994:                             ;   in Loop: Header=BB4_8995 Depth=3
	s_or_b32 exec_lo, exec_lo, s74
	s_delay_alu instid0(SALU_CYCLE_1) | instskip(NEXT) | instid1(SALU_CYCLE_1)
	s_and_b32 s73, exec_lo, s75
	s_or_b32 s43, s73, s43
	s_and_not1_b32 s62, s62, exec_lo
	s_and_b32 s73, s63, exec_lo
	s_delay_alu instid0(SALU_CYCLE_1)
	s_or_b32 s62, s62, s73
	s_and_not1_b32 exec_lo, exec_lo, s43
	s_cbranch_execz .LBB4_8999
.LBB4_8995:                             ;   Parent Loop BB4_47 Depth=1
                                        ;     Parent Loop BB4_8965 Depth=2
                                        ; =>    This Inner Loop Header: Depth=3
	s_add_co_i32 s72, s72, 1
	s_delay_alu instid0(SALU_CYCLE_1) | instskip(SKIP_1) | instid1(SALU_CYCLE_1)
	s_cmp_lg_u32 s72, 0x2710
	s_cselect_b32 s73, -1, 0
	s_and_b32 vcc_lo, exec_lo, s73
	s_cbranch_vccz .LBB4_8997
; %bb.8996:                             ;   in Loop: Header=BB4_8995 Depth=3
	s_mov_b32 s75, -1
	s_or_b32 s63, s63, exec_lo
	s_and_saveexec_b32 s74, s73
	s_cbranch_execz .LBB4_8994
	s_branch .LBB4_8998
.LBB4_8997:                             ;   in Loop: Header=BB4_8995 Depth=3
	s_trap 2
	ds_load_b64 v[4:5], v0
	s_and_not1_b32 s73, s73, exec_lo
	s_mov_b32 s72, 0
	s_wait_loadcnt_dscnt 0x0
	flat_load_b32 v4, v[4:5] scope:SCOPE_SYS
	s_wait_loadcnt_dscnt 0x0
	global_inv scope:SCOPE_SYS
	v_cmp_eq_u32_e32 vcc_lo, 0, v4
	s_and_b32 s74, vcc_lo, exec_lo
	s_delay_alu instid0(SALU_CYCLE_1)
	s_or_b32 s73, s73, s74
	s_mov_b32 s75, -1
	s_or_b32 s63, s63, exec_lo
	s_wait_xcnt 0x0
	s_and_saveexec_b32 s74, s73
	s_cbranch_execz .LBB4_8994
.LBB4_8998:                             ;   in Loop: Header=BB4_8995 Depth=3
	s_sleep 1
	s_trap 2
	ds_load_b64 v[4:5], v0
	s_wait_dscnt 0x0
	s_and_not1_b32 s63, s63, exec_lo
	v_cmp_ge_u64_e32 vcc_lo, v[4:5], v[48:49]
	s_or_not1_b32 s75, vcc_lo, exec_lo
	s_branch .LBB4_8994
.LBB4_8999:                             ;   in Loop: Header=BB4_8965 Depth=2
	s_or_b32 exec_lo, exec_lo, s43
	s_and_saveexec_b32 s43, s62
	s_delay_alu instid0(SALU_CYCLE_1)
	s_xor_b32 s43, exec_lo, s43
	s_cbranch_execz .LBB4_9001
; %bb.9000:                             ;   in Loop: Header=BB4_8965 Depth=2
	ds_store_b32 v0, v64
	s_trap 2
.LBB4_9001:                             ;   in Loop: Header=BB4_8965 Depth=2
	s_or_b32 exec_lo, exec_lo, s42
	;;#ASMSTART
	s_wakeup
	;;#ASMEND
.LBB4_9002:                             ;   in Loop: Header=BB4_8965 Depth=2
	s_or_b32 exec_lo, exec_lo, s29
.LBB4_9003:                             ;   in Loop: Header=BB4_8965 Depth=2
	s_and_not1_saveexec_b32 s18, s18
	s_cbranch_execz .LBB4_9005
; %bb.9004:                             ;   in Loop: Header=BB4_8965 Depth=2
	global_wb scope:SCOPE_DEV
	s_wait_storecnt 0x0
	s_wait_loadcnt_dscnt 0x0
	global_inv scope:SCOPE_DEV
	s_barrier_signal -1
	s_barrier_wait -1
.LBB4_9005:                             ;   in Loop: Header=BB4_8965 Depth=2
	s_or_b32 exec_lo, exec_lo, s18
.LBB4_9006:                             ;   in Loop: Header=BB4_8965 Depth=2
	s_delay_alu instid0(SALU_CYCLE_1) | instskip(SKIP_1) | instid1(VALU_DEP_1)
	s_or_b32 exec_lo, exec_lo, s13
	v_sub_nc_u32_e32 v4, v1, v8
	v_min_i32_e32 v2, v2, v4
	s_and_saveexec_b32 s13, s10
	s_delay_alu instid0(SALU_CYCLE_1)
	s_xor_b32 s18, exec_lo, s13
	s_cbranch_execz .LBB4_9010
; %bb.9007:                             ;   in Loop: Header=BB4_8965 Depth=2
	s_trap 2
	ds_load_b32 v4, v0
	v_cmp_lt_i32_e32 vcc_lo, 0, v2
	s_wait_dscnt 0x0
	v_readfirstlane_b32 s13, v4
	v_and_b32_e32 v4, 16, v126
	s_cmp_eq_u32 s13, 0
	s_delay_alu instid0(VALU_DEP_1) | instskip(SKIP_1) | instid1(SALU_CYCLE_1)
	v_cmp_ne_u32_e64 s13, 0, v4
	s_cselect_b32 s29, -1, 0
	s_and_b32 s29, vcc_lo, s29
	s_delay_alu instid0(SALU_CYCLE_1) | instskip(NEXT) | instid1(SALU_CYCLE_1)
	s_and_b32 s29, s13, s29
	s_and_saveexec_b32 s13, s29
	s_cbranch_execz .LBB4_9009
; %bb.9008:                             ;   in Loop: Header=BB4_8965 Depth=2
	global_wb scope:SCOPE_SYS
	s_wait_loadcnt 0x0
	s_wait_storecnt 0x0
	global_inv scope:SCOPE_SYS
.LBB4_9009:                             ;   in Loop: Header=BB4_8965 Depth=2
	s_or_b32 exec_lo, exec_lo, s13
.LBB4_9010:                             ;   in Loop: Header=BB4_8965 Depth=2
	s_and_not1_saveexec_b32 s13, s18
	s_cbranch_execz .LBB4_9029
; %bb.9011:                             ;   in Loop: Header=BB4_8965 Depth=2
	s_and_saveexec_b32 s18, s3
	s_delay_alu instid0(SALU_CYCLE_1)
	s_xor_b32 s18, exec_lo, s18
	s_cbranch_execz .LBB4_9026
; %bb.9012:                             ;   in Loop: Header=BB4_8965 Depth=2
	s_and_saveexec_b32 s29, s6
	s_cbranch_execz .LBB4_9025
; %bb.9013:                             ;   in Loop: Header=BB4_8965 Depth=2
	s_mov_b32 s43, exec_lo
	s_mov_b32 s42, exec_lo
	v_mbcnt_lo_u32_b32 v4, s43, 0
	;;#ASMSTART
	s_waitcnt lgkmcnt(0) vmcnt(0)
	;;#ASMEND
	s_delay_alu instid0(VALU_DEP_1)
	v_cmpx_eq_u32_e32 0, v4
	s_cbranch_execz .LBB4_9015
; %bb.9014:                             ;   in Loop: Header=BB4_8965 Depth=2
	s_bcnt1_i32_b32 s43, s43
	s_delay_alu instid0(SALU_CYCLE_1)
	v_dual_mov_b32 v5, v3 :: v_dual_mov_b32 v4, s43
	s_wait_storecnt 0x0
	s_wait_loadcnt_dscnt 0x0
	ds_add_u64 v0, v[4:5]
	s_trap 2
.LBB4_9015:                             ;   in Loop: Header=BB4_8965 Depth=2
	s_or_b32 exec_lo, exec_lo, s42
	s_trap 2
	ds_load_b64 v[4:5], v0
	s_wait_dscnt 0x0
	v_add_nc_u64_e32 v[48:49], v[48:49], v[52:53]
	s_mov_b32 s42, exec_lo
	s_delay_alu instid0(VALU_DEP_1)
	v_cmpx_lt_u64_e64 v[4:5], v[48:49]
	s_cbranch_execz .LBB4_9024
; %bb.9016:                             ;   in Loop: Header=BB4_8965 Depth=2
	s_mov_b32 s43, 0
	s_mov_b32 s72, 0
                                        ; implicit-def: $sgpr62
                                        ; implicit-def: $sgpr63
	s_branch .LBB4_9018
.LBB4_9017:                             ;   in Loop: Header=BB4_9018 Depth=3
	s_or_b32 exec_lo, exec_lo, s74
	s_delay_alu instid0(SALU_CYCLE_1) | instskip(NEXT) | instid1(SALU_CYCLE_1)
	s_and_b32 s73, exec_lo, s75
	s_or_b32 s43, s73, s43
	s_and_not1_b32 s62, s62, exec_lo
	s_and_b32 s73, s63, exec_lo
	s_delay_alu instid0(SALU_CYCLE_1)
	s_or_b32 s62, s62, s73
	s_and_not1_b32 exec_lo, exec_lo, s43
	s_cbranch_execz .LBB4_9022
.LBB4_9018:                             ;   Parent Loop BB4_47 Depth=1
                                        ;     Parent Loop BB4_8965 Depth=2
                                        ; =>    This Inner Loop Header: Depth=3
	s_add_co_i32 s72, s72, 1
	s_delay_alu instid0(SALU_CYCLE_1) | instskip(SKIP_1) | instid1(SALU_CYCLE_1)
	s_cmp_lg_u32 s72, 0x2710
	s_cselect_b32 s73, -1, 0
	s_and_b32 vcc_lo, exec_lo, s73
	s_cbranch_vccz .LBB4_9020
; %bb.9019:                             ;   in Loop: Header=BB4_9018 Depth=3
	s_mov_b32 s75, -1
	s_or_b32 s63, s63, exec_lo
	s_and_saveexec_b32 s74, s73
	s_cbranch_execz .LBB4_9017
	s_branch .LBB4_9021
.LBB4_9020:                             ;   in Loop: Header=BB4_9018 Depth=3
	s_trap 2
	ds_load_b64 v[4:5], v0
	s_and_not1_b32 s73, s73, exec_lo
	s_mov_b32 s72, 0
	s_wait_storecnt 0x0
	s_wait_loadcnt_dscnt 0x0
	flat_load_b32 v4, v[4:5] scope:SCOPE_SYS
	s_wait_loadcnt_dscnt 0x0
	global_inv scope:SCOPE_SYS
	v_cmp_eq_u32_e32 vcc_lo, 0, v4
	s_and_b32 s74, vcc_lo, exec_lo
	s_delay_alu instid0(SALU_CYCLE_1)
	s_or_b32 s73, s73, s74
	s_mov_b32 s75, -1
	s_or_b32 s63, s63, exec_lo
	s_wait_xcnt 0x0
	s_and_saveexec_b32 s74, s73
	s_cbranch_execz .LBB4_9017
.LBB4_9021:                             ;   in Loop: Header=BB4_9018 Depth=3
	s_sleep 1
	s_trap 2
	ds_load_b64 v[4:5], v0
	s_wait_dscnt 0x0
	s_and_not1_b32 s63, s63, exec_lo
	v_cmp_ge_u64_e32 vcc_lo, v[4:5], v[48:49]
	s_or_not1_b32 s75, vcc_lo, exec_lo
	s_branch .LBB4_9017
.LBB4_9022:                             ;   in Loop: Header=BB4_8965 Depth=2
	s_or_b32 exec_lo, exec_lo, s43
	s_and_saveexec_b32 s43, s62
	s_delay_alu instid0(SALU_CYCLE_1)
	s_xor_b32 s43, exec_lo, s43
	s_cbranch_execz .LBB4_9024
; %bb.9023:                             ;   in Loop: Header=BB4_8965 Depth=2
	ds_store_b32 v0, v64
	s_trap 2
.LBB4_9024:                             ;   in Loop: Header=BB4_8965 Depth=2
	s_or_b32 exec_lo, exec_lo, s42
	;;#ASMSTART
	s_wakeup
	;;#ASMEND
.LBB4_9025:                             ;   in Loop: Header=BB4_8965 Depth=2
	s_or_b32 exec_lo, exec_lo, s29
.LBB4_9026:                             ;   in Loop: Header=BB4_8965 Depth=2
	s_and_not1_saveexec_b32 s18, s18
	s_cbranch_execz .LBB4_9028
; %bb.9027:                             ;   in Loop: Header=BB4_8965 Depth=2
	;;#ASMSTART
	s_waitcnt lgkmcnt(0) vmcnt(0)
	;;#ASMEND
	s_barrier_signal -1
	s_barrier_wait -1
.LBB4_9028:                             ;   in Loop: Header=BB4_8965 Depth=2
	s_or_b32 exec_lo, exec_lo, s18
.LBB4_9029:                             ;   in Loop: Header=BB4_8965 Depth=2
	s_delay_alu instid0(SALU_CYCLE_1) | instskip(SKIP_2) | instid1(VALU_DEP_1)
	s_or_b32 exec_lo, exec_lo, s13
	v_and_b32_e32 v4, 32, v126
	s_mov_b32 s13, exec_lo
	v_cmpx_ne_u32_e32 0, v4
	s_cbranch_execz .LBB4_8964
; %bb.9030:                             ;   in Loop: Header=BB4_8965 Depth=2
	v_add_nc_u64_e32 v[114:115], 2, v[114:115]
	global_wb scope:SCOPE_SYS
	s_wait_storecnt 0x0
	s_wait_loadcnt_dscnt 0x0
	flat_store_b64 v[32:33], v[114:115] scope:SCOPE_SYS
	s_branch .LBB4_8964
.LBB4_9031:
	s_or_b32 exec_lo, exec_lo, s61
	s_clause 0x3
	scratch_load_b32 v19, off, s33 offset:300
	scratch_load_b32 v31, off, s33 offset:304
	scratch_load_b64 v[22:23], off, s33 offset:308
	scratch_load_b32 v8, off, s33 offset:316
.LBB4_9032:
	s_wait_xcnt 0x0
	s_or_b32 exec_lo, exec_lo, s45
	v_and_b32_e32 v0, 0x800, v126
	s_mov_b32 s1, exec_lo
	s_delay_alu instid0(VALU_DEP_1)
	v_cmpx_eq_u32_e32 0, v0
	s_cbranch_execz .LBB4_9065
; %bb.9033:
	v_and_b32_e32 v0, 48, v126
	s_mov_b32 s0, exec_lo
	s_delay_alu instid0(VALU_DEP_1)
	v_cmpx_ne_u32_e32 0, v0
	s_cbranch_execz .LBB4_9035
; %bb.9034:
	s_wait_loadcnt 0x1
	flat_store_b64 v[22:23], v[114:115] offset:104
.LBB4_9035:
	s_wait_xcnt 0x0
	s_or_b32 exec_lo, exec_lo, s0
	v_and_b32_e32 v0, 0x88, v126
	s_mov_b32 s2, exec_lo
	s_delay_alu instid0(VALU_DEP_1)
	v_cmpx_eq_u32_e32 0x88, v0
	s_cbranch_execz .LBB4_9045
; %bb.9036:
	v_add_nc_u32_e32 v0, 6, v114
	v_and_b32_e32 v4, 64, v126
	s_mov_b32 s3, 0
	s_delay_alu instid0(VALU_DEP_2) | instskip(NEXT) | instid1(VALU_DEP_2)
	v_and_b32_e32 v0, 7, v0
	v_cmp_eq_u32_e64 s0, 0, v4
	s_delay_alu instid0(VALU_DEP_2)
	v_mad_nc_u64_u32 v[2:3], v0, 24, v[6:7]
	flat_load_b64 v[0:1], v[2:3] offset:8 scope:SCOPE_SYS
	s_wait_loadcnt_dscnt 0x0
	v_cmp_ne_u64_e32 vcc_lo, -1, v[0:1]
	s_and_b32 s0, vcc_lo, s0
	s_wait_xcnt 0x0
	s_and_b32 exec_lo, exec_lo, s0
	s_cbranch_execz .LBB4_9045
; %bb.9037:
	s_mov_b32 s5, 0
                                        ; implicit-def: $sgpr0
                                        ; implicit-def: $sgpr4
	s_branch .LBB4_9040
.LBB4_9038:                             ;   in Loop: Header=BB4_9040 Depth=1
	flat_load_b64 v[4:5], v[2:3] offset:8 scope:SCOPE_SYS
	s_wait_loadcnt 0x0
	s_and_not1_b32 s4, s4, exec_lo
	s_wait_dscnt 0x0
	v_cmp_eq_u64_e32 vcc_lo, -1, v[4:5]
	s_or_not1_b32 s7, vcc_lo, exec_lo
.LBB4_9039:                             ;   in Loop: Header=BB4_9040 Depth=1
	s_wait_xcnt 0x0
	s_or_b32 exec_lo, exec_lo, s10
	s_delay_alu instid0(SALU_CYCLE_1) | instskip(NEXT) | instid1(SALU_CYCLE_1)
	s_and_b32 s6, exec_lo, s7
	s_or_b32 s3, s6, s3
	s_and_not1_b32 s0, s0, exec_lo
	s_and_b32 s6, s4, exec_lo
	s_delay_alu instid0(SALU_CYCLE_1)
	s_or_b32 s0, s0, s6
	s_and_not1_b32 exec_lo, exec_lo, s3
	s_cbranch_execz .LBB4_9043
.LBB4_9040:                             ; =>This Inner Loop Header: Depth=1
	s_cmp_lt_i32 s5, 0x270f
	s_cselect_b32 s6, -1, 0
	s_delay_alu instid0(SALU_CYCLE_1)
	s_and_b32 vcc_lo, exec_lo, s6
	s_cbranch_vccnz .LBB4_9042
; %bb.9041:                             ;   in Loop: Header=BB4_9040 Depth=1
	s_trap 2
	ds_load_b64 v[0:1], v0
	s_and_not1_b32 s6, s6, exec_lo
	s_mov_b32 s5, 0
	s_wait_storecnt_dscnt 0x0
	flat_load_b32 v0, v[0:1] scope:SCOPE_SYS
	s_wait_loadcnt_dscnt 0x0
	global_inv scope:SCOPE_SYS
	v_cmp_eq_u32_e32 vcc_lo, 0, v0
	s_and_b32 s7, vcc_lo, exec_lo
	s_delay_alu instid0(SALU_CYCLE_1)
	s_or_b32 s6, s6, s7
	s_mov_b32 s7, -1
	s_or_b32 s4, s4, exec_lo
	s_wait_xcnt 0x0
	s_and_saveexec_b32 s10, s6
	s_cbranch_execz .LBB4_9039
	s_branch .LBB4_9038
.LBB4_9042:                             ;   in Loop: Header=BB4_9040 Depth=1
	s_add_co_i32 s5, s5, 1
                                        ; implicit-def: $vgpr0
	s_mov_b32 s7, -1
	s_or_b32 s4, s4, exec_lo
	s_and_saveexec_b32 s10, s6
	s_cbranch_execz .LBB4_9039
	s_branch .LBB4_9038
.LBB4_9043:
	s_or_b32 exec_lo, exec_lo, s3
	s_and_saveexec_b32 s3, s0
	s_delay_alu instid0(SALU_CYCLE_1)
	s_xor_b32 s3, exec_lo, s3
	s_cbranch_execz .LBB4_9045
; %bb.9044:
	s_wait_loadcnt 0x0
	s_wait_storecnt 0x0
	ds_store_b32 v0, v0
	s_trap 2
.LBB4_9045:
	s_or_b32 exec_lo, exec_lo, s2
	v_and_b32_e32 v0, 0x2000, v126
	s_mov_b32 s0, exec_lo
	s_delay_alu instid0(VALU_DEP_1)
	v_cmpx_ne_u32_e32 0, v0
	s_cbranch_execz .LBB4_9047
; %bb.9046:
	s_trap 2
	scratch_load_b64 v[2:3], off, s33 offset:320 th:TH_LOAD_LU ; 8-byte Folded Reload
	ds_load_b64 v[0:1], v0
	s_wait_loadcnt_dscnt 0x0
	flat_store_b64 v[2:3], v[0:1] offset:16
.LBB4_9047:
	s_wait_xcnt 0x0
	s_or_b32 exec_lo, exec_lo, s0
	s_wait_loadcnt 0x3
	v_cmp_ne_u32_e32 vcc_lo, 32, v19
	s_and_b32 exec_lo, exec_lo, vcc_lo
	s_cbranch_execz .LBB4_9065
; %bb.9048:
	s_mov_b32 s0, exec_lo
	s_wait_loadcnt 0x0
	v_cmpx_ne_u32_e64 v19, v8
	s_xor_b32 s0, exec_lo, s0
	s_cbranch_execz .LBB4_9063
; %bb.9049:
	v_and_b32_e32 v0, 31, v31
	s_mov_b32 s2, exec_lo
	s_delay_alu instid0(VALU_DEP_1)
	v_cmpx_eq_u32_e32 0, v0
	s_cbranch_execz .LBB4_9062
; %bb.9050:
	s_mov_b32 s4, exec_lo
	s_mov_b32 s3, exec_lo
	v_mbcnt_lo_u32_b32 v0, s4, 0
	global_wb scope:SCOPE_DEV
	s_wait_storecnt_dscnt 0x0
	global_inv scope:SCOPE_DEV
	v_cmpx_eq_u32_e32 0, v0
	s_cbranch_execz .LBB4_9052
; %bb.9051:
	s_bcnt1_i32_b32 s4, s4
	s_delay_alu instid0(SALU_CYCLE_1)
	v_dual_mov_b32 v1, 0 :: v_dual_mov_b32 v0, s4
	s_wait_loadcnt 0x0
	ds_add_u64 v0, v[0:1]
	s_trap 2
.LBB4_9052:
	s_or_b32 exec_lo, exec_lo, s3
	s_trap 2
	ds_load_b64 v[2:3], v0
	s_wait_dscnt 0x0
	v_dual_mov_b32 v1, 0 :: v_dual_lshrrev_b32 v0, 5, v19
	s_mov_b32 s3, exec_lo
	s_delay_alu instid0(VALU_DEP_1) | instskip(NEXT) | instid1(VALU_DEP_1)
	v_add_nc_u64_e32 v[0:1], v[48:49], v[0:1]
	v_cmpx_lt_u64_e64 v[2:3], v[0:1]
	s_cbranch_execz .LBB4_9061
; %bb.9053:
	s_mov_b32 s4, 0
	s_mov_b32 s7, 0
                                        ; implicit-def: $sgpr5
                                        ; implicit-def: $sgpr6
	s_branch .LBB4_9055
.LBB4_9054:                             ;   in Loop: Header=BB4_9055 Depth=1
	s_or_b32 exec_lo, exec_lo, s11
	s_delay_alu instid0(SALU_CYCLE_1) | instskip(NEXT) | instid1(SALU_CYCLE_1)
	s_and_b32 s10, exec_lo, s12
	s_or_b32 s4, s10, s4
	s_and_not1_b32 s5, s5, exec_lo
	s_and_b32 s10, s6, exec_lo
	s_delay_alu instid0(SALU_CYCLE_1)
	s_or_b32 s5, s5, s10
	s_and_not1_b32 exec_lo, exec_lo, s4
	s_cbranch_execz .LBB4_9059
.LBB4_9055:                             ; =>This Inner Loop Header: Depth=1
	s_add_co_i32 s7, s7, 1
	s_delay_alu instid0(SALU_CYCLE_1) | instskip(SKIP_1) | instid1(SALU_CYCLE_1)
	s_cmp_lg_u32 s7, 0x2710
	s_cselect_b32 s10, -1, 0
	s_and_b32 vcc_lo, exec_lo, s10
	s_cbranch_vccz .LBB4_9057
; %bb.9056:                             ;   in Loop: Header=BB4_9055 Depth=1
	s_mov_b32 s12, -1
	s_or_b32 s6, s6, exec_lo
	s_and_saveexec_b32 s11, s10
	s_cbranch_execz .LBB4_9054
	s_branch .LBB4_9058
.LBB4_9057:                             ;   in Loop: Header=BB4_9055 Depth=1
	s_trap 2
	ds_load_b64 v[2:3], v0
	s_and_not1_b32 s10, s10, exec_lo
	s_mov_b32 s7, 0
	s_wait_loadcnt_dscnt 0x0
	flat_load_b32 v2, v[2:3] scope:SCOPE_SYS
	s_wait_loadcnt_dscnt 0x0
	global_inv scope:SCOPE_SYS
	v_cmp_eq_u32_e32 vcc_lo, 0, v2
	s_and_b32 s11, vcc_lo, exec_lo
	s_delay_alu instid0(SALU_CYCLE_1)
	s_or_b32 s10, s10, s11
	s_mov_b32 s12, -1
	s_or_b32 s6, s6, exec_lo
	s_and_saveexec_b32 s11, s10
	s_cbranch_execz .LBB4_9054
.LBB4_9058:                             ;   in Loop: Header=BB4_9055 Depth=1
	s_sleep 1
	s_trap 2
	ds_load_b64 v[2:3], v0
	s_wait_dscnt 0x0
	s_and_not1_b32 s6, s6, exec_lo
	v_cmp_ge_u64_e32 vcc_lo, v[2:3], v[0:1]
	s_or_not1_b32 s12, vcc_lo, exec_lo
	s_branch .LBB4_9054
.LBB4_9059:
	s_or_b32 exec_lo, exec_lo, s4
	s_and_saveexec_b32 s4, s5
	s_delay_alu instid0(SALU_CYCLE_1)
	s_xor_b32 s4, exec_lo, s4
	s_cbranch_execz .LBB4_9061
; %bb.9060:
	v_mov_b32_e32 v0, 1
	ds_store_b32 v0, v0
	s_trap 2
.LBB4_9061:
	s_or_b32 exec_lo, exec_lo, s3
	;;#ASMSTART
	s_wakeup
	;;#ASMEND
.LBB4_9062:
	s_or_b32 exec_lo, exec_lo, s2
.LBB4_9063:
	s_and_not1_saveexec_b32 s0, s0
	s_cbranch_execz .LBB4_9065
; %bb.9064:
	global_wb scope:SCOPE_DEV
	s_wait_storecnt 0x0
	s_wait_loadcnt_dscnt 0x0
	global_inv scope:SCOPE_DEV
	s_barrier_signal -1
	s_barrier_wait -1
.LBB4_9065:
	s_or_b32 exec_lo, exec_lo, s1
.LBB4_9066:
	s_and_not1_saveexec_b32 s21, s44
	s_cbranch_execz .LBB4_9068
; %bb.9067:
	s_get_pc_i64 s[0:1]
	s_add_nc_u64 s[0:1], s[0:1], __PRETTY_FUNCTION__._ZN10PrimitivesI14__hip_fp8_e5m28FuncProdIS0_E12FanSymmetricILi1EELi0E11ProtoSimpleILi2ELi2ELi0ELi2ELi0ELi0EELi0ELb0ELi0ELi0ELi0EEC2EiiPKiS9_PKvPvmhhhP15ncclDevWorkCollP14ncclDevWorkP2pii@rel64+4
	s_get_pc_i64 s[2:3]
	s_add_nc_u64 s[2:3], s[2:3], __assert_fail@rel64+4
	v_dual_mov_b32 v0, s0 :: v_dual_mov_b32 v1, s1
	s_swap_pc_i64 s[30:31], s[2:3]
	; divergent unreachable
.LBB4_9068:
	s_or_b32 exec_lo, exec_lo, s21
	s_clause 0x2e
	scratch_load_b32 v126, off, s33
	scratch_load_b32 v125, off, s33 offset:4
	scratch_load_b32 v124, off, s33 offset:8
	;; [unrolled: 1-line block ×46, first 2 shown]
	v_readlane_b32 s30, v127, 0
	v_readlane_b32 s31, v127, 1
	s_mov_b32 s32, s33
	s_wait_xcnt 0x0
	s_or_saveexec_b32 s0, -1
	scratch_load_b32 v127, off, s33 offset:328 ; 4-byte Folded Reload
	s_wait_xcnt 0x0
	s_mov_b32 exec_lo, s0
	s_mov_b32 s33, s89
	s_wait_loadcnt_dscnt 0x0
	s_set_pc_i64 s[30:31]
.Lfunc_end4:
	.size	_ZN12_GLOBAL__N_17runRingI14__hip_fp8_e5m28FuncProdIS1_E11ProtoSimpleILi2ELi2ELi0ELi2ELi0ELi0EELi0ELi0ELi2ELi0EEEviiP15ncclDevWorkColl, .Lfunc_end4-_ZN12_GLOBAL__N_17runRingI14__hip_fp8_e5m28FuncProdIS1_E11ProtoSimpleILi2ELi2ELi0ELi2ELi0ELi0EELi0ELi0ELi2ELi0EEEviiP15ncclDevWorkColl
                                        ; -- End function
	.set .L_ZN12_GLOBAL__N_17runRingI14__hip_fp8_e5m28FuncProdIS1_E11ProtoSimpleILi2ELi2ELi0ELi2ELi0ELi0EELi0ELi0ELi2ELi0EEEviiP15ncclDevWorkColl.num_vgpr, max(128, .L__assert_fail.num_vgpr)
	.set .L_ZN12_GLOBAL__N_17runRingI14__hip_fp8_e5m28FuncProdIS1_E11ProtoSimpleILi2ELi2ELi0ELi2ELi0ELi0EELi0ELi0ELi2ELi0EEEviiP15ncclDevWorkColl.num_agpr, max(0, .L__assert_fail.num_agpr)
	.set .L_ZN12_GLOBAL__N_17runRingI14__hip_fp8_e5m28FuncProdIS1_E11ProtoSimpleILi2ELi2ELi0ELi2ELi0ELi0EELi0ELi0ELi2ELi0EEEviiP15ncclDevWorkColl.numbered_sgpr, max(90, .L__assert_fail.numbered_sgpr)
	.set .L_ZN12_GLOBAL__N_17runRingI14__hip_fp8_e5m28FuncProdIS1_E11ProtoSimpleILi2ELi2ELi0ELi2ELi0ELi0EELi0ELi0ELi2ELi0EEEviiP15ncclDevWorkColl.num_named_barrier, max(0, .L__assert_fail.num_named_barrier)
	.set .L_ZN12_GLOBAL__N_17runRingI14__hip_fp8_e5m28FuncProdIS1_E11ProtoSimpleILi2ELi2ELi0ELi2ELi0ELi0EELi0ELi0ELi2ELi0EEEviiP15ncclDevWorkColl.private_seg_size, 336+max(.L__assert_fail.private_seg_size)
	.set .L_ZN12_GLOBAL__N_17runRingI14__hip_fp8_e5m28FuncProdIS1_E11ProtoSimpleILi2ELi2ELi0ELi2ELi0ELi0EELi0ELi0ELi2ELi0EEEviiP15ncclDevWorkColl.uses_vcc, or(1, .L__assert_fail.uses_vcc)
	.set .L_ZN12_GLOBAL__N_17runRingI14__hip_fp8_e5m28FuncProdIS1_E11ProtoSimpleILi2ELi2ELi0ELi2ELi0ELi0EELi0ELi0ELi2ELi0EEEviiP15ncclDevWorkColl.uses_flat_scratch, or(1, .L__assert_fail.uses_flat_scratch)
	.set .L_ZN12_GLOBAL__N_17runRingI14__hip_fp8_e5m28FuncProdIS1_E11ProtoSimpleILi2ELi2ELi0ELi2ELi0ELi0EELi0ELi0ELi2ELi0EEEviiP15ncclDevWorkColl.has_dyn_sized_stack, or(0, .L__assert_fail.has_dyn_sized_stack)
	.set .L_ZN12_GLOBAL__N_17runRingI14__hip_fp8_e5m28FuncProdIS1_E11ProtoSimpleILi2ELi2ELi0ELi2ELi0ELi0EELi0ELi0ELi2ELi0EEEviiP15ncclDevWorkColl.has_recursion, or(1, .L__assert_fail.has_recursion)
	.set .L_ZN12_GLOBAL__N_17runRingI14__hip_fp8_e5m28FuncProdIS1_E11ProtoSimpleILi2ELi2ELi0ELi2ELi0ELi0EELi0ELi0ELi2ELi0EEEviiP15ncclDevWorkColl.has_indirect_call, or(0, .L__assert_fail.has_indirect_call)
	.section	.AMDGPU.csdata,"",@progbits
; Function info:
; codeLenInByte = 267048
; TotalNumSgprs: 92
; NumVgprs: 128
; ScratchSize: 400
; MemoryBound: 1
	.text
	.p2align	2                               ; -- Begin function _Z51ncclDevFunc_AllReduce_RING_SIMPLE_Prod_f8e5m2_0_0_2v
	.type	_Z51ncclDevFunc_AllReduce_RING_SIMPLE_Prod_f8e5m2_0_0_2v,@function
_Z51ncclDevFunc_AllReduce_RING_SIMPLE_Prod_f8e5m2_0_0_2v: ; @_Z51ncclDevFunc_AllReduce_RING_SIMPLE_Prod_f8e5m2_0_0_2v
; %bb.0:
	s_wait_loadcnt_dscnt 0x0
	s_wait_kmcnt 0x0
	s_mov_b32 s0, s33
	s_mov_b32 s33, s32
	s_or_saveexec_b32 s1, -1
	scratch_store_b32 off, v42, s33 offset:12 ; 4-byte Folded Spill
	s_wait_xcnt 0x0
	s_mov_b32 exec_lo, s1
	v_writelane_b32 v42, s0, 2
	s_add_co_i32 s32, s32, 32
	s_clause 0x2
	scratch_store_b32 off, v40, s33 offset:8
	; meta instruction
	scratch_store_b32 off, v41, s33 offset:4
	; meta instruction
	scratch_store_b32 off, v127, s33
	v_writelane_b32 v42, s30, 0
	v_writelane_b32 v42, s31, 1
	s_trap 2
	ds_load_b32 v0, v0
	s_wait_xcnt 0x2
	v_mov_b32_e32 v40, v31
	s_wait_dscnt 0x0
	v_cmp_gt_i32_e32 vcc_lo, 1, v0
	s_cbranch_vccnz .LBB5_8
; %bb.1:
	s_wait_xcnt 0x1
	v_and_b32_e32 v41, 0x3ff, v40
	s_mov_b32 s92, s12
	s_mov_b64 s[90:91], s[8:9]
	s_mov_b32 s93, 0
	s_get_pc_i64 s[94:95]
	s_add_nc_u64 s[94:95], s[94:95], _ZN12_GLOBAL__N_17runRingI14__hip_fp8_e5m28FuncProdIS1_E11ProtoSimpleILi2ELi2ELi0ELi2ELi0ELi0EELi0ELi0ELi2ELi0EEEviiP15ncclDevWorkColl@rel64+4
	s_branch .LBB5_3
.LBB5_2:                                ;   in Loop: Header=BB5_3 Depth=1
	s_or_b32 exec_lo, exec_lo, vcc_hi
	s_trap 2
	ds_load_b32 v0, v0
	s_add_co_i32 s93, s93, 1
	s_wait_dscnt 0x0
	v_cmp_lt_i32_e32 vcc_lo, s93, v0
	s_cbranch_vccz .LBB5_8
.LBB5_3:                                ; =>This Inner Loop Header: Depth=1
	s_trap 2
	ds_load_b32 v0, v0
	s_cmp_eq_u32 s93, 0
	s_cbranch_scc1 .LBB5_6
; %bb.4:                                ;   in Loop: Header=BB5_3 Depth=1
	s_trap 2
	s_wait_dscnt 0x0
	ds_load_b32 v1, v0
	s_wait_dscnt 0x0
	v_xor_b32_e32 v1, v1, v0
	s_delay_alu instid0(VALU_DEP_1) | instskip(NEXT) | instid1(VALU_DEP_1)
	v_and_b32_e32 v1, 0xff0000, v1
	v_cmp_eq_u32_e32 vcc_lo, 0, v1
	s_cbranch_vccnz .LBB5_6
; %bb.5:                                ;   in Loop: Header=BB5_3 Depth=1
	s_wait_storecnt 0x0
	s_barrier_signal -1
	s_barrier_wait -1
	ds_load_b32 v0, v0
.LBB5_6:                                ;   in Loop: Header=BB5_3 Depth=1
	s_wait_dscnt 0x0
	v_lshrrev_b32_e32 v0, 11, v0
	s_mov_b32 vcc_hi, exec_lo
	s_delay_alu instid0(VALU_DEP_1) | instskip(SKIP_1) | instid1(VALU_DEP_1)
	v_and_b32_e32 v1, 0x1fe0, v0
	s_wait_xcnt 0x0
	v_cmpx_lt_u32_e64 v41, v1
	s_cbranch_execz .LBB5_2
; %bb.7:                                ;   in Loop: Header=BB5_3 Depth=1
	s_mov_b64 s[0:1], src_shared_base
	v_dual_mov_b32 v31, v40 :: v_dual_mov_b32 v0, v41
	v_mov_b32_e32 v3, s1
	s_mov_b64 s[8:9], s[90:91]
	s_mov_b32 s12, s92
	s_swap_pc_i64 s[30:31], s[94:95]
	s_branch .LBB5_2
.LBB5_8:
	s_clause 0x2
	scratch_load_b32 v127, off, s33
	scratch_load_b32 v41, off, s33 offset:4
	scratch_load_b32 v40, off, s33 offset:8
	v_readlane_b32 s30, v42, 0
	v_readlane_b32 s31, v42, 1
	s_mov_b32 s32, s33
	v_readlane_b32 s0, v42, 2
	s_wait_xcnt 0x0
	s_or_saveexec_b32 s1, -1
	scratch_load_b32 v42, off, s33 offset:12 ; 4-byte Folded Reload
	s_wait_xcnt 0x0
	s_mov_b32 exec_lo, s1
	s_mov_b32 s33, s0
	s_wait_loadcnt 0x0
	s_set_pc_i64 s[30:31]
.Lfunc_end5:
	.size	_Z51ncclDevFunc_AllReduce_RING_SIMPLE_Prod_f8e5m2_0_0_2v, .Lfunc_end5-_Z51ncclDevFunc_AllReduce_RING_SIMPLE_Prod_f8e5m2_0_0_2v
                                        ; -- End function
	.set .L_Z51ncclDevFunc_AllReduce_RING_SIMPLE_Prod_f8e5m2_0_0_2v.num_vgpr, max(128, .L_ZN12_GLOBAL__N_17runRingI14__hip_fp8_e5m28FuncProdIS1_E11ProtoSimpleILi2ELi2ELi0ELi2ELi0ELi0EELi0ELi0ELi2ELi0EEEviiP15ncclDevWorkColl.num_vgpr)
	.set .L_Z51ncclDevFunc_AllReduce_RING_SIMPLE_Prod_f8e5m2_0_0_2v.num_agpr, max(0, .L_ZN12_GLOBAL__N_17runRingI14__hip_fp8_e5m28FuncProdIS1_E11ProtoSimpleILi2ELi2ELi0ELi2ELi0ELi0EELi0ELi0ELi2ELi0EEEviiP15ncclDevWorkColl.num_agpr)
	.set .L_Z51ncclDevFunc_AllReduce_RING_SIMPLE_Prod_f8e5m2_0_0_2v.numbered_sgpr, max(96, .L_ZN12_GLOBAL__N_17runRingI14__hip_fp8_e5m28FuncProdIS1_E11ProtoSimpleILi2ELi2ELi0ELi2ELi0ELi0EELi0ELi0ELi2ELi0EEEviiP15ncclDevWorkColl.numbered_sgpr)
	.set .L_Z51ncclDevFunc_AllReduce_RING_SIMPLE_Prod_f8e5m2_0_0_2v.num_named_barrier, max(0, .L_ZN12_GLOBAL__N_17runRingI14__hip_fp8_e5m28FuncProdIS1_E11ProtoSimpleILi2ELi2ELi0ELi2ELi0ELi0EELi0ELi0ELi2ELi0EEEviiP15ncclDevWorkColl.num_named_barrier)
	.set .L_Z51ncclDevFunc_AllReduce_RING_SIMPLE_Prod_f8e5m2_0_0_2v.private_seg_size, 32+max(.L_ZN12_GLOBAL__N_17runRingI14__hip_fp8_e5m28FuncProdIS1_E11ProtoSimpleILi2ELi2ELi0ELi2ELi0ELi0EELi0ELi0ELi2ELi0EEEviiP15ncclDevWorkColl.private_seg_size)
	.set .L_Z51ncclDevFunc_AllReduce_RING_SIMPLE_Prod_f8e5m2_0_0_2v.uses_vcc, or(1, .L_ZN12_GLOBAL__N_17runRingI14__hip_fp8_e5m28FuncProdIS1_E11ProtoSimpleILi2ELi2ELi0ELi2ELi0ELi0EELi0ELi0ELi2ELi0EEEviiP15ncclDevWorkColl.uses_vcc)
	.set .L_Z51ncclDevFunc_AllReduce_RING_SIMPLE_Prod_f8e5m2_0_0_2v.uses_flat_scratch, or(1, .L_ZN12_GLOBAL__N_17runRingI14__hip_fp8_e5m28FuncProdIS1_E11ProtoSimpleILi2ELi2ELi0ELi2ELi0ELi0EELi0ELi0ELi2ELi0EEEviiP15ncclDevWorkColl.uses_flat_scratch)
	.set .L_Z51ncclDevFunc_AllReduce_RING_SIMPLE_Prod_f8e5m2_0_0_2v.has_dyn_sized_stack, or(0, .L_ZN12_GLOBAL__N_17runRingI14__hip_fp8_e5m28FuncProdIS1_E11ProtoSimpleILi2ELi2ELi0ELi2ELi0ELi0EELi0ELi0ELi2ELi0EEEviiP15ncclDevWorkColl.has_dyn_sized_stack)
	.set .L_Z51ncclDevFunc_AllReduce_RING_SIMPLE_Prod_f8e5m2_0_0_2v.has_recursion, or(1, .L_ZN12_GLOBAL__N_17runRingI14__hip_fp8_e5m28FuncProdIS1_E11ProtoSimpleILi2ELi2ELi0ELi2ELi0ELi0EELi0ELi0ELi2ELi0EEEviiP15ncclDevWorkColl.has_recursion)
	.set .L_Z51ncclDevFunc_AllReduce_RING_SIMPLE_Prod_f8e5m2_0_0_2v.has_indirect_call, or(0, .L_ZN12_GLOBAL__N_17runRingI14__hip_fp8_e5m28FuncProdIS1_E11ProtoSimpleILi2ELi2ELi0ELi2ELi0ELi0EELi0ELi0ELi2ELi0EEEviiP15ncclDevWorkColl.has_indirect_call)
	.section	.AMDGPU.csdata,"",@progbits
; Function info:
; codeLenInByte = 480
; TotalNumSgprs: 98
; NumVgprs: 128
; ScratchSize: 432
; MemoryBound: 0
	.text
	.p2align	2                               ; -- Begin function _ZN12_GLOBAL__N_17runRingI14__hip_fp8_e5m28FuncProdIS1_E11ProtoSimpleILi2ELi2ELi0ELi4ELi0ELi0EELi0ELi0ELi4ELi0EEEviiP15ncclDevWorkColl
	.type	_ZN12_GLOBAL__N_17runRingI14__hip_fp8_e5m28FuncProdIS1_E11ProtoSimpleILi2ELi2ELi0ELi4ELi0ELi0EELi0ELi0ELi4ELi0EEEviiP15ncclDevWorkColl,@function
_ZN12_GLOBAL__N_17runRingI14__hip_fp8_e5m28FuncProdIS1_E11ProtoSimpleILi2ELi2ELi0ELi4ELi0ELi0EELi0ELi0ELi4ELi0EEEviiP15ncclDevWorkColl: ; @_ZN12_GLOBAL__N_17runRingI14__hip_fp8_e5m28FuncProdIS1_E11ProtoSimpleILi2ELi2ELi0ELi4ELi0ELi0EELi0ELi0ELi4ELi0EEEviiP15ncclDevWorkColl
; %bb.0:
	s_wait_loadcnt_dscnt 0x0
	s_wait_kmcnt 0x0
	s_mov_b32 s89, s33
	s_mov_b32 s33, s32
	s_or_saveexec_b32 s0, -1
	scratch_store_b32 off, v127, s33 offset:592 ; 4-byte Folded Spill
	s_wait_xcnt 0x0
	s_mov_b32 exec_lo, s0
	s_addk_co_i32 s32, 0x260
	s_clause 0x2e
	scratch_store_b32 off, v40, s33 offset:184
	; meta instruction
	scratch_store_b32 off, v41, s33 offset:180
	; meta instruction
	;; [unrolled: 2-line block ×46, first 2 shown]
	scratch_store_b32 off, v126, s33
	v_writelane_b32 v127, s30, 0
	v_writelane_b32 v127, s31, 1
	s_trap 2
	flat_load_b32 v4, v[2:3]
	ds_load_b32 v5, v0
	v_mov_b32_e32 v80, v0
	s_mov_b32 s0, exec_lo
                                        ; implicit-def: $vgpr18_vgpr19
                                        ; implicit-def: $vgpr8_vgpr9
                                        ; kill: killed $vgpr8_vgpr9
                                        ; implicit-def: $vgpr12_vgpr13
	s_wait_dscnt 0x0
	v_readfirstlane_b32 s16, v5
	s_wait_loadcnt 0x0
	v_and_b32_e32 v7, 0xff, v4
	s_wait_xcnt 0x0
	s_delay_alu instid0(VALU_DEP_1)
	v_cmpx_ne_u32_e64 v5, v7
	s_xor_b32 s0, exec_lo, s0
	s_cbranch_execz .LBB6_6
; %bb.1:
	v_bfe_u32 v6, v4, 8, 8
	v_not_b32_e32 v4, v7
	s_mov_b32 s1, exec_lo
                                        ; implicit-def: $vgpr18_vgpr19
                                        ; implicit-def: $vgpr8_vgpr9
                                        ; kill: killed $vgpr8_vgpr9
                                        ; implicit-def: $vgpr12_vgpr13
	s_delay_alu instid0(VALU_DEP_2)
	v_cmpx_ne_u32_e64 v5, v6
	s_xor_b32 s1, exec_lo, s1
	s_cbranch_execz .LBB6_3
; %bb.2:
	s_clause 0x1
	flat_load_b128 v[6:9], v[2:3] offset:72
	flat_load_b64 v[10:11], v[2:3] offset:96
	v_add_nc_u32_e32 v4, v5, v4
	s_wait_loadcnt_dscnt 0x101
	s_delay_alu instid0(VALU_DEP_1) | instskip(SKIP_3) | instid1(VALU_DEP_3)
	v_mad_nc_u64_u32 v[6:7], v8, v4, v[6:7]
	s_wait_loadcnt_dscnt 0x0
	v_lshrrev_b64 v[18:19], 12, v[10:11]
	v_mov_b64_e32 v[12:13], v[8:9]
	v_mad_u32 v5, v9, v4, v7
	v_ashrrev_i32_e32 v4, 31, v4
	s_delay_alu instid0(VALU_DEP_1)
	v_mad_u32 v7, v8, v4, v5
                                        ; implicit-def: $vgpr4
	scratch_store_b64 off, v[6:7], s33 offset:540 ; 8-byte Folded Spill
                                        ; implicit-def: $vgpr6
.LBB6_3:
	s_wait_xcnt 0x0
	s_and_not1_saveexec_b32 s1, s1
	s_cbranch_execz .LBB6_5
; %bb.4:
	s_clause 0x1
	flat_load_b128 v[8:11], v[2:3] offset:72
	flat_load_b128 v[12:15], v[2:3] offset:88
	s_wait_loadcnt_dscnt 0x0
	v_dual_add_nc_u32 v0, v6, v4 :: v_dual_lshrrev_b32 v18, 1, v15
	s_delay_alu instid0(VALU_DEP_1) | instskip(NEXT) | instid1(VALU_DEP_1)
	v_mad_nc_u64_u32 v[6:7], v10, v0, v[8:9]
	v_mad_u32 v4, v11, v0, v7
	v_ashrrev_i32_e32 v0, 31, v0
	s_delay_alu instid0(VALU_DEP_1)
	v_mad_u32 v7, v10, v0, v4
	scratch_store_b64 off, v[6:7], s33 offset:540 ; 8-byte Folded Spill
.LBB6_5:
	s_wait_xcnt 0x0
	s_or_b32 exec_lo, exec_lo, s1
.LBB6_6:
	s_and_not1_saveexec_b32 s0, s0
	s_cbranch_execz .LBB6_8
; %bb.7:
	s_clause 0x1
	flat_load_b64 v[4:5], v[2:3] offset:96
	flat_load_b64 v[12:13], v[2:3] offset:72
	s_wait_loadcnt_dscnt 0x101
	v_lshlrev_b64_e32 v[18:19], 9, v[4:5]
	v_mov_b64_e32 v[4:5], 0
	scratch_store_b64 off, v[4:5], s33 offset:540 ; 8-byte Folded Spill
.LBB6_8:
	s_wait_xcnt 0x0
	s_or_b32 exec_lo, exec_lo, s0
	s_trap 2
	ds_load_b64 v[4:5], v0
	s_mov_b32 s1, 0
	s_mov_b32 s2, exec_lo
	s_wait_dscnt 0x0
	v_cmp_ne_u32_e32 vcc_lo, -1, v4
	v_cndmask_b32_e64 v19, 0, 1, vcc_lo
	v_cmp_ne_u32_e32 vcc_lo, -1, v5
	s_delay_alu instid0(VALU_DEP_2) | instskip(NEXT) | instid1(VALU_DEP_1)
	v_add_co_ci_u32_e64 v9, null, 0, v19, vcc_lo
	v_lshlrev_b32_e32 v4, 1, v9
	s_delay_alu instid0(VALU_DEP_1)
	v_cmpx_le_u32_e64 v4, v1
	s_xor_b32 s44, exec_lo, s2
	s_cbranch_execnz .LBB6_9
; %bb.15033:
	s_add_pc_i64 .LBB6_15018-.Lpost_addpc26
.Lpost_addpc26:
.LBB6_9:
	s_wait_loadcnt 0x0
	scratch_store_b128 off, v[12:15], s33 offset:548 ; 16-byte Folded Spill
	s_clause 0x3
	flat_load_b128 v[10:13], v[2:3] offset:16
	flat_load_b64 v[4:5], v[2:3] offset:104
	flat_load_u16 v7, v[2:3] offset:8
	flat_load_b32 v6, v[2:3] offset:4
	s_trap 2
	s_load_b32 s0, s[8:9], 0x0
	s_bfe_u32 s2, ttmp6, 0x4000c
	s_and_b32 s3, ttmp6, 15
	s_add_co_i32 s2, s2, 1
	s_getreg_b32 s4, hwreg(HW_REG_IB_STS2, 6, 4)
	s_mul_i32 s2, ttmp9, s2
	v_dual_mov_b32 v8, 0 :: v_dual_mov_b32 v81, 4
	s_add_co_i32 s3, s3, s2
	s_cmp_eq_u32 s4, 0
	ds_load_b32 v14, v0
	s_cselect_b32 s2, ttmp9, s3
	s_wait_kmcnt 0x0
	s_cmp_lt_u32 s2, s0
	s_cselect_b32 s0, 12, 18
	s_delay_alu instid0(SALU_CYCLE_1)
	s_add_nc_u64 s[0:1], s[8:9], s[0:1]
	global_load_u16 v8, v8, s[0:1]
	s_wait_xcnt 0x0
	s_mov_b32 s1, exec_lo
	s_wait_dscnt 0x0
	v_readfirstlane_b32 s7, v14
	v_cmpx_ge_i32_e64 v80, v19
	s_cbranch_execz .LBB6_19
; %bb.10:
	v_cmp_ge_u32_e64 s0, v80, v9
                                        ; implicit-def: $vgpr81
	s_and_saveexec_b32 s2, s0
	s_delay_alu instid0(SALU_CYCLE_1)
	s_xor_b32 s0, exec_lo, s2
	s_cbranch_execz .LBB6_16
; %bb.11:
	v_cndmask_b32_e64 v14, 0, 1, vcc_lo
	s_mov_b32 s2, exec_lo
	s_delay_alu instid0(VALU_DEP_1) | instskip(NEXT) | instid1(VALU_DEP_1)
	v_sub_nc_u32_e32 v14, v1, v14
	v_cmpx_ge_u32_e64 v80, v14
	s_xor_b32 s2, exec_lo, s2
; %bb.12:
                                        ; implicit-def: $vgpr9
; %bb.13:
	s_delay_alu instid0(SALU_CYCLE_1)
	s_or_saveexec_b32 s2, s2
	v_mov_b32_e32 v81, 16
	s_xor_b32 exec_lo, exec_lo, s2
; %bb.14:
	v_sub_nc_u32_e32 v9, v1, v9
	s_delay_alu instid0(VALU_DEP_1)
	v_cmp_lt_i32_e32 vcc_lo, v80, v9
	v_cndmask_b32_e64 v81, 32, 0, vcc_lo
; %bb.15:
	s_or_b32 exec_lo, exec_lo, s2
.LBB6_16:
	s_and_not1_saveexec_b32 s0, s0
; %bb.17:
	v_mov_b32_e32 v81, 8
; %bb.18:
	s_or_b32 exec_lo, exec_lo, s0
.LBB6_19:
	s_delay_alu instid0(SALU_CYCLE_1) | instskip(NEXT) | instid1(VALU_DEP_1)
	s_or_b32 exec_lo, exec_lo, s1
	v_and_b32_e32 v9, 36, v81
	s_delay_alu instid0(VALU_DEP_1)
	v_cmp_ne_u32_e32 vcc_lo, 0, v9
	v_mov_b32_e32 v9, -1
	s_and_saveexec_b32 s0, vcc_lo
	s_cbranch_execz .LBB6_21
; %bb.20:
	s_trap 2
	ds_load_b32 v9, v0
.LBB6_21:
	s_or_b32 exec_lo, exec_lo, s0
	v_and_b32_e32 v14, 24, v81
	s_mov_b32 s1, exec_lo
	s_delay_alu instid0(VALU_DEP_1)
	v_cmpx_ne_u32_e32 0, v14
	s_cbranch_execz .LBB6_23
; %bb.22:
	s_trap 2
	s_wait_dscnt 0x0
	ds_load_b32 v9, v0
.LBB6_23:
	s_or_b32 exec_lo, exec_lo, s1
	s_wait_loadcnt 0x1
	v_lshrrev_b64 v[6:7], 31, v[6:7]
	v_mov_b64_e32 v[16:17], 0
	v_mov_b64_e32 v[82:83], 0
                                        ; implicit-def: $vgpr96
                                        ; implicit-def: $vgpr94_vgpr95
                                        ; implicit-def: $vgpr98_vgpr99
                                        ; implicit-def: $vgpr102_vgpr103
                                        ; implicit-def: $vgpr86_vgpr87
	s_delay_alu instid0(VALU_DEP_3)
	v_and_b32_e32 v14, 3, v6
                                        ; implicit-def: $vgpr6_vgpr7
                                        ; kill: killed $vgpr6_vgpr7
	s_and_saveexec_b32 s0, vcc_lo
	s_cbranch_execz .LBB6_33
; %bb.24:
	s_trap 2
	ds_load_b64 v[6:7], v0
	v_and_b32_e32 v15, 0xffff, v14
	s_mov_b32 s1, exec_lo
                                        ; implicit-def: $vgpr16_vgpr17
                                        ; kill: killed $vgpr16_vgpr17
	s_wait_dscnt 0x0
	v_readfirstlane_b32 s2, v6
	v_readfirstlane_b32 s3, v7
	flat_load_b64 v[6:7], v9, s[2:3] scale_offset
	s_wait_loadcnt_dscnt 0x0
	v_mad_nc_u64_u32 v[6:7], 0xa8, v15, v[6:7]
	flat_load_b32 v15, v[6:7] offset:640
	s_wait_loadcnt_dscnt 0x0
	v_cmpx_eq_u32_e32 1, v15
	s_cbranch_execz .LBB6_26
; %bb.25:
	flat_load_b64 v[20:21], v[6:7] offset:648
	v_or_b32_e32 v81, 0x2000, v81
	s_wait_loadcnt_dscnt 0x0
	flat_load_b64 v[16:17], v[20:21]
	s_trap 2
	scratch_store_b64 off, v[20:21], s33 offset:584 ; 8-byte Folded Spill
	s_wait_loadcnt_dscnt 0x0
	ds_store_b64 v0, v[16:17]
	flat_load_b64 v[16:17], v[20:21] offset:8
	s_wait_loadcnt_dscnt 0x0
	ds_store_b64 v0, v[16:17]
	flat_load_b64 v[16:17], v[20:21] offset:16
	s_wait_loadcnt_dscnt 0x0
	ds_store_b64 v0, v[16:17]
.LBB6_26:
	s_wait_xcnt 0x0
	s_or_b32 exec_lo, exec_lo, s1
	flat_load_b64 v[16:17], v[6:7] offset:608
	v_and_b32_e32 v15, 32, v81
	s_mov_b32 s1, exec_lo
                                        ; implicit-def: $vgpr86_vgpr87
	s_wait_loadcnt_dscnt 0x0
	v_add_nc_u64_e32 v[94:95], 3, v[16:17]
	s_delay_alu instid0(VALU_DEP_1)
	v_and_b32_e32 v94, -4, v94
	s_wait_xcnt 0x0
	v_cmpx_ne_u32_e32 0, v15
	s_cbranch_execz .LBB6_28
; %bb.27:
	flat_load_b64 v[86:87], v[6:7] offset:560
	global_wb scope:SCOPE_SYS
	s_wait_storecnt 0x0
	s_wait_xcnt 0x0
	s_wait_loadcnt_dscnt 0x0
	flat_store_b64 v[86:87], v[94:95] scope:SCOPE_SYS
.LBB6_28:
	s_wait_xcnt 0x0
	s_or_b32 exec_lo, exec_lo, s1
	v_add_nc_u64_e32 v[16:17], 0x1f8, v[6:7]
	v_mov_b64_e32 v[82:83], 0
	v_and_b32_e32 v15, 4, v81
	s_mov_b32 s1, exec_lo
                                        ; implicit-def: $vgpr96
                                        ; implicit-def: $vgpr98_vgpr99
                                        ; implicit-def: $vgpr102_vgpr103
	s_delay_alu instid0(VALU_DEP_1)
	v_cmpx_ne_u32_e32 0, v15
	s_cbranch_execz .LBB6_32
; %bb.29:
	v_and_b32_e32 v15, 0x800, v81
	s_mov_b32 s2, exec_lo
	s_delay_alu instid0(VALU_DEP_1)
	v_cmpx_eq_u32_e32 0, v15
	s_cbranch_execz .LBB6_31
; %bb.30:
	s_trap 2
	ds_store_b64 v0, v[16:17]
.LBB6_31:
	s_or_b32 exec_lo, exec_lo, s2
	flat_load_b64 v[86:87], v[6:7] offset:552
	s_wait_loadcnt_dscnt 0x0
	flat_load_b64 v[102:103], v[86:87] scope:SCOPE_SYS
	s_clause 0x2
	flat_load_b64 v[82:83], v[6:7] offset:600
	flat_load_b32 v96, v[6:7] offset:576
	flat_load_b64 v[98:99], v[6:7] offset:520
	s_wait_xcnt 0x0
	v_or_b32_e32 v6, 0x100, v81
	s_wait_loadcnt_dscnt 0x202
	v_cmp_eq_u64_e32 vcc_lo, 0, v[82:83]
	s_delay_alu instid0(VALU_DEP_2)
	v_cndmask_b32_e32 v81, v6, v81, vcc_lo
.LBB6_32:
	s_or_b32 exec_lo, exec_lo, s1
.LBB6_33:
	s_delay_alu instid0(SALU_CYCLE_1) | instskip(NEXT) | instid1(VALU_DEP_1)
	s_or_b32 exec_lo, exec_lo, s0
	v_and_b32_e32 v6, 24, v81
	s_mov_b32 s0, exec_lo
                                        ; implicit-def: $vgpr100_vgpr101
	s_delay_alu instid0(VALU_DEP_1)
	v_cmpx_ne_u32_e32 0, v6
	s_cbranch_execz .LBB6_41
; %bb.34:
	s_trap 2
	ds_load_b64 v[6:7], v0
	s_mov_b32 s1, exec_lo
                                        ; implicit-def: $vgpr100_vgpr101
	s_wait_dscnt 0x0
	v_readfirstlane_b32 s2, v6
	v_readfirstlane_b32 s3, v7
	flat_load_b64 v[6:7], v9, s[2:3] scale_offset
	s_wait_xcnt 0x0
	v_and_b32_e32 v9, 0xffff, v14
	s_wait_loadcnt_dscnt 0x0
	s_delay_alu instid0(VALU_DEP_1)
	v_mad_nc_u64_u32 v[16:17], 0xa8, v9, v[6:7]
	v_or_b32_e32 v6, 0x100, v81
	flat_load_b128 v[82:85], v[16:17] offset:96
	s_wait_loadcnt_dscnt 0x0
	v_cmp_eq_u64_e32 vcc_lo, 0, v[82:83]
	v_cndmask_b32_e32 v81, v6, v81, vcc_lo
	s_delay_alu instid0(VALU_DEP_1) | instskip(SKIP_1) | instid1(VALU_DEP_1)
	v_and_b32_e32 v6, 16, v81
	s_wait_xcnt 0x0
	v_cmpx_ne_u32_e32 0, v6
	s_cbranch_execz .LBB6_36
; %bb.35:
	s_clause 0x2
	flat_load_b64 v[86:87], v[16:17] offset:48
	flat_load_b64 v[100:101], v[16:17] offset:120
	;; [unrolled: 1-line block ×3, first 2 shown]
.LBB6_36:
	s_wait_xcnt 0x0
	s_or_b32 exec_lo, exec_lo, s1
	v_add_nc_u64_e32 v[94:95], 3, v[84:85]
	v_and_b32_e32 v6, 8, v81
	s_mov_b32 s1, exec_lo
	s_delay_alu instid0(VALU_DEP_2) | instskip(NEXT) | instid1(VALU_DEP_2)
	v_and_b32_e32 v94, -4, v94
	v_cmpx_ne_u32_e32 0, v6
	s_cbranch_execz .LBB6_40
; %bb.37:
	v_and_b32_e32 v6, 0x800, v81
	s_mov_b32 s2, exec_lo
	s_delay_alu instid0(VALU_DEP_1)
	v_cmpx_eq_u32_e32 0, v6
	s_cbranch_execz .LBB6_39
; %bb.38:
	s_trap 2
	ds_store_b64 v0, v[16:17]
.LBB6_39:
	s_or_b32 exec_lo, exec_lo, s2
	s_wait_loadcnt_dscnt 0x202
	flat_load_b64 v[86:87], v[16:17] offset:56
	s_wait_loadcnt_dscnt 0x0
	flat_load_b64 v[102:103], v[86:87] scope:SCOPE_SYS
	s_clause 0x1
	flat_load_b32 v96, v[16:17] offset:72
	flat_load_b64 v[98:99], v[16:17] offset:16
.LBB6_40:
	s_wait_xcnt 0x0
	s_or_b32 exec_lo, exec_lo, s1
.LBB6_41:
	s_delay_alu instid0(SALU_CYCLE_1)
	s_or_b32 exec_lo, exec_lo, s0
	v_cmp_eq_u32_e64 s0, 0, v80
	s_and_saveexec_b32 s1, s0
	s_cbranch_execz .LBB6_43
; %bb.42:
	flat_load_b64 v[6:7], v[2:3] offset:32
	ds_store_2addr_b64 v0, v[12:13], v[10:11] offset1:1
	s_trap 2
	s_wait_loadcnt_dscnt 0x1
	ds_store_b64 v0, v[6:7]
	ds_store_b64 v0, v[4:5]
.LBB6_43:
	s_wait_xcnt 0x0
	s_or_b32 exec_lo, exec_lo, s1
	scratch_load_b128 v[4:7], off, s33 offset:548 ; 16-byte Folded Reload
	v_mov_b64_e32 v[84:85], 0
	s_wait_loadcnt 0x1
	v_and_b32_e32 v0, 0xffff, v8
	s_mov_b32 s45, exec_lo
	scratch_store_b32 off, v0, s33 offset:564 ; 4-byte Folded Spill
	s_wait_loadcnt 0x0
	v_cmpx_lt_i64_e32 0, v[4:5]
	s_cbranch_execnz .LBB6_44
; %bb.15035:
	s_add_pc_i64 .LBB6_14984-.Lpost_addpc27
.Lpost_addpc27:
.LBB6_44:
	flat_load_b32 v2, v[2:3] offset:4
	scratch_load_b32 v3, off, s33 offset:564 ; 4-byte Folded Reload
	v_dual_mov_b32 v21, 0 :: v_dual_bitop2_b32 v0, 31, v31 bitop3:0x40
	s_ashr_i32 s17, s16, 31
	s_add_co_i32 s46, s16, s16
	s_not_b32 s6, s16
	s_cmp_gt_i32 s16, 0
	v_and_b32_e32 v8, 0x3ffffe00, v18
	s_cselect_b32 s6, s6, -1
	s_wait_dscnt 0x2
	v_dual_ashrrev_i32 v97, 31, v96 :: v_dual_lshrrev_b32 v26, 5, v1
	s_add_co_i32 s26, s6, s46
	v_cmp_eq_u32_e64 s6, 0, v0
	v_and_b32_e32 v114, 0x1fe0, v1
	s_wait_dscnt 0x1
	v_dual_mov_b32 v40, 0x88 :: v_dual_mov_b32 v9, v21
	v_cmp_ge_i32_e32 vcc_lo, v80, v1
	v_cmp_eq_u32_e64 s1, 32, v1
	v_cmp_ne_u32_e64 s2, 32, v1
	scratch_store_b32 off, v1, s33 offset:568 ; 4-byte Folded Spill
	v_dual_mov_b32 v45, v21 :: v_dual_lshlrev_b32 v46, 9, v26
	v_subrev_nc_u32_e32 v60, 32, v114
	v_mul_u64_e32 v[62:63], s[16:17], v[8:9]
	s_ashr_i32 s10, s7, 31
	v_dual_mov_b32 v47, v21 :: v_dual_lshlrev_b32 v6, 10, v26
	v_add_nc_u32_e32 v72, 0xfffffe00, v46
	s_lshr_b32 s10, s10, 25
	v_dual_mov_b32 v7, v21 :: v_dual_mov_b32 v115, v21
	s_add_co_i32 s7, s7, s10
	s_ashr_i32 s27, s26, 31
	s_ashr_i32 s47, s7, 7
	s_cmp_gt_i32 s16, 2
	v_mov_b64_e32 v[116:117], 0
	s_cselect_b32 s56, -1, 0
	s_add_co_i32 s13, s16, 1
	v_cmp_eq_u64_e64 s4, 0, v[100:101]
	v_cmp_ne_u64_e64 s5, 0, v[100:101]
	v_mov_b64_e32 v[42:43], 0
	v_mov_b64_e32 v[84:85], 0
	v_dual_mov_b32 v27, v21 :: v_dual_lshlrev_b32 v44, 12, v26
	v_dual_mov_b32 v59, v21 :: v_dual_lshlrev_b32 v58, 11, v26
	s_mov_b32 s19, 0
	s_mov_b64 s[20:21], 0xffffffff
	s_mov_b64 s[22:23], 0xffffffffffffff
	s_add_nc_u64 s[24:25], s[16:17], -1
	s_mov_b32 s61, 0
	s_wait_loadcnt_dscnt 0x100
	v_dual_mov_b32 v118, 1 :: v_dual_bitop2_b32 v2, 1, v2 bitop3:0x40
	s_wait_loadcnt 0x0
	v_cmp_ne_u32_e64 s3, v1, v3
	v_ashrrev_i32_e32 v3, 31, v80
	v_mov_b32_e32 v119, 0x90
	v_cmp_eq_u32_e64 s10, 1, v2
	s_delay_alu instid0(VALU_DEP_3) | instskip(SKIP_2) | instid1(VALU_DEP_1)
	v_lshrrev_b32_e32 v0, 27, v3
	s_xor_b32 s57, s10, -1
	s_cmp_ge_i32 s13, s16
	v_add_nc_u32_e32 v0, v80, v0
	s_cselect_b32 s14, s16, 0
	s_add_co_i32 s58, s16, -2
	s_xor_b32 s59, vcc_lo, -1
	s_ashr_i32 s28, s17, 31
	v_and_b32_e32 v3, 0xffffffe0, v0
	s_sub_co_i32 s60, 0, s16
	s_sub_co_i32 s40, s13, s14
	s_delay_alu instid0(SALU_CYCLE_1)
	s_ashr_i32 s41, s40, 31
	s_wait_xcnt 0x0
	v_dual_sub_nc_u32 v1, v80, v3 :: v_dual_ashrrev_i32 v41, 5, v0
	v_ashrrev_i32_e32 v61, 31, v60
	v_ashrrev_i32_e32 v73, 31, v72
	s_clause 0x3
	scratch_store_b64 off, v[6:7], s33 offset:244
	scratch_store_b32 off, v31, s33 offset:572
	scratch_store_b64 off, v[8:9], s33 offset:504
	scratch_store_b32 off, v1, s33 offset:492
	v_dual_lshlrev_b32 v0, 12, v41 :: v_dual_lshlrev_b32 v3, 11, v41
	v_cmp_gt_i32_e64 s7, 1, v1
	v_cmp_lt_i32_e64 s11, v1, v19
	v_cmp_le_i32_e64 s12, v1, v19
	s_delay_alu instid0(VALU_DEP_4) | instskip(SKIP_2) | instid1(VALU_DEP_3)
	v_lshl_add_u32 v76, v1, 4, v0
	v_add_nc_u64_e32 v[74:75], 32, v[60:61]
	v_add_nc_u64_e32 v[78:79], 0x200, v[72:73]
	v_dual_sub_nc_u32 v0, v76, v3 :: v_dual_ashrrev_i32 v77, 31, v76
	s_wait_xcnt 0x0
	s_delay_alu instid0(VALU_DEP_1)
	v_ashrrev_i32_e32 v1, 31, v0
	s_clause 0x1
	scratch_store_b64 off, v[16:17], s33 offset:576
	scratch_store_b64 off, v[0:1], s33 offset:524
	s_wait_xcnt 0x0
	v_mov_b64_e32 v[0:1], v[82:83]
	s_trap 2
	s_clause 0x11
	scratch_store_b32 off, v80, s33 offset:364
	scratch_store_b128 off, v[0:3], s33 offset:368
	scratch_store_b64 off, v[86:87], s33 offset:384
	scratch_store_b64 off, v[96:97], s33 offset:392
	scratch_store_b64 off, v[98:99], s33 offset:400
	scratch_store_b64 off, v[100:101], s33 offset:408
	scratch_store_b64 off, v[26:27], s33 offset:188
	scratch_store_b64 off, v[114:115], s33 offset:416
	scratch_store_b64 off, v[44:45], s33 offset:424
	scratch_store_b64 off, v[46:47], s33 offset:432
	scratch_store_b64 off, v[58:59], s33 offset:252
	scratch_store_b64 off, v[60:61], s33 offset:440
	scratch_store_b64 off, v[62:63], s33 offset:448
	scratch_store_b64 off, v[72:73], s33 offset:456
	scratch_store_b32 off, v41, s33 offset:464
	scratch_store_b64 off, v[74:75], s33 offset:468
	scratch_store_b64 off, v[76:77], s33 offset:476
	;; [unrolled: 1-line block ×3, first 2 shown]
	s_branch .LBB6_47
.LBB6_45:                               ;   in Loop: Header=BB6_47 Depth=1
	s_or_b32 exec_lo, exec_lo, s15
.LBB6_46:                               ;   in Loop: Header=BB6_47 Depth=1
	s_delay_alu instid0(SALU_CYCLE_1) | instskip(SKIP_3) | instid1(VALU_DEP_1)
	s_or_b32 exec_lo, exec_lo, s14
	scratch_load_b128 v[4:7], off, s33 offset:548 ; 16-byte Folded Reload
	v_add_nc_u64_e32 v[42:43], v[42:43], v[62:63]
	s_wait_loadcnt 0x0
	v_cmp_ge_i64_e32 vcc_lo, v[42:43], v[4:5]
	s_or_b32 s61, vcc_lo, s61
	s_wait_xcnt 0x0
	s_and_not1_b32 exec_lo, exec_lo, s61
	s_cbranch_execnz .LBB6_47
; %bb.15037:
	s_add_pc_i64 .LBB6_14983-.Lpost_addpc28
.Lpost_addpc28:
.LBB6_47:                               ; =>This Loop Header: Depth=1
                                        ;     Child Loop BB6_57 Depth 2
                                        ;       Child Loop BB6_65 Depth 3
                                        ;       Child Loop BB6_89 Depth 3
	;; [unrolled: 1-line block ×9, first 2 shown]
                                        ;     Child Loop BB6_199 Depth 2
                                        ;       Child Loop BB6_205 Depth 3
                                        ;       Child Loop BB6_229 Depth 3
	;; [unrolled: 1-line block ×3, first 2 shown]
                                        ;     Child Loop BB6_271 Depth 2
                                        ;       Child Loop BB6_274 Depth 3
                                        ;         Child Loop BB6_282 Depth 4
                                        ;         Child Loop BB6_310 Depth 4
	;; [unrolled: 1-line block ×9, first 2 shown]
                                        ;       Child Loop BB6_5008 Depth 3
                                        ;         Child Loop BB6_5014 Depth 4
                                        ;         Child Loop BB6_5042 Depth 4
                                        ;         Child Loop BB6_5061 Depth 4
                                        ;     Child Loop BB6_5083 Depth 2
                                        ;       Child Loop BB6_5091 Depth 3
                                        ;       Child Loop BB6_5119 Depth 3
	;; [unrolled: 1-line block ×5, first 2 shown]
                                        ;         Child Loop BB6_8283 Depth 4
                                        ;       Child Loop BB6_8318 Depth 3
                                        ;       Child Loop BB6_9729 Depth 3
                                        ;         Child Loop BB6_9774 Depth 4
                                        ;       Child Loop BB6_9788 Depth 3
                                        ;       Child Loop BB6_12353 Depth 3
	;; [unrolled: 1-line block ×6, first 2 shown]
                                        ;     Child Loop BB6_14440 Depth 2
                                        ;       Child Loop BB6_14446 Depth 3
                                        ;       Child Loop BB6_14474 Depth 3
	;; [unrolled: 1-line block ×3, first 2 shown]
                                        ;     Child Loop BB6_14515 Depth 2
                                        ;       Child Loop BB6_14518 Depth 3
                                        ;         Child Loop BB6_14526 Depth 4
                                        ;         Child Loop BB6_14554 Depth 4
	;; [unrolled: 1-line block ×5, first 2 shown]
                                        ;           Child Loop BB6_14606 Depth 5
                                        ;         Child Loop BB6_14615 Depth 4
                                        ;         Child Loop BB6_14620 Depth 4
                                        ;           Child Loop BB6_14621 Depth 5
                                        ;         Child Loop BB6_14633 Depth 4
                                        ;         Child Loop BB6_14638 Depth 4
	;; [unrolled: 1-line block ×6, first 2 shown]
                                        ;       Child Loop BB6_14699 Depth 3
                                        ;         Child Loop BB6_14705 Depth 4
                                        ;         Child Loop BB6_14733 Depth 4
	;; [unrolled: 1-line block ×3, first 2 shown]
                                        ;     Child Loop BB6_14777 Depth 2
                                        ;       Child Loop BB6_14785 Depth 3
                                        ;       Child Loop BB6_14809 Depth 3
	;; [unrolled: 1-line block ×9, first 2 shown]
                                        ;     Child Loop BB6_14917 Depth 2
                                        ;       Child Loop BB6_14923 Depth 3
                                        ;       Child Loop BB6_14947 Depth 3
	;; [unrolled: 1-line block ×3, first 2 shown]
	s_wait_xcnt 0x10
	v_sub_nc_u64_e32 v[0:1], v[4:5], v[42:43]
	s_mov_b32 s42, exec_lo
	scratch_store_b64 off, v[0:1], s33 offset:496 ; 8-byte Folded Spill
	s_wait_xcnt 0x0
	v_cmpx_lt_i64_e64 v[0:1], v[62:63]
	s_cbranch_execz .LBB6_53
; %bb.48:                               ;   in Loop: Header=BB6_47 Depth=1
	scratch_load_b64 v[0:1], off, s33 offset:496 ; 8-byte Folded Reload
	v_mov_b32_e32 v2, v21
	s_wait_loadcnt 0x0
	v_add_nc_u64_e32 v[0:1], s[24:25], v[0:1]
	s_delay_alu instid0(VALU_DEP_1) | instskip(NEXT) | instid1(VALU_DEP_1)
	v_or_b32_e32 v3, s17, v1
	v_cmp_ne_u64_e32 vcc_lo, 0, v[2:3]
                                        ; implicit-def: $vgpr2_vgpr3
	s_wait_xcnt 0x0
	s_and_saveexec_b32 s13, vcc_lo
	s_delay_alu instid0(SALU_CYCLE_1)
	s_xor_b32 s43, exec_lo, s13
	s_cbranch_execz .LBB6_50
; %bb.49:                               ;   in Loop: Header=BB6_47 Depth=1
	s_mov_b32 s29, s28
	v_dual_mov_b32 v5, v21 :: v_dual_ashrrev_i32 v2, 31, v1
	s_add_nc_u64 s[14:15], s[16:17], s[28:29]
	v_dual_mov_b32 v9, v21 :: v_dual_mov_b32 v13, v21
	s_xor_b64 s[14:15], s[14:15], s[28:29]
	s_delay_alu instid0(VALU_DEP_2) | instskip(SKIP_3) | instid1(VALU_DEP_1)
	v_mov_b32_e32 v3, v2
	s_cvt_f32_u32 s13, s14
	s_cvt_f32_u32 s18, s15
	s_sub_nc_u64 s[72:73], 0, s[14:15]
	v_add_nc_u64_e32 v[0:1], v[0:1], v[2:3]
	s_delay_alu instid0(SALU_CYCLE_1) | instskip(NEXT) | instid1(SALU_CYCLE_3)
	s_fmamk_f32 s13, s18, 0x4f800000, s13
	v_s_rcp_f32 s13, s13
	s_delay_alu instid0(VALU_DEP_1) | instskip(NEXT) | instid1(VALU_DEP_2)
	v_xor_b32_e32 v4, v0, v2
	v_xor_b32_e32 v8, v1, v2
	s_delay_alu instid0(TRANS32_DEP_1) | instskip(NEXT) | instid1(SALU_CYCLE_3)
	s_mul_f32 s13, s13, 0x5f7ffffc
	s_mul_f32 s18, s13, 0x2f800000
	s_delay_alu instid0(SALU_CYCLE_3) | instskip(NEXT) | instid1(SALU_CYCLE_3)
	s_trunc_f32 s18, s18
	s_fmamk_f32 s13, s18, 0xcf800000, s13
	s_cvt_u32_f32 s63, s18
	s_delay_alu instid0(SALU_CYCLE_2) | instskip(NEXT) | instid1(SALU_CYCLE_3)
	s_cvt_u32_f32 s62, s13
	s_mul_u64 s[74:75], s[72:73], s[62:63]
	s_delay_alu instid0(SALU_CYCLE_1)
	s_mul_hi_u32 s77, s62, s75
	s_mul_i32 s76, s62, s75
	s_mul_hi_u32 s18, s62, s74
	s_mul_i32 s29, s63, s74
	s_add_nc_u64 s[76:77], s[18:19], s[76:77]
	s_mul_hi_u32 s13, s63, s74
	s_mul_hi_u32 s78, s63, s75
	s_add_co_u32 s18, s76, s29
	s_add_co_ci_u32 s18, s77, s13
	s_mul_i32 s74, s63, s75
	s_add_co_ci_u32 s75, s78, 0
	s_delay_alu instid0(SALU_CYCLE_1) | instskip(NEXT) | instid1(SALU_CYCLE_1)
	s_add_nc_u64 s[74:75], s[18:19], s[74:75]
	s_add_co_u32 s62, s62, s74
	s_cselect_b32 s13, -1, 0
	s_delay_alu instid0(SALU_CYCLE_1) | instskip(SKIP_1) | instid1(SALU_CYCLE_1)
	s_cmp_lg_u32 s13, 0
	s_add_co_ci_u32 s63, s63, s75
	s_mul_u64 s[72:73], s[72:73], s[62:63]
	s_delay_alu instid0(SALU_CYCLE_1)
	s_mul_hi_u32 s75, s62, s73
	s_mul_i32 s74, s62, s73
	s_mul_hi_u32 s18, s62, s72
	s_mul_i32 s29, s63, s72
	s_add_nc_u64 s[74:75], s[18:19], s[74:75]
	s_mul_hi_u32 s13, s63, s72
	s_mul_hi_u32 s76, s63, s73
	s_add_co_u32 s18, s74, s29
	s_add_co_ci_u32 s18, s75, s13
	s_mul_i32 s72, s63, s73
	s_add_co_ci_u32 s73, s76, 0
	s_delay_alu instid0(SALU_CYCLE_1) | instskip(NEXT) | instid1(SALU_CYCLE_1)
	s_add_nc_u64 s[72:73], s[18:19], s[72:73]
	s_add_co_u32 s62, s62, s72
	s_cselect_b32 s13, -1, 0
	v_mul_hi_u32 v12, v4, s62
	s_cmp_lg_u32 s13, 0
	s_add_co_ci_u32 s18, s63, s73
	s_and_b64 s[72:73], s[62:63], s[20:21]
	v_mul_u64_e32 v[6:7], s[18:19], v[4:5]
	v_mul_u64_e32 v[0:1], s[72:73], v[8:9]
	;; [unrolled: 1-line block ×3, first 2 shown]
	s_delay_alu instid0(VALU_DEP_3) | instskip(NEXT) | instid1(VALU_DEP_1)
	v_add_nc_u64_e32 v[6:7], v[12:13], v[6:7]
	v_add_co_u32 v0, vcc_lo, v6, v0
	s_delay_alu instid0(VALU_DEP_2) | instskip(NEXT) | instid1(VALU_DEP_4)
	v_add_co_ci_u32_e32 v12, vcc_lo, v7, v1, vcc_lo
	v_add_co_ci_u32_e32 v11, vcc_lo, 0, v11, vcc_lo
	s_delay_alu instid0(VALU_DEP_1) | instskip(NEXT) | instid1(VALU_DEP_1)
	v_add_nc_u64_e32 v[0:1], v[12:13], v[10:11]
	v_mul_u64_e32 v[6:7], s[14:15], v[0:1]
	s_delay_alu instid0(VALU_DEP_1) | instskip(NEXT) | instid1(VALU_DEP_2)
	v_sub_nc_u32_e32 v3, v8, v7
	v_sub_co_u32 v4, vcc_lo, v4, v6
	s_delay_alu instid0(VALU_DEP_1) | instskip(NEXT) | instid1(VALU_DEP_3)
	v_sub_co_ci_u32_e64 v8, null, v8, v7, vcc_lo
	v_subrev_co_ci_u32_e64 v3, null, s15, v3, vcc_lo
	s_delay_alu instid0(VALU_DEP_3) | instskip(NEXT) | instid1(VALU_DEP_1)
	v_sub_co_u32 v5, s13, v4, s14
	v_subrev_co_ci_u32_e64 v3, null, 0, v3, s13
	s_delay_alu instid0(VALU_DEP_2) | instskip(SKIP_1) | instid1(VALU_DEP_3)
	v_cmp_le_u32_e32 vcc_lo, s14, v5
	v_cndmask_b32_e64 v5, 0, -1, vcc_lo
	v_cmp_le_u32_e32 vcc_lo, s15, v3
	v_cndmask_b32_e64 v6, 0, -1, vcc_lo
	;; [unrolled: 2-line block ×4, first 2 shown]
	v_cmp_eq_u32_e32 vcc_lo, s15, v3
	v_cndmask_b32_e32 v3, v6, v5, vcc_lo
	v_cmp_eq_u32_e32 vcc_lo, s15, v8
	v_add_nc_u64_e32 v[4:5], 2, v[0:1]
	v_add_nc_u64_e32 v[6:7], 1, v[0:1]
	v_cndmask_b32_e32 v8, v10, v9, vcc_lo
	v_cmp_ne_u32_e32 vcc_lo, 0, v3
	s_delay_alu instid0(VALU_DEP_2) | instskip(NEXT) | instid1(VALU_DEP_4)
	v_cmp_ne_u32_e64 s13, 0, v8
	v_dual_cndmask_b32 v3, v7, v5 :: v_dual_cndmask_b32 v4, v6, v4
	s_delay_alu instid0(VALU_DEP_1) | instskip(NEXT) | instid1(VALU_DEP_1)
	v_dual_cndmask_b32 v1, v1, v3, s13 :: v_dual_bitop2_b32 v2, s28, v2 bitop3:0x14
	v_dual_cndmask_b32 v0, v0, v4, s13 :: v_dual_mov_b32 v3, v2
	s_delay_alu instid0(VALU_DEP_2) | instskip(NEXT) | instid1(VALU_DEP_2)
	v_xor_b32_e32 v1, v1, v2
	v_xor_b32_e32 v0, v0, v2
	s_delay_alu instid0(VALU_DEP_1)
	v_sub_nc_u64_e32 v[2:3], v[0:1], v[2:3]
                                        ; implicit-def: $vgpr0_vgpr1
.LBB6_50:                               ;   in Loop: Header=BB6_47 Depth=1
	s_and_not1_saveexec_b32 s13, s43
	s_cbranch_execz .LBB6_52
; %bb.51:                               ;   in Loop: Header=BB6_47 Depth=1
	v_cvt_f32_u32_e32 v1, s16
	s_delay_alu instid0(VALU_DEP_1) | instskip(SKIP_1) | instid1(TRANS32_DEP_1)
	v_rcp_iflag_f32_e32 v1, v1
	v_nop
	v_mul_f32_e32 v1, 0x4f7ffffe, v1
	s_delay_alu instid0(VALU_DEP_1) | instskip(NEXT) | instid1(VALU_DEP_1)
	v_cvt_u32_f32_e32 v1, v1
	v_mul_lo_u32 v2, s60, v1
	s_delay_alu instid0(VALU_DEP_1) | instskip(NEXT) | instid1(VALU_DEP_1)
	v_mul_hi_u32 v2, v1, v2
	v_add_nc_u32_e32 v1, v1, v2
	s_delay_alu instid0(VALU_DEP_1) | instskip(NEXT) | instid1(VALU_DEP_1)
	v_mul_hi_u32 v1, v0, v1
	v_mul_lo_u32 v2, v1, s16
	s_delay_alu instid0(VALU_DEP_1) | instskip(NEXT) | instid1(VALU_DEP_1)
	v_dual_sub_nc_u32 v0, v0, v2 :: v_dual_add_nc_u32 v2, 1, v1
	v_subrev_nc_u32_e32 v3, s16, v0
	v_cmp_le_u32_e32 vcc_lo, s16, v0
	s_delay_alu instid0(VALU_DEP_2) | instskip(NEXT) | instid1(VALU_DEP_4)
	v_dual_cndmask_b32 v0, v0, v3 :: v_dual_mov_b32 v3, v21
	v_cndmask_b32_e32 v1, v1, v2, vcc_lo
	s_delay_alu instid0(VALU_DEP_2) | instskip(NEXT) | instid1(VALU_DEP_2)
	v_cmp_le_u32_e32 vcc_lo, s16, v0
	v_add_nc_u32_e32 v2, 1, v1
	s_delay_alu instid0(VALU_DEP_1)
	v_cndmask_b32_e32 v2, v1, v2, vcc_lo
.LBB6_52:                               ;   in Loop: Header=BB6_47 Depth=1
	s_or_b32 exec_lo, exec_lo, s13
	s_delay_alu instid0(VALU_DEP_1) | instskip(NEXT) | instid1(VALU_DEP_1)
	v_add_nc_u64_e32 v[0:1], 15, v[2:3]
	v_and_b32_e32 v0, -16, v0
	scratch_store_b64 off, v[0:1], s33 offset:504 ; 8-byte Folded Spill
.LBB6_53:                               ;   in Loop: Header=BB6_47 Depth=1
	s_wait_xcnt 0x0
	s_or_b32 exec_lo, exec_lo, s42
	s_clause 0x2
	scratch_load_b64 v[2:3], off, s33 offset:504
	scratch_load_b64 v[4:5], off, s33 offset:540
	;; [unrolled: 1-line block ×3, first 2 shown]
	s_wait_loadcnt 0x2
	v_mul_u64_e32 v[6:7], s[26:27], v[2:3]
	s_wait_loadcnt 0x1
	v_add_nc_u64_e32 v[104:105], v[42:43], v[4:5]
	v_mov_b32_e32 v4, 0
	s_wait_loadcnt 0x0
	s_delay_alu instid0(VALU_DEP_3) | instskip(NEXT) | instid1(VALU_DEP_1)
	v_sub_nc_u64_e32 v[0:1], v[0:1], v[6:7]
	v_min_i64 v[0:1], v[2:3], v[0:1]
	s_delay_alu instid0(VALU_DEP_1) | instskip(SKIP_1) | instid1(VALU_DEP_2)
	v_max_i32_e32 v14, 0, v0
	v_cmp_lt_i32_e32 vcc_lo, 0, v0
	v_add_nc_u32_e32 v1, 31, v14
	s_and_b32 s13, s59, vcc_lo
	s_delay_alu instid0(VALU_DEP_1) | instskip(NEXT) | instid1(VALU_DEP_1)
	v_lshrrev_b32_e32 v1, 1, v1
	v_and_b32_e32 v2, 0x3ffffff0, v1
	s_delay_alu instid0(VALU_DEP_1)
	v_dual_mov_b32 v1, 0 :: v_dual_max_i32 v0, s47, v2
	s_wait_xcnt 0x0
	s_and_saveexec_b32 s14, s13
	s_cbranch_execz .LBB6_195
; %bb.54:                               ;   in Loop: Header=BB6_47 Depth=1
	v_mov_b32_e32 v4, 0
	s_mov_b32 s29, 1
	s_mov_b32 s18, -1
	s_mov_b32 s15, 0
	s_branch .LBB6_57
.LBB6_55:                               ;   in Loop: Header=BB6_57 Depth=2
	s_wait_xcnt 0x0
	s_or_b32 exec_lo, exec_lo, s42
	v_add_nc_u64_e32 v[94:95], 2, v[94:95]
	global_wb scope:SCOPE_SYS
	s_wait_storecnt 0x0
	s_wait_loadcnt_dscnt 0x0
	flat_store_b64 v[86:87], v[94:95] scope:SCOPE_SYS
.LBB6_56:                               ;   in Loop: Header=BB6_57 Depth=2
	s_wait_xcnt 0x0
	s_or_b32 exec_lo, exec_lo, s13
	v_dual_mov_b32 v1, s29 :: v_dual_add_nc_u32 v4, v0, v4
	s_xor_b32 s13, s18, -1
	s_mov_b32 s18, 0
	s_mov_b32 s29, 2
	s_delay_alu instid0(VALU_DEP_1) | instskip(SKIP_1) | instid1(SALU_CYCLE_1)
	v_cmp_ge_i32_e32 vcc_lo, v4, v14
	s_or_b32 s13, s13, vcc_lo
	s_and_b32 s13, exec_lo, s13
	s_delay_alu instid0(SALU_CYCLE_1) | instskip(NEXT) | instid1(SALU_CYCLE_1)
	s_or_b32 s15, s13, s15
	s_and_not1_b32 exec_lo, exec_lo, s15
	s_cbranch_execz .LBB6_194
.LBB6_57:                               ;   Parent Loop BB6_47 Depth=1
                                        ; =>  This Loop Header: Depth=2
                                        ;       Child Loop BB6_65 Depth 3
                                        ;       Child Loop BB6_89 Depth 3
	;; [unrolled: 1-line block ×9, first 2 shown]
	s_and_saveexec_b32 s13, s0
	s_cbranch_execz .LBB6_59
; %bb.58:                               ;   in Loop: Header=BB6_57 Depth=2
	s_trap 2
	ds_load_b64 v[2:3], v0
	v_ashrrev_i32_e32 v5, 31, v4
	s_wait_dscnt 0x0
	v_add_nc_u64_e32 v[2:3], v[2:3], v[104:105]
	s_delay_alu instid0(VALU_DEP_1) | instskip(NEXT) | instid1(VALU_DEP_1)
	v_add_nc_u64_e32 v[2:3], v[2:3], v[6:7]
	v_add_nc_u64_e32 v[2:3], v[2:3], v[4:5]
	ds_store_b64 v0, v[2:3]
	ds_store_b64 v0, v[116:117]
.LBB6_59:                               ;   in Loop: Header=BB6_57 Depth=2
	s_or_b32 exec_lo, exec_lo, s13
	v_dual_sub_nc_u32 v1, v14, v4 :: v_dual_bitop2_b32 v2, 8, v81 bitop3:0x40
	s_mov_b32 s42, exec_lo
	s_delay_alu instid0(VALU_DEP_1) | instskip(NEXT) | instid1(VALU_DEP_2)
	v_min_i32_e32 v0, v0, v1
	v_cmpx_ne_u32_e32 0, v2
	s_cbranch_execz .LBB6_81
; %bb.60:                               ;   in Loop: Header=BB6_57 Depth=2
	s_wait_loadcnt_dscnt 0x1
	v_add_nc_u64_e32 v[8:9], 8, v[102:103]
	v_add_nc_u64_e32 v[2:3], 2, v[94:95]
	s_mov_b32 s43, exec_lo
	s_delay_alu instid0(VALU_DEP_1)
	v_cmpx_lt_u64_e64 v[8:9], v[2:3]
	s_cbranch_execz .LBB6_72
; %bb.61:                               ;   in Loop: Header=BB6_57 Depth=2
	v_and_b32_e32 v1, 64, v81
	s_mov_b32 s62, 0
	s_mov_b32 s74, 0
                                        ; implicit-def: $sgpr63
                                        ; implicit-def: $sgpr72
                                        ; implicit-def: $sgpr73
	s_delay_alu instid0(VALU_DEP_1)
	v_cmp_eq_u32_e32 vcc_lo, 0, v1
	s_branch .LBB6_65
.LBB6_62:                               ;   in Loop: Header=BB6_65 Depth=3
	s_wait_loadcnt_dscnt 0x0
	v_add_nc_u64_e32 v[8:9], 8, v[102:103]
	s_or_b32 s77, s77, exec_lo
	s_delay_alu instid0(VALU_DEP_1)
	v_cmp_ge_u64_e64 s13, v[8:9], v[2:3]
	s_or_not1_b32 s76, s13, exec_lo
.LBB6_63:                               ;   in Loop: Header=BB6_65 Depth=3
	s_or_b32 exec_lo, exec_lo, s79
	s_delay_alu instid0(SALU_CYCLE_1)
	s_and_not1_b32 s13, s73, exec_lo
	s_and_b32 s73, s77, exec_lo
	s_and_not1_b32 s72, s72, exec_lo
	s_and_b32 s76, s76, exec_lo
	s_or_b32 s73, s13, s73
	s_or_b32 s72, s72, s76
.LBB6_64:                               ;   in Loop: Header=BB6_65 Depth=3
	s_or_b32 exec_lo, exec_lo, s75
	s_delay_alu instid0(SALU_CYCLE_1) | instskip(NEXT) | instid1(SALU_CYCLE_1)
	s_and_b32 s13, exec_lo, s72
	s_or_b32 s62, s13, s62
	s_and_not1_b32 s13, s63, exec_lo
	s_and_b32 s63, s73, exec_lo
	s_delay_alu instid0(SALU_CYCLE_1)
	s_or_b32 s63, s13, s63
	s_and_not1_b32 exec_lo, exec_lo, s62
	s_cbranch_execz .LBB6_69
.LBB6_65:                               ;   Parent Loop BB6_47 Depth=1
                                        ;     Parent Loop BB6_57 Depth=2
                                        ; =>    This Inner Loop Header: Depth=3
	s_sleep 1
	s_wait_loadcnt_dscnt 0x0
	flat_load_b64 v[102:103], v[86:87] scope:SCOPE_SYS
	s_or_b32 s73, s73, exec_lo
	s_or_b32 s72, s72, exec_lo
                                        ; implicit-def: $vgpr1
	s_wait_xcnt 0x0
	s_and_saveexec_b32 s75, vcc_lo
	s_cbranch_execz .LBB6_64
; %bb.66:                               ;   in Loop: Header=BB6_65 Depth=3
	s_cmp_lt_i32 s74, 0x270f
	s_mov_b32 s76, -1
	s_cselect_b32 s78, -1, 0
	s_cmp_gt_i32 s74, 0x270e
	s_cbranch_scc0 .LBB6_68
; %bb.67:                               ;   in Loop: Header=BB6_65 Depth=3
	s_trap 2
	ds_load_b64 v[8:9], v0
	s_and_not1_b32 s74, s78, exec_lo
	s_mov_b32 s77, 0
	s_wait_storecnt 0x0
	s_wait_loadcnt_dscnt 0x0
	flat_load_b32 v1, v[8:9] scope:SCOPE_SYS
	s_wait_loadcnt_dscnt 0x0
	global_inv scope:SCOPE_SYS
	v_cmp_eq_u32_e64 s13, 0, v1
	s_and_b32 s13, s13, exec_lo
	s_delay_alu instid0(SALU_CYCLE_1)
	s_or_b32 s78, s74, s13
	s_mov_b32 s74, 0
	s_wait_xcnt 0x0
	s_and_saveexec_b32 s79, s78
	s_cbranch_execz .LBB6_63
	s_branch .LBB6_62
.LBB6_68:                               ;   in Loop: Header=BB6_65 Depth=3
	s_add_co_i32 s74, s74, 1
	s_mov_b32 s77, -1
                                        ; implicit-def: $vgpr1
	s_and_saveexec_b32 s79, s78
	s_cbranch_execz .LBB6_63
	s_branch .LBB6_62
.LBB6_69:                               ;   in Loop: Header=BB6_57 Depth=2
	s_or_b32 exec_lo, exec_lo, s62
	s_xor_b32 s13, s63, -1
	s_delay_alu instid0(SALU_CYCLE_1) | instskip(NEXT) | instid1(SALU_CYCLE_1)
	s_and_saveexec_b32 s62, s13
	s_xor_b32 s13, exec_lo, s62
	s_cbranch_execz .LBB6_71
; %bb.70:                               ;   in Loop: Header=BB6_57 Depth=2
	v_or_b32_e32 v81, 64, v81
	s_wait_storecnt 0x0
	s_wait_loadcnt_dscnt 0x0
	ds_store_b32 v0, v1
	s_trap 2
.LBB6_71:                               ;   in Loop: Header=BB6_57 Depth=2
	s_or_b32 exec_lo, exec_lo, s13
.LBB6_72:                               ;   in Loop: Header=BB6_57 Depth=2
	s_delay_alu instid0(SALU_CYCLE_1)
	s_or_b32 exec_lo, exec_lo, s43
	v_and_b32_e32 v1, 0x100, v81
	v_dual_mov_b32 v9, v21 :: v_dual_bitop2_b32 v8, 7, v94 bitop3:0x40
	s_mov_b32 s13, -1
	s_mov_b32 s43, exec_lo
	;;#ASMSTART
	s_wakeup
	;;#ASMEND
                                        ; implicit-def: $vgpr10_vgpr11
	v_cmpx_ne_u32_e32 0, v1
	s_cbranch_execz .LBB6_76
; %bb.73:                               ;   in Loop: Header=BB6_57 Depth=2
	v_mad_nc_u64_u32 v[12:13], v8, 24, v[82:83]
	v_ashrrev_i32_e32 v1, 31, v0
	s_mov_b32 s62, exec_lo
                                        ; implicit-def: $vgpr10_vgpr11
	s_clause 0x1
	flat_load_b32 v5, v[12:13]
	flat_store_b64 v[12:13], v[0:1] offset:8
	s_wait_loadcnt_dscnt 0x1
	v_cmp_ne_u32_e32 vcc_lo, 1, v5
	s_wait_xcnt 0x0
	v_cmpx_eq_u32_e32 1, v5
	s_cbranch_execz .LBB6_75
; %bb.74:                               ;   in Loop: Header=BB6_57 Depth=2
	flat_load_b32 v10, v[12:13] offset:4 scope:SCOPE_SYS
	s_wait_loadcnt_dscnt 0x0
	v_ashrrev_i32_e32 v11, 31, v10
.LBB6_75:                               ;   in Loop: Header=BB6_57 Depth=2
	s_wait_xcnt 0x0
	s_or_b32 exec_lo, exec_lo, s62
	s_delay_alu instid0(SALU_CYCLE_1)
	s_or_not1_b32 s13, vcc_lo, exec_lo
.LBB6_76:                               ;   in Loop: Header=BB6_57 Depth=2
	s_or_b32 exec_lo, exec_lo, s43
	s_and_saveexec_b32 s43, s13
; %bb.77:                               ;   in Loop: Header=BB6_57 Depth=2
	v_mul_u64_e32 v[10:11], v[8:9], v[96:97]
; %bb.78:                               ;   in Loop: Header=BB6_57 Depth=2
	s_or_b32 exec_lo, exec_lo, s43
	s_delay_alu instid0(VALU_DEP_1)
	v_add_nc_u64_e32 v[8:9], v[98:99], v[10:11]
	v_and_b32_e32 v1, 0x2000, v81
	s_mov_b32 s13, exec_lo
	ds_store_b64 v0, v[8:9] offset:784
	v_cmpx_ne_u32_e32 0, v1
	s_cbranch_execz .LBB6_80
; %bb.79:                               ;   in Loop: Header=BB6_57 Depth=2
	ds_load_b64 v[8:9], v0 offset:872
	s_wait_dscnt 0x0
	v_add_nc_u64_e32 v[8:9], 1, v[8:9]
	ds_store_b64 v0, v[8:9] offset:872
.LBB6_80:                               ;   in Loop: Header=BB6_57 Depth=2
	s_or_b32 exec_lo, exec_lo, s13
	v_mov_b64_e32 v[94:95], v[2:3]
.LBB6_81:                               ;   in Loop: Header=BB6_57 Depth=2
	s_or_b32 exec_lo, exec_lo, s42
	s_and_saveexec_b32 s13, s2
	s_cbranch_execz .LBB6_100
; %bb.82:                               ;   in Loop: Header=BB6_57 Depth=2
	s_and_saveexec_b32 s42, s3
	s_delay_alu instid0(SALU_CYCLE_1)
	s_xor_b32 s42, exec_lo, s42
	s_cbranch_execz .LBB6_97
; %bb.83:                               ;   in Loop: Header=BB6_57 Depth=2
	s_and_saveexec_b32 s43, s6
	s_cbranch_execz .LBB6_96
; %bb.84:                               ;   in Loop: Header=BB6_57 Depth=2
	s_mov_b32 s63, exec_lo
	s_mov_b32 s62, exec_lo
	v_mbcnt_lo_u32_b32 v1, s63, 0
	global_wb scope:SCOPE_DEV
	s_wait_storecnt 0x0
	s_wait_loadcnt_dscnt 0x0
	global_inv scope:SCOPE_DEV
	v_cmpx_eq_u32_e32 0, v1
	s_cbranch_execz .LBB6_86
; %bb.85:                               ;   in Loop: Header=BB6_57 Depth=2
	s_bcnt1_i32_b32 s63, s63
	s_delay_alu instid0(SALU_CYCLE_1)
	v_dual_mov_b32 v3, v21 :: v_dual_mov_b32 v2, s63
	s_wait_loadcnt 0x0
	ds_add_u64 v0, v[2:3]
	s_trap 2
.LBB6_86:                               ;   in Loop: Header=BB6_57 Depth=2
	s_or_b32 exec_lo, exec_lo, s62
	s_trap 2
	ds_load_b64 v[2:3], v0
	s_wait_dscnt 0x0
	v_add_nc_u64_e32 v[84:85], v[84:85], v[26:27]
	s_mov_b32 s62, exec_lo
	s_delay_alu instid0(VALU_DEP_1)
	v_cmpx_lt_u64_e64 v[2:3], v[84:85]
	s_cbranch_execz .LBB6_95
; %bb.87:                               ;   in Loop: Header=BB6_57 Depth=2
	s_mov_b32 s63, 0
	s_mov_b32 s74, 0
                                        ; implicit-def: $sgpr72
                                        ; implicit-def: $sgpr73
	s_branch .LBB6_89
.LBB6_88:                               ;   in Loop: Header=BB6_89 Depth=3
	s_or_b32 exec_lo, exec_lo, s76
	s_delay_alu instid0(SALU_CYCLE_1) | instskip(NEXT) | instid1(SALU_CYCLE_1)
	s_and_b32 s75, exec_lo, s77
	s_or_b32 s63, s75, s63
	s_and_not1_b32 s72, s72, exec_lo
	s_and_b32 s75, s73, exec_lo
	s_delay_alu instid0(SALU_CYCLE_1)
	s_or_b32 s72, s72, s75
	s_and_not1_b32 exec_lo, exec_lo, s63
	s_cbranch_execz .LBB6_93
.LBB6_89:                               ;   Parent Loop BB6_47 Depth=1
                                        ;     Parent Loop BB6_57 Depth=2
                                        ; =>    This Inner Loop Header: Depth=3
	s_add_co_i32 s74, s74, 1
	s_delay_alu instid0(SALU_CYCLE_1) | instskip(SKIP_1) | instid1(SALU_CYCLE_1)
	s_cmp_lg_u32 s74, 0x2710
	s_cselect_b32 s75, -1, 0
	s_and_b32 vcc_lo, exec_lo, s75
	s_cbranch_vccz .LBB6_91
; %bb.90:                               ;   in Loop: Header=BB6_89 Depth=3
	s_mov_b32 s77, -1
	s_or_b32 s73, s73, exec_lo
	s_and_saveexec_b32 s76, s75
	s_cbranch_execz .LBB6_88
	s_branch .LBB6_92
.LBB6_91:                               ;   in Loop: Header=BB6_89 Depth=3
	s_trap 2
	ds_load_b64 v[2:3], v0
	s_and_not1_b32 s75, s75, exec_lo
	s_mov_b32 s74, 0
	s_wait_loadcnt_dscnt 0x0
	flat_load_b32 v1, v[2:3] scope:SCOPE_SYS
	s_wait_loadcnt_dscnt 0x0
	global_inv scope:SCOPE_SYS
	v_cmp_eq_u32_e32 vcc_lo, 0, v1
	s_and_b32 s76, vcc_lo, exec_lo
	s_delay_alu instid0(SALU_CYCLE_1)
	s_or_b32 s75, s75, s76
	s_mov_b32 s77, -1
	s_or_b32 s73, s73, exec_lo
	s_wait_xcnt 0x0
	s_and_saveexec_b32 s76, s75
	s_cbranch_execz .LBB6_88
.LBB6_92:                               ;   in Loop: Header=BB6_89 Depth=3
	s_sleep 1
	s_trap 2
	ds_load_b64 v[2:3], v0
	s_wait_dscnt 0x0
	s_and_not1_b32 s73, s73, exec_lo
	v_cmp_ge_u64_e32 vcc_lo, v[2:3], v[84:85]
	s_or_not1_b32 s77, vcc_lo, exec_lo
	s_branch .LBB6_88
.LBB6_93:                               ;   in Loop: Header=BB6_57 Depth=2
	s_or_b32 exec_lo, exec_lo, s63
	s_and_saveexec_b32 s63, s72
	s_delay_alu instid0(SALU_CYCLE_1)
	s_xor_b32 s63, exec_lo, s63
	s_cbranch_execz .LBB6_95
; %bb.94:                               ;   in Loop: Header=BB6_57 Depth=2
	ds_store_b32 v0, v118
	s_trap 2
.LBB6_95:                               ;   in Loop: Header=BB6_57 Depth=2
	s_or_b32 exec_lo, exec_lo, s62
	;;#ASMSTART
	s_wakeup
	;;#ASMEND
.LBB6_96:                               ;   in Loop: Header=BB6_57 Depth=2
	s_or_b32 exec_lo, exec_lo, s43
.LBB6_97:                               ;   in Loop: Header=BB6_57 Depth=2
	s_and_not1_saveexec_b32 s42, s42
	s_cbranch_execz .LBB6_99
; %bb.98:                               ;   in Loop: Header=BB6_57 Depth=2
	global_wb scope:SCOPE_DEV
	s_wait_storecnt 0x0
	s_wait_loadcnt_dscnt 0x0
	global_inv scope:SCOPE_DEV
	s_barrier_signal -1
	s_barrier_wait -1
.LBB6_99:                               ;   in Loop: Header=BB6_57 Depth=2
	s_or_b32 exec_lo, exec_lo, s42
.LBB6_100:                              ;   in Loop: Header=BB6_57 Depth=2
	s_delay_alu instid0(SALU_CYCLE_1) | instskip(SKIP_4) | instid1(VALU_DEP_1)
	s_or_b32 exec_lo, exec_lo, s13
	s_trap 2
	ds_load_b32 v1, v0
	v_and_b32_e32 v2, 0x4000, v81
	s_xor_b32 s13, s1, -1
	v_cmp_ne_u32_e32 vcc_lo, 0, v2
	s_and_b32 s42, s13, vcc_lo
	s_delay_alu instid0(SALU_CYCLE_1)
	s_and_saveexec_b32 s13, s42
	s_cbranch_execz .LBB6_119
; %bb.101:                              ;   in Loop: Header=BB6_57 Depth=2
	s_and_saveexec_b32 s42, s3
	s_delay_alu instid0(SALU_CYCLE_1)
	s_xor_b32 s42, exec_lo, s42
	s_cbranch_execz .LBB6_116
; %bb.102:                              ;   in Loop: Header=BB6_57 Depth=2
	s_and_saveexec_b32 s43, s6
	s_cbranch_execz .LBB6_115
; %bb.103:                              ;   in Loop: Header=BB6_57 Depth=2
	s_mov_b32 s63, exec_lo
	s_mov_b32 s62, exec_lo
	v_mbcnt_lo_u32_b32 v2, s63, 0
	global_wb scope:SCOPE_DEV
	s_wait_storecnt 0x0
	s_wait_loadcnt_dscnt 0x0
	global_inv scope:SCOPE_DEV
	v_cmpx_eq_u32_e32 0, v2
	s_cbranch_execz .LBB6_105
; %bb.104:                              ;   in Loop: Header=BB6_57 Depth=2
	s_bcnt1_i32_b32 s63, s63
	s_delay_alu instid0(SALU_CYCLE_1)
	v_dual_mov_b32 v3, v21 :: v_dual_mov_b32 v2, s63
	s_wait_loadcnt 0x0
	ds_add_u64 v0, v[2:3]
	s_trap 2
.LBB6_105:                              ;   in Loop: Header=BB6_57 Depth=2
	s_or_b32 exec_lo, exec_lo, s62
	s_trap 2
	ds_load_b64 v[2:3], v0
	s_wait_dscnt 0x0
	v_add_nc_u64_e32 v[84:85], v[84:85], v[26:27]
	s_mov_b32 s62, exec_lo
	s_delay_alu instid0(VALU_DEP_1)
	v_cmpx_lt_u64_e64 v[2:3], v[84:85]
	s_cbranch_execz .LBB6_114
; %bb.106:                              ;   in Loop: Header=BB6_57 Depth=2
	s_mov_b32 s63, 0
	s_mov_b32 s74, 0
                                        ; implicit-def: $sgpr72
                                        ; implicit-def: $sgpr73
	s_branch .LBB6_108
.LBB6_107:                              ;   in Loop: Header=BB6_108 Depth=3
	s_or_b32 exec_lo, exec_lo, s76
	s_delay_alu instid0(SALU_CYCLE_1) | instskip(NEXT) | instid1(SALU_CYCLE_1)
	s_and_b32 s75, exec_lo, s77
	s_or_b32 s63, s75, s63
	s_and_not1_b32 s72, s72, exec_lo
	s_and_b32 s75, s73, exec_lo
	s_delay_alu instid0(SALU_CYCLE_1)
	s_or_b32 s72, s72, s75
	s_and_not1_b32 exec_lo, exec_lo, s63
	s_cbranch_execz .LBB6_112
.LBB6_108:                              ;   Parent Loop BB6_47 Depth=1
                                        ;     Parent Loop BB6_57 Depth=2
                                        ; =>    This Inner Loop Header: Depth=3
	s_add_co_i32 s74, s74, 1
	s_delay_alu instid0(SALU_CYCLE_1) | instskip(SKIP_1) | instid1(SALU_CYCLE_1)
	s_cmp_lg_u32 s74, 0x2710
	s_cselect_b32 s75, -1, 0
	s_and_b32 vcc_lo, exec_lo, s75
	s_cbranch_vccz .LBB6_110
; %bb.109:                              ;   in Loop: Header=BB6_108 Depth=3
	s_mov_b32 s77, -1
	s_or_b32 s73, s73, exec_lo
	s_and_saveexec_b32 s76, s75
	s_cbranch_execz .LBB6_107
	s_branch .LBB6_111
.LBB6_110:                              ;   in Loop: Header=BB6_108 Depth=3
	s_trap 2
	ds_load_b64 v[2:3], v0
	s_and_not1_b32 s75, s75, exec_lo
	s_mov_b32 s74, 0
	s_wait_loadcnt_dscnt 0x0
	flat_load_b32 v2, v[2:3] scope:SCOPE_SYS
	s_wait_loadcnt_dscnt 0x0
	global_inv scope:SCOPE_SYS
	v_cmp_eq_u32_e32 vcc_lo, 0, v2
	s_and_b32 s76, vcc_lo, exec_lo
	s_delay_alu instid0(SALU_CYCLE_1)
	s_or_b32 s75, s75, s76
	s_mov_b32 s77, -1
	s_or_b32 s73, s73, exec_lo
	s_wait_xcnt 0x0
	s_and_saveexec_b32 s76, s75
	s_cbranch_execz .LBB6_107
.LBB6_111:                              ;   in Loop: Header=BB6_108 Depth=3
	s_sleep 1
	s_trap 2
	ds_load_b64 v[2:3], v0
	s_wait_dscnt 0x0
	s_and_not1_b32 s73, s73, exec_lo
	v_cmp_ge_u64_e32 vcc_lo, v[2:3], v[84:85]
	s_or_not1_b32 s77, vcc_lo, exec_lo
	s_branch .LBB6_107
.LBB6_112:                              ;   in Loop: Header=BB6_57 Depth=2
	s_or_b32 exec_lo, exec_lo, s63
	s_and_saveexec_b32 s63, s72
	s_delay_alu instid0(SALU_CYCLE_1)
	s_xor_b32 s63, exec_lo, s63
	s_cbranch_execz .LBB6_114
; %bb.113:                              ;   in Loop: Header=BB6_57 Depth=2
	ds_store_b32 v0, v118
	s_trap 2
.LBB6_114:                              ;   in Loop: Header=BB6_57 Depth=2
	s_or_b32 exec_lo, exec_lo, s62
	;;#ASMSTART
	s_wakeup
	;;#ASMEND
.LBB6_115:                              ;   in Loop: Header=BB6_57 Depth=2
	s_or_b32 exec_lo, exec_lo, s43
.LBB6_116:                              ;   in Loop: Header=BB6_57 Depth=2
	s_and_not1_saveexec_b32 s42, s42
	s_cbranch_execz .LBB6_118
; %bb.117:                              ;   in Loop: Header=BB6_57 Depth=2
	global_wb scope:SCOPE_DEV
	s_wait_storecnt 0x0
	s_wait_loadcnt_dscnt 0x0
	global_inv scope:SCOPE_DEV
	s_barrier_signal -1
	s_barrier_wait -1
.LBB6_118:                              ;   in Loop: Header=BB6_57 Depth=2
	s_or_b32 exec_lo, exec_lo, s42
.LBB6_119:                              ;   in Loop: Header=BB6_57 Depth=2
	s_delay_alu instid0(SALU_CYCLE_1)
	s_or_b32 exec_lo, exec_lo, s13
	s_trap 2
	ds_load_b64 v[2:3], v0
	s_wait_dscnt 0x0
	v_cmp_eq_u64_e32 vcc_lo, 0, v[2:3]
	s_cbranch_vccnz .LBB6_127
; %bb.120:                              ;   in Loop: Header=BB6_57 Depth=2
	s_trap 2
	ds_load_b64 v[8:9], v0
	s_wait_dscnt 0x0
	v_cmp_eq_u64_e32 vcc_lo, 0, v[8:9]
	s_cbranch_vccnz .LBB6_127
; %bb.121:                              ;   in Loop: Header=BB6_57 Depth=2
	s_mov_b32 s13, -1
	s_and_saveexec_b32 s42, s7
	s_cbranch_execz .LBB6_123
; %bb.122:                              ;   in Loop: Header=BB6_57 Depth=2
	ds_load_b32 v5, v0 offset:720
	s_wait_dscnt 0x0
	v_and_b32_e32 v5, 15, v5
	s_delay_alu instid0(VALU_DEP_1)
	v_cmp_eq_u32_e32 vcc_lo, 0, v5
	s_or_not1_b32 s13, vcc_lo, exec_lo
.LBB6_123:                              ;   in Loop: Header=BB6_57 Depth=2
	s_or_b32 exec_lo, exec_lo, s42
	s_and_saveexec_b32 s42, s11
	s_cbranch_execz .LBB6_125
; %bb.124:                              ;   in Loop: Header=BB6_57 Depth=2
	ds_load_b32 v5, v0 offset:784
	s_wait_dscnt 0x0
	v_and_b32_e32 v5, 15, v5
	s_delay_alu instid0(VALU_DEP_1) | instskip(SKIP_3) | instid1(SALU_CYCLE_1)
	v_cmp_eq_u32_e32 vcc_lo, 0, v5
	s_and_b32 s43, s13, vcc_lo
	s_and_not1_b32 s13, s13, exec_lo
	s_and_b32 s43, s43, exec_lo
	s_or_b32 s13, s13, s43
.LBB6_125:                              ;   in Loop: Header=BB6_57 Depth=2
	s_or_b32 exec_lo, exec_lo, s42
	v_cmp_eq_u32_e32 vcc_lo, 0, v1
	s_xor_b32 s13, s13, -1
	v_mov_b32_e32 v10, v41
	v_cndmask_b32_e64 v5, 0, 1, s13
	s_mov_b32 s43, -1
	v_dual_cndmask_b32 v1, 0, v0, vcc_lo :: v_dual_mov_b32 v13, v80
	s_delay_alu instid0(VALU_DEP_2) | instskip(NEXT) | instid1(VALU_DEP_2)
	v_cmp_ne_u32_e32 vcc_lo, 0, v5
	v_dual_mov_b32 v5, 0 :: v_dual_mov_b32 v12, v1
	s_cbranch_vccz .LBB6_132
; %bb.126:                              ;   in Loop: Header=BB6_57 Depth=2
	s_and_saveexec_b32 s13, s43
	s_cbranch_execnz .LBB6_145
	s_branch .LBB6_153
.LBB6_127:                              ;   in Loop: Header=BB6_57 Depth=2
	s_mov_b32 s13, 0
	s_and_saveexec_b32 s42, s2
	s_cbranch_execnz .LBB6_154
.LBB6_128:                              ;   in Loop: Header=BB6_57 Depth=2
	s_or_b32 exec_lo, exec_lo, s42
                                        ; implicit-def: $vgpr1
	s_and_saveexec_b32 s42, s10
	s_delay_alu instid0(SALU_CYCLE_1)
	s_xor_b32 s42, exec_lo, s42
	s_cbranch_execz .LBB6_172
.LBB6_129:                              ;   in Loop: Header=BB6_57 Depth=2
	v_and_b32_e32 v1, 16, v81
	s_delay_alu instid0(VALU_DEP_1) | instskip(SKIP_2) | instid1(SALU_CYCLE_1)
	v_cmp_ne_u32_e32 vcc_lo, 0, v1
	v_and_b32_e32 v1, 16, v81
	s_and_b32 s43, vcc_lo, s13
	s_and_saveexec_b32 s13, s43
	s_cbranch_execz .LBB6_131
; %bb.130:                              ;   in Loop: Header=BB6_57 Depth=2
	v_mov_b32_e32 v1, 1
	global_wb scope:SCOPE_SYS
	s_wait_storecnt 0x0
	s_wait_loadcnt_dscnt 0x0
	global_inv scope:SCOPE_SYS
.LBB6_131:                              ;   in Loop: Header=BB6_57 Depth=2
	s_or_b32 exec_lo, exec_lo, s13
	s_and_not1_saveexec_b32 s13, s42
	s_cbranch_execz .LBB6_191
	s_branch .LBB6_173
.LBB6_132:                              ;   in Loop: Header=BB6_57 Depth=2
	v_ashrrev_i32_e32 v5, 31, v1
	s_mov_b32 s13, exec_lo
	s_delay_alu instid0(VALU_DEP_1) | instskip(NEXT) | instid1(VALU_DEP_1)
	v_lshrrev_b32_e32 v5, 20, v5
	v_add_nc_u32_e32 v5, v1, v5
	s_delay_alu instid0(VALU_DEP_1) | instskip(NEXT) | instid1(VALU_DEP_1)
	v_ashrrev_i32_e32 v5, 12, v5
	v_sub_nc_u32_e32 v16, v5, v41
	s_delay_alu instid0(VALU_DEP_1)
	v_cmpx_lt_i32_e32 0, v16
	s_cbranch_execz .LBB6_136
; %bb.133:                              ;   in Loop: Header=BB6_57 Depth=2
	v_mov_b64_e32 v[10:11], v[8:9]
	v_mov_b64_e32 v[12:13], v[2:3]
	;; [unrolled: 1-line block ×3, first 2 shown]
	s_mov_b32 s42, 0
.LBB6_134:                              ;   Parent Loop BB6_47 Depth=1
                                        ;     Parent Loop BB6_57 Depth=2
                                        ; =>    This Inner Loop Header: Depth=3
	s_delay_alu instid0(VALU_DEP_2) | instskip(NEXT) | instid1(VALU_DEP_2)
	v_add_nc_u64_e32 v[18:19], v[76:77], v[12:13]
	v_sub_nc_u32_e32 v16, v16, v38
	v_add_nc_u64_e32 v[12:13], v[12:13], v[44:45]
	s_clause 0x7
	global_load_b128 v[22:25], v[18:19], off th:TH_LOAD_NT
	global_load_b128 v[26:29], v[18:19], off offset:512 th:TH_LOAD_NT
	global_load_b128 v[30:33], v[18:19], off offset:1024 th:TH_LOAD_NT
	global_load_b128 v[34:37], v[18:19], off offset:1536 th:TH_LOAD_NT
	global_load_b128 v[48:51], v[18:19], off offset:2048 th:TH_LOAD_NT
	global_load_b128 v[52:55], v[18:19], off offset:2560 th:TH_LOAD_NT
	global_load_b128 v[64:67], v[18:19], off offset:3072 th:TH_LOAD_NT
	global_load_b128 v[68:71], v[18:19], off offset:3584 th:TH_LOAD_NT
	s_wait_xcnt 0x0
	v_add_nc_u64_e32 v[18:19], v[76:77], v[10:11]
	v_add_nc_u64_e32 v[10:11], v[10:11], v[44:45]
	v_cmp_gt_i32_e32 vcc_lo, 1, v16
	s_wait_loadcnt 0x7
	global_store_b128 v[18:19], v[22:25], off th:TH_STORE_NT
	s_wait_loadcnt 0x6
	global_store_b128 v[18:19], v[26:29], off offset:512 th:TH_STORE_NT
	s_wait_loadcnt 0x5
	global_store_b128 v[18:19], v[30:33], off offset:1024 th:TH_STORE_NT
	s_wait_loadcnt 0x4
	global_store_b128 v[18:19], v[34:37], off offset:1536 th:TH_STORE_NT
	s_wait_loadcnt 0x3
	global_store_b128 v[18:19], v[48:51], off offset:2048 th:TH_STORE_NT
	s_wait_loadcnt 0x2
	global_store_b128 v[18:19], v[52:55], off offset:2560 th:TH_STORE_NT
	s_wait_loadcnt 0x1
	global_store_b128 v[18:19], v[64:67], off offset:3072 th:TH_STORE_NT
	s_wait_loadcnt 0x0
	global_store_b128 v[18:19], v[68:71], off offset:3584 th:TH_STORE_NT
	s_or_b32 s42, vcc_lo, s42
	s_wait_xcnt 0x0
	s_and_not1_b32 exec_lo, exec_lo, s42
	s_cbranch_execnz .LBB6_134
; %bb.135:                              ;   in Loop: Header=BB6_57 Depth=2
	s_or_b32 exec_lo, exec_lo, s42
	v_mov_b64_e32 v[26:27], v[38:39]
.LBB6_136:                              ;   in Loop: Header=BB6_57 Depth=2
	s_or_b32 exec_lo, exec_lo, s13
	v_dual_lshlrev_b32 v15, 12, v5 :: v_dual_mov_b32 v5, 0
	s_mov_b32 s43, 0
	s_mov_b32 s42, exec_lo
                                        ; implicit-def: $vgpr12
                                        ; implicit-def: $vgpr13
                                        ; implicit-def: $vgpr10
	s_delay_alu instid0(VALU_DEP_1)
	v_cmpx_ne_u32_e64 v1, v15
	s_cbranch_execz .LBB6_144
; %bb.137:                              ;   in Loop: Header=BB6_57 Depth=2
	scratch_load_b32 v10, off, s33 offset:492 ; 4-byte Folded Reload
	v_dual_lshlrev_b32 v5, 5, v16 :: v_dual_sub_nc_u32 v11, v1, v15
	s_mov_b32 s43, exec_lo
	s_delay_alu instid0(VALU_DEP_1) | instskip(SKIP_1) | instid1(VALU_DEP_1)
	v_ashrrev_i32_e32 v12, 31, v11
	s_wait_loadcnt 0x0
	v_dual_lshrrev_b32 v12, 23, v12 :: v_dual_sub_nc_u32 v5, v10, v5
	s_delay_alu instid0(VALU_DEP_1) | instskip(NEXT) | instid1(VALU_DEP_1)
	v_ashrrev_i32_e32 v10, 31, v5
	v_lshrrev_b32_e32 v10, 27, v10
	s_delay_alu instid0(VALU_DEP_1) | instskip(NEXT) | instid1(VALU_DEP_1)
	v_add_nc_u32_e32 v10, v5, v10
	v_and_b32_e32 v13, 0xffffffe0, v10
	s_delay_alu instid0(VALU_DEP_1) | instskip(NEXT) | instid1(VALU_DEP_1)
	v_dual_add_nc_u32 v12, v11, v12 :: v_dual_sub_nc_u32 v17, v5, v13
	v_and_b32_e32 v16, 0xfffffe00, v12
	v_dual_ashrrev_i32 v13, 5, v10 :: v_dual_ashrrev_i32 v12, 9, v12
	s_delay_alu instid0(VALU_DEP_3) | instskip(NEXT) | instid1(VALU_DEP_1)
	v_lshlrev_b32_e32 v5, 4, v17
	v_lshl_add_u32 v10, v13, 9, v5
	s_delay_alu instid0(VALU_DEP_1) | instskip(NEXT) | instid1(VALU_DEP_1)
	v_dual_sub_nc_u32 v18, v11, v16 :: v_dual_sub_nc_u32 v5, v11, v10
	v_cmp_lt_i32_e32 vcc_lo, 15, v18
	v_add_co_ci_u32_e64 v12, null, 0, v12, vcc_lo
	s_delay_alu instid0(VALU_DEP_1)
	v_sub_nc_u32_e32 v19, v12, v13
	s_wait_xcnt 0x0
	v_cmpx_lt_i32_e32 15, v5
	s_cbranch_execz .LBB6_141
; %bb.138:                              ;   in Loop: Header=BB6_57 Depth=2
	v_add_nc_u32_e32 v10, v10, v15
	s_mov_b32 s62, 0
	s_delay_alu instid0(VALU_DEP_1)
	v_ashrrev_i32_e32 v11, 31, v10
.LBB6_139:                              ;   Parent Loop BB6_47 Depth=1
                                        ;     Parent Loop BB6_57 Depth=2
                                        ; =>    This Inner Loop Header: Depth=3
	s_delay_alu instid0(VALU_DEP_1) | instskip(SKIP_2) | instid1(VALU_DEP_2)
	v_add_nc_u64_e32 v[12:13], v[2:3], v[10:11]
	v_sub_nc_u32_e32 v5, v5, v46
	v_sub_nc_u32_e32 v19, v19, v26
	v_cmp_gt_i32_e64 s13, 16, v5
	global_load_b128 v[22:25], v[12:13], off th:TH_LOAD_NT
	s_wait_xcnt 0x0
	v_add_nc_u64_e32 v[12:13], v[8:9], v[10:11]
	v_add_nc_u64_e32 v[10:11], v[10:11], v[46:47]
	s_or_b32 s62, s13, s62
	s_wait_loadcnt 0x0
	global_store_b128 v[12:13], v[22:25], off th:TH_STORE_NT
	s_wait_xcnt 0x0
	s_and_not1_b32 exec_lo, exec_lo, s62
	s_cbranch_execnz .LBB6_139
; %bb.140:                              ;   in Loop: Header=BB6_57 Depth=2
	s_or_b32 exec_lo, exec_lo, s62
.LBB6_141:                              ;   in Loop: Header=BB6_57 Depth=2
	s_delay_alu instid0(SALU_CYCLE_1) | instskip(SKIP_3) | instid1(VALU_DEP_1)
	s_or_b32 exec_lo, exec_lo, s43
	v_dual_mov_b32 v5, 0 :: v_dual_bitop2_b32 v11, 15, v1 bitop3:0x40
	s_mov_b32 s43, 0
	s_mov_b32 s62, exec_lo
                                        ; implicit-def: $vgpr13
                                        ; implicit-def: $vgpr10
	v_cndmask_b32_e32 v12, v18, v11, vcc_lo
	s_delay_alu instid0(VALU_DEP_1)
	v_cmpx_ne_u32_e32 0, v12
	s_cbranch_execz .LBB6_143
; %bb.142:                              ;   in Loop: Header=BB6_57 Depth=2
	v_cmp_lt_i32_e64 s13, 0, v19
	s_mov_b32 s43, exec_lo
	v_dual_sub_nc_u32 v10, v18, v11 :: v_dual_cndmask_b32 v5, 0, v26, s13
	s_delay_alu instid0(VALU_DEP_1) | instskip(NEXT) | instid1(VALU_DEP_1)
	v_dual_cndmask_b32 v10, 0, v10 :: v_dual_sub_nc_u32 v5, v5, v19
	v_lshl_add_u32 v13, v5, 5, v17
	s_delay_alu instid0(VALU_DEP_1) | instskip(NEXT) | instid1(VALU_DEP_1)
	v_ashrrev_i32_e32 v5, 31, v13
	v_lshrrev_b32_e32 v5, 27, v5
	s_delay_alu instid0(VALU_DEP_1) | instskip(SKIP_1) | instid1(VALU_DEP_2)
	v_add_nc_u32_e32 v11, v13, v5
	v_add3_u32 v5, v16, v15, v10
	v_ashrrev_i32_e32 v10, 5, v11
.LBB6_143:                              ;   in Loop: Header=BB6_57 Depth=2
	s_or_b32 exec_lo, exec_lo, s62
	s_delay_alu instid0(SALU_CYCLE_1)
	s_and_b32 s43, s43, exec_lo
.LBB6_144:                              ;   in Loop: Header=BB6_57 Depth=2
	s_or_b32 exec_lo, exec_lo, s42
	s_and_saveexec_b32 s13, s43
	s_cbranch_execz .LBB6_153
.LBB6_145:                              ;   in Loop: Header=BB6_57 Depth=2
	v_ashrrev_i32_e32 v11, 31, v12
	s_mov_b32 s42, exec_lo
	s_delay_alu instid0(VALU_DEP_1) | instskip(NEXT) | instid1(VALU_DEP_1)
	v_lshrrev_b32_e32 v11, 22, v11
	v_add_nc_u32_e32 v11, v12, v11
	s_delay_alu instid0(VALU_DEP_1) | instskip(NEXT) | instid1(VALU_DEP_1)
	v_dual_ashrrev_i32 v17, 10, v11 :: v_dual_ashrrev_i32 v11, 31, v13
	v_dual_sub_nc_u32 v15, v17, v10 :: v_dual_lshrrev_b32 v16, 27, v11
	s_delay_alu instid0(VALU_DEP_1)
	v_cmpx_lt_i32_e32 0, v15
	s_cbranch_execz .LBB6_149
; %bb.146:                              ;   in Loop: Header=BB6_57 Depth=2
	scratch_load_b64 v[112:113], off, s33 offset:244 ; 8-byte Folded Reload
	v_dual_add_nc_u32 v11, v13, v16 :: v_dual_lshlrev_b32 v10, 10, v10
	v_mov_b64_e32 v[70:71], v[26:27]
	s_mov_b32 s43, 0
	s_delay_alu instid0(VALU_DEP_2) | instskip(NEXT) | instid1(VALU_DEP_1)
	v_and_b32_e32 v11, 0xffffffe0, v11
	v_sub_nc_u32_e32 v11, v13, v11
	s_delay_alu instid0(VALU_DEP_1) | instskip(NEXT) | instid1(VALU_DEP_1)
	v_add3_u32 v10, v5, v11, v10
	v_ashrrev_i32_e32 v11, 31, v10
.LBB6_147:                              ;   Parent Loop BB6_47 Depth=1
                                        ;     Parent Loop BB6_57 Depth=2
                                        ; =>    This Inner Loop Header: Depth=3
	s_delay_alu instid0(VALU_DEP_1)
	v_add_nc_u64_e32 v[18:19], v[10:11], v[2:3]
	v_sub_nc_u32_e32 v15, v15, v70
	s_wait_loadcnt 0x0
	v_add_nc_u64_e32 v[2:3], v[2:3], v[112:113]
	s_clause 0x1f
	flat_load_u8 v20, v[18:19] th:TH_LOAD_NT
	flat_load_u8 v22, v[18:19] offset:32 th:TH_LOAD_NT
	flat_load_u8 v23, v[18:19] offset:64 th:TH_LOAD_NT
	;; [unrolled: 1-line block ×31, first 2 shown]
	s_wait_xcnt 0x0
	v_add_nc_u64_e32 v[18:19], v[10:11], v[8:9]
	v_add_nc_u64_e32 v[8:9], v[8:9], v[112:113]
	v_cmp_gt_i32_e32 vcc_lo, 1, v15
	s_wait_loadcnt_dscnt 0x1f1f
	flat_store_b8 v[18:19], v20 th:TH_STORE_NT
	s_wait_loadcnt_dscnt 0x1e1f
	flat_store_b8 v[18:19], v22 offset:32 th:TH_STORE_NT
	s_wait_loadcnt_dscnt 0x1d1f
	flat_store_b8 v[18:19], v23 offset:64 th:TH_STORE_NT
	;; [unrolled: 2-line block ×31, first 2 shown]
	s_or_b32 s43, vcc_lo, s43
	s_wait_xcnt 0x0
	s_and_not1_b32 exec_lo, exec_lo, s43
	s_cbranch_execnz .LBB6_147
; %bb.148:                              ;   in Loop: Header=BB6_57 Depth=2
	s_or_b32 exec_lo, exec_lo, s43
	v_mov_b64_e32 v[26:27], v[70:71]
.LBB6_149:                              ;   in Loop: Header=BB6_57 Depth=2
	s_or_b32 exec_lo, exec_lo, s42
	v_lshlrev_b32_e32 v2, 10, v17
	s_delay_alu instid0(VALU_DEP_1)
	v_cmp_ne_u32_e32 vcc_lo, v12, v2
	s_and_b32 exec_lo, exec_lo, vcc_lo
	s_cbranch_execz .LBB6_153
; %bb.150:                              ;   in Loop: Header=BB6_57 Depth=2
	v_dual_add_nc_u32 v3, v13, v16 :: v_dual_lshlrev_b32 v8, 5, v15
	s_delay_alu instid0(VALU_DEP_1) | instskip(NEXT) | instid1(VALU_DEP_1)
	v_and_b32_e32 v3, 0xffffffe0, v3
	v_sub_nc_u32_e32 v3, v13, v3
	s_delay_alu instid0(VALU_DEP_1) | instskip(NEXT) | instid1(VALU_DEP_1)
	v_sub_nc_u32_e32 v3, v3, v8
	v_add_nc_u32_e32 v8, v2, v3
	s_delay_alu instid0(VALU_DEP_1) | instskip(NEXT) | instid1(VALU_DEP_1)
	v_sub_nc_u32_e32 v10, v12, v8
	v_cmp_lt_i32_e32 vcc_lo, 0, v10
	s_and_b32 exec_lo, exec_lo, vcc_lo
	s_cbranch_execz .LBB6_153
; %bb.151:                              ;   in Loop: Header=BB6_57 Depth=2
	s_trap 2
	ds_load_b64 v[2:3], v0
	v_add_nc_u32_e32 v8, v8, v5
	s_mov_b32 s42, 0
	s_delay_alu instid0(VALU_DEP_1)
	v_ashrrev_i32_e32 v9, 31, v8
.LBB6_152:                              ;   Parent Loop BB6_47 Depth=1
                                        ;     Parent Loop BB6_57 Depth=2
                                        ; =>    This Inner Loop Header: Depth=3
	s_wait_dscnt 0x0
	s_delay_alu instid0(VALU_DEP_1) | instskip(SKIP_2) | instid1(VALU_DEP_2)
	v_add_nc_u64_e32 v[12:13], v[2:3], v[8:9]
	v_sub_nc_u32_e32 v10, v10, v114
	v_add_nc_u64_e32 v[8:9], v[8:9], v[114:115]
	v_cmp_gt_i32_e32 vcc_lo, 1, v10
	flat_load_u8 v5, v[12:13] th:TH_LOAD_NT
	s_or_b32 s42, vcc_lo, s42
	s_wait_loadcnt_dscnt 0x0
	flat_store_b8 v[12:13], v5 th:TH_STORE_NT
	s_wait_xcnt 0x0
	s_and_not1_b32 exec_lo, exec_lo, s42
	s_cbranch_execnz .LBB6_152
.LBB6_153:                              ;   in Loop: Header=BB6_57 Depth=2
	s_or_b32 exec_lo, exec_lo, s13
	v_cmp_lt_i32_e64 s13, 0, v1
	s_and_saveexec_b32 s42, s2
	s_cbranch_execz .LBB6_128
.LBB6_154:                              ;   in Loop: Header=BB6_57 Depth=2
	s_and_saveexec_b32 s43, s3
	s_delay_alu instid0(SALU_CYCLE_1)
	s_xor_b32 s43, exec_lo, s43
	s_cbranch_execz .LBB6_169
; %bb.155:                              ;   in Loop: Header=BB6_57 Depth=2
	s_and_saveexec_b32 s62, s6
	s_cbranch_execz .LBB6_168
; %bb.156:                              ;   in Loop: Header=BB6_57 Depth=2
	s_mov_b32 s72, exec_lo
	s_mov_b32 s63, exec_lo
	v_mbcnt_lo_u32_b32 v1, s72, 0
	global_wb scope:SCOPE_DEV
	s_wait_storecnt 0x0
	s_wait_loadcnt_dscnt 0x0
	global_inv scope:SCOPE_DEV
	v_cmpx_eq_u32_e32 0, v1
	s_cbranch_execz .LBB6_158
; %bb.157:                              ;   in Loop: Header=BB6_57 Depth=2
	s_bcnt1_i32_b32 s72, s72
	s_delay_alu instid0(SALU_CYCLE_1)
	v_dual_mov_b32 v3, v21 :: v_dual_mov_b32 v2, s72
	s_wait_loadcnt 0x0
	ds_add_u64 v0, v[2:3]
	s_trap 2
.LBB6_158:                              ;   in Loop: Header=BB6_57 Depth=2
	s_or_b32 exec_lo, exec_lo, s63
	s_trap 2
	ds_load_b64 v[2:3], v0
	s_wait_dscnt 0x0
	v_add_nc_u64_e32 v[84:85], v[84:85], v[26:27]
	s_mov_b32 s63, exec_lo
	s_delay_alu instid0(VALU_DEP_1)
	v_cmpx_lt_u64_e64 v[2:3], v[84:85]
	s_cbranch_execz .LBB6_167
; %bb.159:                              ;   in Loop: Header=BB6_57 Depth=2
	s_mov_b32 s72, 0
	s_mov_b32 s75, 0
                                        ; implicit-def: $sgpr73
                                        ; implicit-def: $sgpr74
	s_branch .LBB6_161
.LBB6_160:                              ;   in Loop: Header=BB6_161 Depth=3
	s_or_b32 exec_lo, exec_lo, s77
	s_delay_alu instid0(SALU_CYCLE_1) | instskip(NEXT) | instid1(SALU_CYCLE_1)
	s_and_b32 s76, exec_lo, s78
	s_or_b32 s72, s76, s72
	s_and_not1_b32 s73, s73, exec_lo
	s_and_b32 s76, s74, exec_lo
	s_delay_alu instid0(SALU_CYCLE_1)
	s_or_b32 s73, s73, s76
	s_and_not1_b32 exec_lo, exec_lo, s72
	s_cbranch_execz .LBB6_165
.LBB6_161:                              ;   Parent Loop BB6_47 Depth=1
                                        ;     Parent Loop BB6_57 Depth=2
                                        ; =>    This Inner Loop Header: Depth=3
	s_add_co_i32 s75, s75, 1
	s_delay_alu instid0(SALU_CYCLE_1) | instskip(SKIP_1) | instid1(SALU_CYCLE_1)
	s_cmp_lg_u32 s75, 0x2710
	s_cselect_b32 s76, -1, 0
	s_and_b32 vcc_lo, exec_lo, s76
	s_cbranch_vccz .LBB6_163
; %bb.162:                              ;   in Loop: Header=BB6_161 Depth=3
	s_mov_b32 s78, -1
	s_or_b32 s74, s74, exec_lo
	s_and_saveexec_b32 s77, s76
	s_cbranch_execz .LBB6_160
	s_branch .LBB6_164
.LBB6_163:                              ;   in Loop: Header=BB6_161 Depth=3
	s_trap 2
	ds_load_b64 v[2:3], v0
	s_and_not1_b32 s76, s76, exec_lo
	s_mov_b32 s75, 0
	s_wait_loadcnt_dscnt 0x0
	flat_load_b32 v1, v[2:3] scope:SCOPE_SYS
	s_wait_loadcnt_dscnt 0x0
	global_inv scope:SCOPE_SYS
	v_cmp_eq_u32_e32 vcc_lo, 0, v1
	s_and_b32 s77, vcc_lo, exec_lo
	s_delay_alu instid0(SALU_CYCLE_1)
	s_or_b32 s76, s76, s77
	s_mov_b32 s78, -1
	s_or_b32 s74, s74, exec_lo
	s_wait_xcnt 0x0
	s_and_saveexec_b32 s77, s76
	s_cbranch_execz .LBB6_160
.LBB6_164:                              ;   in Loop: Header=BB6_161 Depth=3
	s_sleep 1
	s_trap 2
	ds_load_b64 v[2:3], v0
	s_wait_dscnt 0x0
	s_and_not1_b32 s74, s74, exec_lo
	v_cmp_ge_u64_e32 vcc_lo, v[2:3], v[84:85]
	s_or_not1_b32 s78, vcc_lo, exec_lo
	s_branch .LBB6_160
.LBB6_165:                              ;   in Loop: Header=BB6_57 Depth=2
	s_or_b32 exec_lo, exec_lo, s72
	s_and_saveexec_b32 s72, s73
	s_delay_alu instid0(SALU_CYCLE_1)
	s_xor_b32 s72, exec_lo, s72
	s_cbranch_execz .LBB6_167
; %bb.166:                              ;   in Loop: Header=BB6_57 Depth=2
	ds_store_b32 v0, v118
	s_trap 2
.LBB6_167:                              ;   in Loop: Header=BB6_57 Depth=2
	s_or_b32 exec_lo, exec_lo, s63
	;;#ASMSTART
	s_wakeup
	;;#ASMEND
.LBB6_168:                              ;   in Loop: Header=BB6_57 Depth=2
	s_or_b32 exec_lo, exec_lo, s62
.LBB6_169:                              ;   in Loop: Header=BB6_57 Depth=2
	s_and_not1_saveexec_b32 s43, s43
	s_cbranch_execz .LBB6_171
; %bb.170:                              ;   in Loop: Header=BB6_57 Depth=2
	global_wb scope:SCOPE_DEV
	s_wait_storecnt 0x0
	s_wait_loadcnt_dscnt 0x0
	global_inv scope:SCOPE_DEV
	s_barrier_signal -1
	s_barrier_wait -1
.LBB6_171:                              ;   in Loop: Header=BB6_57 Depth=2
	s_or_b32 exec_lo, exec_lo, s43
	s_delay_alu instid0(SALU_CYCLE_1) | instskip(SKIP_1) | instid1(SALU_CYCLE_1)
	s_or_b32 exec_lo, exec_lo, s42
                                        ; implicit-def: $vgpr1
	s_and_saveexec_b32 s42, s10
	s_xor_b32 s42, exec_lo, s42
	s_cbranch_execnz .LBB6_129
.LBB6_172:                              ;   in Loop: Header=BB6_57 Depth=2
	s_and_not1_saveexec_b32 s13, s42
	s_cbranch_execz .LBB6_191
.LBB6_173:                              ;   in Loop: Header=BB6_57 Depth=2
	s_and_saveexec_b32 s42, s3
	s_delay_alu instid0(SALU_CYCLE_1)
	s_xor_b32 s42, exec_lo, s42
	s_cbranch_execz .LBB6_188
; %bb.174:                              ;   in Loop: Header=BB6_57 Depth=2
	s_and_saveexec_b32 s43, s6
	s_cbranch_execz .LBB6_187
; %bb.175:                              ;   in Loop: Header=BB6_57 Depth=2
	s_mov_b32 s63, exec_lo
	s_mov_b32 s62, exec_lo
	v_mbcnt_lo_u32_b32 v1, s63, 0
	;;#ASMSTART
	s_waitcnt lgkmcnt(0) vmcnt(0)
	;;#ASMEND
	s_delay_alu instid0(VALU_DEP_1)
	v_cmpx_eq_u32_e32 0, v1
	s_cbranch_execz .LBB6_177
; %bb.176:                              ;   in Loop: Header=BB6_57 Depth=2
	s_bcnt1_i32_b32 s63, s63
	s_delay_alu instid0(SALU_CYCLE_1)
	v_dual_mov_b32 v3, v21 :: v_dual_mov_b32 v2, s63
	s_wait_storecnt 0x0
	s_wait_loadcnt_dscnt 0x0
	ds_add_u64 v0, v[2:3]
	s_trap 2
.LBB6_177:                              ;   in Loop: Header=BB6_57 Depth=2
	s_or_b32 exec_lo, exec_lo, s62
	s_trap 2
	ds_load_b64 v[2:3], v0
	s_wait_dscnt 0x0
	v_add_nc_u64_e32 v[84:85], v[84:85], v[26:27]
	s_mov_b32 s62, exec_lo
	s_delay_alu instid0(VALU_DEP_1)
	v_cmpx_lt_u64_e64 v[2:3], v[84:85]
	s_cbranch_execz .LBB6_186
; %bb.178:                              ;   in Loop: Header=BB6_57 Depth=2
	s_mov_b32 s63, 0
	s_mov_b32 s74, 0
                                        ; implicit-def: $sgpr72
                                        ; implicit-def: $sgpr73
	s_branch .LBB6_180
.LBB6_179:                              ;   in Loop: Header=BB6_180 Depth=3
	s_or_b32 exec_lo, exec_lo, s76
	s_delay_alu instid0(SALU_CYCLE_1) | instskip(NEXT) | instid1(SALU_CYCLE_1)
	s_and_b32 s75, exec_lo, s77
	s_or_b32 s63, s75, s63
	s_and_not1_b32 s72, s72, exec_lo
	s_and_b32 s75, s73, exec_lo
	s_delay_alu instid0(SALU_CYCLE_1)
	s_or_b32 s72, s72, s75
	s_and_not1_b32 exec_lo, exec_lo, s63
	s_cbranch_execz .LBB6_184
.LBB6_180:                              ;   Parent Loop BB6_47 Depth=1
                                        ;     Parent Loop BB6_57 Depth=2
                                        ; =>    This Inner Loop Header: Depth=3
	s_add_co_i32 s74, s74, 1
	s_delay_alu instid0(SALU_CYCLE_1) | instskip(SKIP_1) | instid1(SALU_CYCLE_1)
	s_cmp_lg_u32 s74, 0x2710
	s_cselect_b32 s75, -1, 0
	s_and_b32 vcc_lo, exec_lo, s75
	s_cbranch_vccz .LBB6_182
; %bb.181:                              ;   in Loop: Header=BB6_180 Depth=3
	s_mov_b32 s77, -1
	s_or_b32 s73, s73, exec_lo
	s_and_saveexec_b32 s76, s75
	s_cbranch_execz .LBB6_179
	s_branch .LBB6_183
.LBB6_182:                              ;   in Loop: Header=BB6_180 Depth=3
	s_trap 2
	ds_load_b64 v[2:3], v0
	s_and_not1_b32 s75, s75, exec_lo
	s_mov_b32 s74, 0
	s_wait_storecnt 0x0
	s_wait_loadcnt_dscnt 0x0
	flat_load_b32 v1, v[2:3] scope:SCOPE_SYS
	s_wait_loadcnt_dscnt 0x0
	global_inv scope:SCOPE_SYS
	v_cmp_eq_u32_e32 vcc_lo, 0, v1
	s_and_b32 s76, vcc_lo, exec_lo
	s_delay_alu instid0(SALU_CYCLE_1)
	s_or_b32 s75, s75, s76
	s_mov_b32 s77, -1
	s_or_b32 s73, s73, exec_lo
	s_wait_xcnt 0x0
	s_and_saveexec_b32 s76, s75
	s_cbranch_execz .LBB6_179
.LBB6_183:                              ;   in Loop: Header=BB6_180 Depth=3
	s_sleep 1
	s_trap 2
	ds_load_b64 v[2:3], v0
	s_wait_dscnt 0x0
	s_and_not1_b32 s73, s73, exec_lo
	v_cmp_ge_u64_e32 vcc_lo, v[2:3], v[84:85]
	s_or_not1_b32 s77, vcc_lo, exec_lo
	s_branch .LBB6_179
.LBB6_184:                              ;   in Loop: Header=BB6_57 Depth=2
	s_or_b32 exec_lo, exec_lo, s63
	s_and_saveexec_b32 s63, s72
	s_delay_alu instid0(SALU_CYCLE_1)
	s_xor_b32 s63, exec_lo, s63
	s_cbranch_execz .LBB6_186
; %bb.185:                              ;   in Loop: Header=BB6_57 Depth=2
	ds_store_b32 v0, v118
	s_trap 2
.LBB6_186:                              ;   in Loop: Header=BB6_57 Depth=2
	s_or_b32 exec_lo, exec_lo, s62
	;;#ASMSTART
	s_wakeup
	;;#ASMEND
.LBB6_187:                              ;   in Loop: Header=BB6_57 Depth=2
	s_or_b32 exec_lo, exec_lo, s43
.LBB6_188:                              ;   in Loop: Header=BB6_57 Depth=2
	s_and_not1_saveexec_b32 s42, s42
	s_cbranch_execz .LBB6_190
; %bb.189:                              ;   in Loop: Header=BB6_57 Depth=2
	;;#ASMSTART
	s_waitcnt lgkmcnt(0) vmcnt(0)
	;;#ASMEND
	s_barrier_signal -1
	s_barrier_wait -1
.LBB6_190:                              ;   in Loop: Header=BB6_57 Depth=2
	s_or_b32 exec_lo, exec_lo, s42
	v_and_b32_e32 v1, 16, v81
.LBB6_191:                              ;   in Loop: Header=BB6_57 Depth=2
	s_or_b32 exec_lo, exec_lo, s13
	s_delay_alu instid0(SALU_CYCLE_1) | instskip(NEXT) | instid1(VALU_DEP_1)
	s_mov_b32 s13, exec_lo
	v_cmpx_ne_u32_e32 0, v1
	s_cbranch_execz .LBB6_56
; %bb.192:                              ;   in Loop: Header=BB6_57 Depth=2
	s_and_saveexec_b32 s42, s5
	s_cbranch_execz .LBB6_55
; %bb.193:                              ;   in Loop: Header=BB6_57 Depth=2
	global_wb scope:SCOPE_SYS
	s_wait_storecnt 0x0
	s_wait_loadcnt_dscnt 0x0
	flat_store_b32 v[100:101], v118 scope:SCOPE_SYS
	s_branch .LBB6_55
.LBB6_194:                              ;   in Loop: Header=BB6_47 Depth=1
	s_or_b32 exec_lo, exec_lo, s15
.LBB6_195:                              ;   in Loop: Header=BB6_47 Depth=1
	s_delay_alu instid0(SALU_CYCLE_1) | instskip(NEXT) | instid1(SALU_CYCLE_1)
	s_or_b32 exec_lo, exec_lo, s14
	s_mov_b32 s14, exec_lo
	v_cmpx_gt_i32_e32 2, v1
	s_cbranch_execz .LBB6_267
; %bb.196:                              ;   in Loop: Header=BB6_47 Depth=1
	v_cmp_eq_u32_e64 s18, 0, v1
	s_mov_b32 s15, 0
	s_branch .LBB6_199
.LBB6_197:                              ;   in Loop: Header=BB6_199 Depth=2
	s_wait_xcnt 0x0
	s_or_b32 exec_lo, exec_lo, s18
	v_add_nc_u64_e32 v[94:95], 2, v[94:95]
	global_wb scope:SCOPE_SYS
	s_wait_storecnt 0x0
	s_wait_loadcnt_dscnt 0x0
	flat_store_b64 v[86:87], v[94:95] scope:SCOPE_SYS
.LBB6_198:                              ;   in Loop: Header=BB6_199 Depth=2
	s_wait_xcnt 0x0
	s_or_b32 exec_lo, exec_lo, s13
	v_add_nc_u32_e32 v4, v0, v4
	s_mov_b32 s18, 0
	s_and_not1_b32 exec_lo, exec_lo, s15
	s_cbranch_execz .LBB6_266
.LBB6_199:                              ;   Parent Loop BB6_47 Depth=1
                                        ; =>  This Loop Header: Depth=2
                                        ;       Child Loop BB6_205 Depth 3
                                        ;       Child Loop BB6_229 Depth 3
	;; [unrolled: 1-line block ×3, first 2 shown]
	s_delay_alu instid0(VALU_DEP_1) | instskip(SKIP_1) | instid1(VALU_DEP_1)
	v_dual_sub_nc_u32 v1, v14, v4 :: v_dual_bitop2_b32 v2, 8, v81 bitop3:0x40
	s_mov_b32 s29, exec_lo
	v_min_i32_e32 v0, v0, v1
	s_delay_alu instid0(VALU_DEP_2)
	v_cmpx_ne_u32_e32 0, v2
	s_cbranch_execz .LBB6_221
; %bb.200:                              ;   in Loop: Header=BB6_199 Depth=2
	s_wait_loadcnt_dscnt 0x1
	v_add_nc_u64_e32 v[6:7], 8, v[102:103]
	v_add_nc_u64_e32 v[2:3], 2, v[94:95]
	s_mov_b32 s42, exec_lo
	s_delay_alu instid0(VALU_DEP_1)
	v_cmpx_lt_u64_e64 v[6:7], v[2:3]
	s_cbranch_execz .LBB6_212
; %bb.201:                              ;   in Loop: Header=BB6_199 Depth=2
	v_and_b32_e32 v1, 64, v81
	s_mov_b32 s43, 0
	s_mov_b32 s73, 0
                                        ; implicit-def: $sgpr62
                                        ; implicit-def: $sgpr63
                                        ; implicit-def: $sgpr72
	s_delay_alu instid0(VALU_DEP_1)
	v_cmp_eq_u32_e32 vcc_lo, 0, v1
	s_branch .LBB6_205
.LBB6_202:                              ;   in Loop: Header=BB6_205 Depth=3
	s_wait_loadcnt_dscnt 0x0
	v_add_nc_u64_e32 v[6:7], 8, v[102:103]
	s_or_b32 s76, s76, exec_lo
	s_delay_alu instid0(VALU_DEP_1)
	v_cmp_ge_u64_e64 s13, v[6:7], v[2:3]
	s_or_not1_b32 s75, s13, exec_lo
.LBB6_203:                              ;   in Loop: Header=BB6_205 Depth=3
	s_or_b32 exec_lo, exec_lo, s78
	s_delay_alu instid0(SALU_CYCLE_1)
	s_and_not1_b32 s13, s72, exec_lo
	s_and_b32 s72, s76, exec_lo
	s_and_not1_b32 s63, s63, exec_lo
	s_and_b32 s75, s75, exec_lo
	s_or_b32 s72, s13, s72
	s_or_b32 s63, s63, s75
.LBB6_204:                              ;   in Loop: Header=BB6_205 Depth=3
	s_or_b32 exec_lo, exec_lo, s74
	s_delay_alu instid0(SALU_CYCLE_1) | instskip(NEXT) | instid1(SALU_CYCLE_1)
	s_and_b32 s13, exec_lo, s63
	s_or_b32 s43, s13, s43
	s_and_not1_b32 s13, s62, exec_lo
	s_and_b32 s62, s72, exec_lo
	s_delay_alu instid0(SALU_CYCLE_1)
	s_or_b32 s62, s13, s62
	s_and_not1_b32 exec_lo, exec_lo, s43
	s_cbranch_execz .LBB6_209
.LBB6_205:                              ;   Parent Loop BB6_47 Depth=1
                                        ;     Parent Loop BB6_199 Depth=2
                                        ; =>    This Inner Loop Header: Depth=3
	s_sleep 1
	s_wait_loadcnt_dscnt 0x0
	flat_load_b64 v[102:103], v[86:87] scope:SCOPE_SYS
	s_or_b32 s72, s72, exec_lo
	s_or_b32 s63, s63, exec_lo
                                        ; implicit-def: $vgpr1
	s_wait_xcnt 0x0
	s_and_saveexec_b32 s74, vcc_lo
	s_cbranch_execz .LBB6_204
; %bb.206:                              ;   in Loop: Header=BB6_205 Depth=3
	s_cmp_lt_i32 s73, 0x270f
	s_mov_b32 s75, -1
	s_cselect_b32 s77, -1, 0
	s_cmp_gt_i32 s73, 0x270e
	s_cbranch_scc0 .LBB6_208
; %bb.207:                              ;   in Loop: Header=BB6_205 Depth=3
	s_trap 2
	ds_load_b64 v[6:7], v0
	s_and_not1_b32 s73, s77, exec_lo
	s_mov_b32 s76, 0
	s_wait_storecnt 0x0
	s_wait_loadcnt_dscnt 0x0
	flat_load_b32 v1, v[6:7] scope:SCOPE_SYS
	s_wait_loadcnt_dscnt 0x0
	global_inv scope:SCOPE_SYS
	v_cmp_eq_u32_e64 s13, 0, v1
	s_and_b32 s13, s13, exec_lo
	s_delay_alu instid0(SALU_CYCLE_1)
	s_or_b32 s77, s73, s13
	s_mov_b32 s73, 0
	s_wait_xcnt 0x0
	s_and_saveexec_b32 s78, s77
	s_cbranch_execz .LBB6_203
	s_branch .LBB6_202
.LBB6_208:                              ;   in Loop: Header=BB6_205 Depth=3
	s_add_co_i32 s73, s73, 1
	s_mov_b32 s76, -1
                                        ; implicit-def: $vgpr1
	s_and_saveexec_b32 s78, s77
	s_cbranch_execz .LBB6_203
	s_branch .LBB6_202
.LBB6_209:                              ;   in Loop: Header=BB6_199 Depth=2
	s_or_b32 exec_lo, exec_lo, s43
	s_xor_b32 s13, s62, -1
	s_delay_alu instid0(SALU_CYCLE_1) | instskip(NEXT) | instid1(SALU_CYCLE_1)
	s_and_saveexec_b32 s43, s13
	s_xor_b32 s13, exec_lo, s43
	s_cbranch_execz .LBB6_211
; %bb.210:                              ;   in Loop: Header=BB6_199 Depth=2
	v_or_b32_e32 v81, 64, v81
	s_wait_storecnt 0x0
	s_wait_loadcnt_dscnt 0x0
	ds_store_b32 v0, v1
	s_trap 2
.LBB6_211:                              ;   in Loop: Header=BB6_199 Depth=2
	s_or_b32 exec_lo, exec_lo, s13
.LBB6_212:                              ;   in Loop: Header=BB6_199 Depth=2
	s_delay_alu instid0(SALU_CYCLE_1)
	s_or_b32 exec_lo, exec_lo, s42
	v_and_b32_e32 v1, 0x100, v81
	v_dual_mov_b32 v7, v21 :: v_dual_bitop2_b32 v6, 7, v94 bitop3:0x40
	s_mov_b32 s13, -1
	s_mov_b32 s42, exec_lo
	;;#ASMSTART
	s_wakeup
	;;#ASMEND
                                        ; implicit-def: $vgpr8_vgpr9
	v_cmpx_ne_u32_e32 0, v1
	s_cbranch_execz .LBB6_216
; %bb.213:                              ;   in Loop: Header=BB6_199 Depth=2
	v_mad_nc_u64_u32 v[10:11], v6, 24, v[82:83]
	v_ashrrev_i32_e32 v1, 31, v0
	s_mov_b32 s43, exec_lo
                                        ; implicit-def: $vgpr8_vgpr9
	s_clause 0x1
	flat_load_b32 v5, v[10:11]
	flat_store_b64 v[10:11], v[0:1] offset:8
	s_wait_loadcnt_dscnt 0x1
	v_cmp_ne_u32_e32 vcc_lo, 1, v5
	s_wait_xcnt 0x0
	v_cmpx_eq_u32_e32 1, v5
	s_cbranch_execz .LBB6_215
; %bb.214:                              ;   in Loop: Header=BB6_199 Depth=2
	flat_load_b32 v8, v[10:11] offset:4 scope:SCOPE_SYS
	s_wait_loadcnt_dscnt 0x0
	v_ashrrev_i32_e32 v9, 31, v8
.LBB6_215:                              ;   in Loop: Header=BB6_199 Depth=2
	s_wait_xcnt 0x0
	s_or_b32 exec_lo, exec_lo, s43
	s_delay_alu instid0(SALU_CYCLE_1)
	s_or_not1_b32 s13, vcc_lo, exec_lo
.LBB6_216:                              ;   in Loop: Header=BB6_199 Depth=2
	s_or_b32 exec_lo, exec_lo, s42
	s_and_saveexec_b32 s42, s13
; %bb.217:                              ;   in Loop: Header=BB6_199 Depth=2
	v_mul_u64_e32 v[8:9], v[6:7], v[96:97]
; %bb.218:                              ;   in Loop: Header=BB6_199 Depth=2
	s_or_b32 exec_lo, exec_lo, s42
	s_delay_alu instid0(VALU_DEP_1)
	v_add_nc_u64_e32 v[6:7], v[98:99], v[8:9]
	v_and_b32_e32 v1, 0x2000, v81
	s_mov_b32 s13, exec_lo
	ds_store_b64 v0, v[6:7] offset:784
	v_cmpx_ne_u32_e32 0, v1
	s_cbranch_execz .LBB6_220
; %bb.219:                              ;   in Loop: Header=BB6_199 Depth=2
	ds_load_b64 v[6:7], v0 offset:872
	s_wait_dscnt 0x0
	v_add_nc_u64_e32 v[6:7], 1, v[6:7]
	ds_store_b64 v0, v[6:7] offset:872
.LBB6_220:                              ;   in Loop: Header=BB6_199 Depth=2
	s_or_b32 exec_lo, exec_lo, s13
	v_mov_b64_e32 v[94:95], v[2:3]
.LBB6_221:                              ;   in Loop: Header=BB6_199 Depth=2
	s_or_b32 exec_lo, exec_lo, s29
	s_xor_b32 s13, s18, -1
	s_delay_alu instid0(SALU_CYCLE_1) | instskip(NEXT) | instid1(SALU_CYCLE_1)
	s_and_b32 s13, exec_lo, s13
	s_or_b32 s15, s13, s15
	s_and_saveexec_b32 s13, s2
	s_cbranch_execz .LBB6_240
; %bb.222:                              ;   in Loop: Header=BB6_199 Depth=2
	s_and_saveexec_b32 s18, s3
	s_delay_alu instid0(SALU_CYCLE_1)
	s_xor_b32 s18, exec_lo, s18
	s_cbranch_execz .LBB6_237
; %bb.223:                              ;   in Loop: Header=BB6_199 Depth=2
	s_and_saveexec_b32 s29, s6
	s_cbranch_execz .LBB6_236
; %bb.224:                              ;   in Loop: Header=BB6_199 Depth=2
	s_mov_b32 s43, exec_lo
	s_mov_b32 s42, exec_lo
	v_mbcnt_lo_u32_b32 v1, s43, 0
	global_wb scope:SCOPE_DEV
	s_wait_storecnt 0x0
	s_wait_loadcnt_dscnt 0x0
	global_inv scope:SCOPE_DEV
	v_cmpx_eq_u32_e32 0, v1
	s_cbranch_execz .LBB6_226
; %bb.225:                              ;   in Loop: Header=BB6_199 Depth=2
	s_bcnt1_i32_b32 s43, s43
	s_delay_alu instid0(SALU_CYCLE_1)
	v_dual_mov_b32 v3, v21 :: v_dual_mov_b32 v2, s43
	s_wait_loadcnt 0x0
	ds_add_u64 v0, v[2:3]
	s_trap 2
.LBB6_226:                              ;   in Loop: Header=BB6_199 Depth=2
	s_or_b32 exec_lo, exec_lo, s42
	s_trap 2
	ds_load_b64 v[2:3], v0
	s_wait_dscnt 0x0
	v_add_nc_u64_e32 v[84:85], v[84:85], v[26:27]
	s_mov_b32 s42, exec_lo
	s_delay_alu instid0(VALU_DEP_1)
	v_cmpx_lt_u64_e64 v[2:3], v[84:85]
	s_cbranch_execz .LBB6_235
; %bb.227:                              ;   in Loop: Header=BB6_199 Depth=2
	s_mov_b32 s43, 0
	s_mov_b32 s72, 0
                                        ; implicit-def: $sgpr62
                                        ; implicit-def: $sgpr63
	s_branch .LBB6_229
.LBB6_228:                              ;   in Loop: Header=BB6_229 Depth=3
	s_or_b32 exec_lo, exec_lo, s74
	s_delay_alu instid0(SALU_CYCLE_1) | instskip(NEXT) | instid1(SALU_CYCLE_1)
	s_and_b32 s73, exec_lo, s75
	s_or_b32 s43, s73, s43
	s_and_not1_b32 s62, s62, exec_lo
	s_and_b32 s73, s63, exec_lo
	s_delay_alu instid0(SALU_CYCLE_1)
	s_or_b32 s62, s62, s73
	s_and_not1_b32 exec_lo, exec_lo, s43
	s_cbranch_execz .LBB6_233
.LBB6_229:                              ;   Parent Loop BB6_47 Depth=1
                                        ;     Parent Loop BB6_199 Depth=2
                                        ; =>    This Inner Loop Header: Depth=3
	s_add_co_i32 s72, s72, 1
	s_delay_alu instid0(SALU_CYCLE_1) | instskip(SKIP_1) | instid1(SALU_CYCLE_1)
	s_cmp_lg_u32 s72, 0x2710
	s_cselect_b32 s73, -1, 0
	s_and_b32 vcc_lo, exec_lo, s73
	s_cbranch_vccz .LBB6_231
; %bb.230:                              ;   in Loop: Header=BB6_229 Depth=3
	s_mov_b32 s75, -1
	s_or_b32 s63, s63, exec_lo
	s_and_saveexec_b32 s74, s73
	s_cbranch_execz .LBB6_228
	s_branch .LBB6_232
.LBB6_231:                              ;   in Loop: Header=BB6_229 Depth=3
	s_trap 2
	ds_load_b64 v[2:3], v0
	s_and_not1_b32 s73, s73, exec_lo
	s_mov_b32 s72, 0
	s_wait_loadcnt_dscnt 0x0
	flat_load_b32 v1, v[2:3] scope:SCOPE_SYS
	s_wait_loadcnt_dscnt 0x0
	global_inv scope:SCOPE_SYS
	v_cmp_eq_u32_e32 vcc_lo, 0, v1
	s_and_b32 s74, vcc_lo, exec_lo
	s_delay_alu instid0(SALU_CYCLE_1)
	s_or_b32 s73, s73, s74
	s_mov_b32 s75, -1
	s_or_b32 s63, s63, exec_lo
	s_wait_xcnt 0x0
	s_and_saveexec_b32 s74, s73
	s_cbranch_execz .LBB6_228
.LBB6_232:                              ;   in Loop: Header=BB6_229 Depth=3
	s_sleep 1
	s_trap 2
	ds_load_b64 v[2:3], v0
	s_wait_dscnt 0x0
	s_and_not1_b32 s63, s63, exec_lo
	v_cmp_ge_u64_e32 vcc_lo, v[2:3], v[84:85]
	s_or_not1_b32 s75, vcc_lo, exec_lo
	s_branch .LBB6_228
.LBB6_233:                              ;   in Loop: Header=BB6_199 Depth=2
	s_or_b32 exec_lo, exec_lo, s43
	s_and_saveexec_b32 s43, s62
	s_delay_alu instid0(SALU_CYCLE_1)
	s_xor_b32 s43, exec_lo, s43
	s_cbranch_execz .LBB6_235
; %bb.234:                              ;   in Loop: Header=BB6_199 Depth=2
	ds_store_b32 v0, v118
	s_trap 2
.LBB6_235:                              ;   in Loop: Header=BB6_199 Depth=2
	s_or_b32 exec_lo, exec_lo, s42
	;;#ASMSTART
	s_wakeup
	;;#ASMEND
.LBB6_236:                              ;   in Loop: Header=BB6_199 Depth=2
	s_or_b32 exec_lo, exec_lo, s29
.LBB6_237:                              ;   in Loop: Header=BB6_199 Depth=2
	s_and_not1_saveexec_b32 s18, s18
	s_cbranch_execz .LBB6_239
; %bb.238:                              ;   in Loop: Header=BB6_199 Depth=2
	global_wb scope:SCOPE_DEV
	s_wait_storecnt 0x0
	s_wait_loadcnt_dscnt 0x0
	global_inv scope:SCOPE_DEV
	s_barrier_signal -1
	s_barrier_wait -1
.LBB6_239:                              ;   in Loop: Header=BB6_199 Depth=2
	s_or_b32 exec_lo, exec_lo, s18
.LBB6_240:                              ;   in Loop: Header=BB6_199 Depth=2
	s_delay_alu instid0(SALU_CYCLE_1) | instskip(SKIP_1) | instid1(SALU_CYCLE_1)
	s_or_b32 exec_lo, exec_lo, s13
                                        ; implicit-def: $vgpr1
	s_and_saveexec_b32 s13, s10
	s_xor_b32 s18, exec_lo, s13
	s_cbranch_execz .LBB6_244
; %bb.241:                              ;   in Loop: Header=BB6_199 Depth=2
	s_trap 2
	ds_load_b32 v1, v0
	v_cmp_lt_i32_e32 vcc_lo, 0, v0
	s_wait_dscnt 0x0
	v_readfirstlane_b32 s13, v1
	v_and_b32_e32 v1, 16, v81
	s_cmp_eq_u32 s13, 0
	s_delay_alu instid0(VALU_DEP_1) | instskip(SKIP_3) | instid1(SALU_CYCLE_1)
	v_cmp_ne_u32_e64 s13, 0, v1
	s_cselect_b32 s29, -1, 0
	v_and_b32_e32 v1, 16, v81
	s_and_b32 s29, vcc_lo, s29
	s_and_b32 s29, s13, s29
	s_delay_alu instid0(SALU_CYCLE_1)
	s_and_saveexec_b32 s13, s29
	s_cbranch_execz .LBB6_243
; %bb.242:                              ;   in Loop: Header=BB6_199 Depth=2
	v_mov_b32_e32 v1, 1
	global_wb scope:SCOPE_SYS
	s_wait_loadcnt 0x0
	s_wait_storecnt 0x0
	global_inv scope:SCOPE_SYS
.LBB6_243:                              ;   in Loop: Header=BB6_199 Depth=2
	s_or_b32 exec_lo, exec_lo, s13
	s_and_not1_saveexec_b32 s13, s18
	s_cbranch_execz .LBB6_263
	s_branch .LBB6_245
.LBB6_244:                              ;   in Loop: Header=BB6_199 Depth=2
	s_and_not1_saveexec_b32 s13, s18
	s_cbranch_execz .LBB6_263
.LBB6_245:                              ;   in Loop: Header=BB6_199 Depth=2
	s_and_saveexec_b32 s18, s3
	s_delay_alu instid0(SALU_CYCLE_1)
	s_xor_b32 s18, exec_lo, s18
	s_cbranch_execz .LBB6_260
; %bb.246:                              ;   in Loop: Header=BB6_199 Depth=2
	s_and_saveexec_b32 s29, s6
	s_cbranch_execz .LBB6_259
; %bb.247:                              ;   in Loop: Header=BB6_199 Depth=2
	s_mov_b32 s43, exec_lo
	s_mov_b32 s42, exec_lo
	v_mbcnt_lo_u32_b32 v1, s43, 0
	;;#ASMSTART
	s_waitcnt lgkmcnt(0) vmcnt(0)
	;;#ASMEND
	s_delay_alu instid0(VALU_DEP_1)
	v_cmpx_eq_u32_e32 0, v1
	s_cbranch_execz .LBB6_249
; %bb.248:                              ;   in Loop: Header=BB6_199 Depth=2
	s_bcnt1_i32_b32 s43, s43
	s_delay_alu instid0(SALU_CYCLE_1)
	v_dual_mov_b32 v3, v21 :: v_dual_mov_b32 v2, s43
	s_wait_storecnt 0x0
	s_wait_loadcnt_dscnt 0x0
	ds_add_u64 v0, v[2:3]
	s_trap 2
.LBB6_249:                              ;   in Loop: Header=BB6_199 Depth=2
	s_or_b32 exec_lo, exec_lo, s42
	s_trap 2
	ds_load_b64 v[2:3], v0
	s_wait_dscnt 0x0
	v_add_nc_u64_e32 v[84:85], v[84:85], v[26:27]
	s_mov_b32 s42, exec_lo
	s_delay_alu instid0(VALU_DEP_1)
	v_cmpx_lt_u64_e64 v[2:3], v[84:85]
	s_cbranch_execz .LBB6_258
; %bb.250:                              ;   in Loop: Header=BB6_199 Depth=2
	s_mov_b32 s43, 0
	s_mov_b32 s72, 0
                                        ; implicit-def: $sgpr62
                                        ; implicit-def: $sgpr63
	s_branch .LBB6_252
.LBB6_251:                              ;   in Loop: Header=BB6_252 Depth=3
	s_or_b32 exec_lo, exec_lo, s74
	s_delay_alu instid0(SALU_CYCLE_1) | instskip(NEXT) | instid1(SALU_CYCLE_1)
	s_and_b32 s73, exec_lo, s75
	s_or_b32 s43, s73, s43
	s_and_not1_b32 s62, s62, exec_lo
	s_and_b32 s73, s63, exec_lo
	s_delay_alu instid0(SALU_CYCLE_1)
	s_or_b32 s62, s62, s73
	s_and_not1_b32 exec_lo, exec_lo, s43
	s_cbranch_execz .LBB6_256
.LBB6_252:                              ;   Parent Loop BB6_47 Depth=1
                                        ;     Parent Loop BB6_199 Depth=2
                                        ; =>    This Inner Loop Header: Depth=3
	s_add_co_i32 s72, s72, 1
	s_delay_alu instid0(SALU_CYCLE_1) | instskip(SKIP_1) | instid1(SALU_CYCLE_1)
	s_cmp_lg_u32 s72, 0x2710
	s_cselect_b32 s73, -1, 0
	s_and_b32 vcc_lo, exec_lo, s73
	s_cbranch_vccz .LBB6_254
; %bb.253:                              ;   in Loop: Header=BB6_252 Depth=3
	s_mov_b32 s75, -1
	s_or_b32 s63, s63, exec_lo
	s_and_saveexec_b32 s74, s73
	s_cbranch_execz .LBB6_251
	s_branch .LBB6_255
.LBB6_254:                              ;   in Loop: Header=BB6_252 Depth=3
	s_trap 2
	ds_load_b64 v[2:3], v0
	s_and_not1_b32 s73, s73, exec_lo
	s_mov_b32 s72, 0
	s_wait_storecnt 0x0
	s_wait_loadcnt_dscnt 0x0
	flat_load_b32 v1, v[2:3] scope:SCOPE_SYS
	s_wait_loadcnt_dscnt 0x0
	global_inv scope:SCOPE_SYS
	v_cmp_eq_u32_e32 vcc_lo, 0, v1
	s_and_b32 s74, vcc_lo, exec_lo
	s_delay_alu instid0(SALU_CYCLE_1)
	s_or_b32 s73, s73, s74
	s_mov_b32 s75, -1
	s_or_b32 s63, s63, exec_lo
	s_wait_xcnt 0x0
	s_and_saveexec_b32 s74, s73
	s_cbranch_execz .LBB6_251
.LBB6_255:                              ;   in Loop: Header=BB6_252 Depth=3
	s_sleep 1
	s_trap 2
	ds_load_b64 v[2:3], v0
	s_wait_dscnt 0x0
	s_and_not1_b32 s63, s63, exec_lo
	v_cmp_ge_u64_e32 vcc_lo, v[2:3], v[84:85]
	s_or_not1_b32 s75, vcc_lo, exec_lo
	s_branch .LBB6_251
.LBB6_256:                              ;   in Loop: Header=BB6_199 Depth=2
	s_or_b32 exec_lo, exec_lo, s43
	s_and_saveexec_b32 s43, s62
	s_delay_alu instid0(SALU_CYCLE_1)
	s_xor_b32 s43, exec_lo, s43
	s_cbranch_execz .LBB6_258
; %bb.257:                              ;   in Loop: Header=BB6_199 Depth=2
	ds_store_b32 v0, v118
	s_trap 2
.LBB6_258:                              ;   in Loop: Header=BB6_199 Depth=2
	s_or_b32 exec_lo, exec_lo, s42
	;;#ASMSTART
	s_wakeup
	;;#ASMEND
.LBB6_259:                              ;   in Loop: Header=BB6_199 Depth=2
	s_or_b32 exec_lo, exec_lo, s29
.LBB6_260:                              ;   in Loop: Header=BB6_199 Depth=2
	s_and_not1_saveexec_b32 s18, s18
	s_cbranch_execz .LBB6_262
; %bb.261:                              ;   in Loop: Header=BB6_199 Depth=2
	;;#ASMSTART
	s_waitcnt lgkmcnt(0) vmcnt(0)
	;;#ASMEND
	s_barrier_signal -1
	s_barrier_wait -1
.LBB6_262:                              ;   in Loop: Header=BB6_199 Depth=2
	s_or_b32 exec_lo, exec_lo, s18
	v_and_b32_e32 v1, 16, v81
.LBB6_263:                              ;   in Loop: Header=BB6_199 Depth=2
	s_or_b32 exec_lo, exec_lo, s13
	s_delay_alu instid0(SALU_CYCLE_1) | instskip(NEXT) | instid1(VALU_DEP_1)
	s_mov_b32 s13, exec_lo
	v_cmpx_ne_u32_e32 0, v1
	s_cbranch_execz .LBB6_198
; %bb.264:                              ;   in Loop: Header=BB6_199 Depth=2
	s_and_saveexec_b32 s18, s5
	s_cbranch_execz .LBB6_197
; %bb.265:                              ;   in Loop: Header=BB6_199 Depth=2
	global_wb scope:SCOPE_SYS
	s_wait_storecnt 0x0
	s_wait_loadcnt_dscnt 0x0
	flat_store_b32 v[100:101], v118 scope:SCOPE_SYS
	s_branch .LBB6_197
.LBB6_266:                              ;   in Loop: Header=BB6_47 Depth=1
	s_or_b32 exec_lo, exec_lo, s15
.LBB6_267:                              ;   in Loop: Header=BB6_47 Depth=1
	s_delay_alu instid0(SALU_CYCLE_1) | instskip(NEXT) | instid1(SALU_CYCLE_1)
	s_or_b32 exec_lo, exec_lo, s14
	s_and_not1_b32 vcc_lo, exec_lo, s56
	s_clause 0x1
	scratch_store_b64 off, v[42:43], s33 offset:348
	scratch_store_b64 off, v[104:105], s33 offset:356
	s_cbranch_vccz .LBB6_268
; %bb.15039:                            ;   in Loop: Header=BB6_47 Depth=1
	s_add_pc_i64 .LBB6_5080-.Lpost_addpc29
.Lpost_addpc29:
.LBB6_268:                              ;   in Loop: Header=BB6_47 Depth=1
	s_mov_b32 s15, 2
	s_branch .LBB6_271
.LBB6_269:                              ;   in Loop: Header=BB6_271 Depth=2
	s_or_b32 exec_lo, exec_lo, s18
.LBB6_270:                              ;   in Loop: Header=BB6_271 Depth=2
	s_delay_alu instid0(SALU_CYCLE_1) | instskip(SKIP_1) | instid1(SALU_CYCLE_1)
	s_or_b32 exec_lo, exec_lo, s14
	s_add_co_i32 s15, s15, 1
	s_cmp_eq_u32 s15, s16
	s_cbranch_scc0 .LBB6_271
; %bb.15041:                            ;   in Loop: Header=BB6_47 Depth=1
	s_add_pc_i64 .LBB6_5080-.Lpost_addpc30
.Lpost_addpc30:
.LBB6_271:                              ;   Parent Loop BB6_47 Depth=1
                                        ; =>  This Loop Header: Depth=2
                                        ;       Child Loop BB6_274 Depth 3
                                        ;         Child Loop BB6_282 Depth 4
                                        ;         Child Loop BB6_310 Depth 4
	;; [unrolled: 1-line block ×9, first 2 shown]
                                        ;       Child Loop BB6_5008 Depth 3
                                        ;         Child Loop BB6_5014 Depth 4
                                        ;         Child Loop BB6_5042 Depth 4
	;; [unrolled: 1-line block ×3, first 2 shown]
	s_clause 0x1
	scratch_load_b64 v[2:3], off, s33 offset:504
	scratch_load_b64 v[0:1], off, s33 offset:496
	s_sub_co_i32 s13, s46, s15
	s_mov_b32 s29, 0
	s_cmp_ge_i32 s13, s16
	v_mov_b32_e32 v110, 0
	s_cselect_b32 s14, s16, 0
	s_delay_alu instid0(SALU_CYCLE_1) | instskip(NEXT) | instid1(SALU_CYCLE_1)
	s_sub_co_i32 s42, s13, s14
	s_ashr_i32 s43, s42, 31
	s_wait_loadcnt 0x1
	v_mul_u64_e32 v[120:121], s[42:43], v[2:3]
	s_wait_loadcnt 0x0
	s_delay_alu instid0(VALU_DEP_1) | instskip(NEXT) | instid1(VALU_DEP_1)
	v_sub_nc_u64_e32 v[0:1], v[0:1], v[120:121]
	v_min_i64 v[2:3], v[2:3], v[0:1]
	s_delay_alu instid0(VALU_DEP_1) | instskip(SKIP_1) | instid1(VALU_DEP_2)
	v_max_i32_e32 v106, 0, v2
	v_cmp_lt_i32_e32 vcc_lo, 0, v2
	v_add_nc_u32_e32 v0, 31, v106
	s_and_b32 s13, s59, vcc_lo
	s_delay_alu instid0(VALU_DEP_1) | instskip(NEXT) | instid1(VALU_DEP_1)
	v_lshrrev_b32_e32 v0, 1, v0
	v_and_b32_e32 v1, 0x3ffffff0, v0
	s_delay_alu instid0(VALU_DEP_1)
	v_dual_mov_b32 v0, 0 :: v_dual_max_i32 v108, s47, v1
	s_wait_xcnt 0x0
	s_and_saveexec_b32 s18, s13
	s_cbranch_execnz .LBB6_272
; %bb.15043:                            ;   in Loop: Header=BB6_271 Depth=2
	s_add_pc_i64 .LBB6_5005-.Lpost_addpc31
.Lpost_addpc31:
.LBB6_272:                              ;   in Loop: Header=BB6_271 Depth=2
	v_mov_b32_e32 v110, 0
	s_mov_b32 s43, 1
	s_mov_b32 s42, -1
	s_clause 0x1
	scratch_store_b32 off, v106, s33 offset:512
	scratch_store_b64 off, v[120:121], s33 offset:516
	s_branch .LBB6_274
.LBB6_273:                              ;   in Loop: Header=BB6_274 Depth=3
	s_wait_xcnt 0x0
	s_or_b32 exec_lo, exec_lo, s13
	v_dual_add_nc_u32 v110, v108, v110 :: v_dual_mov_b32 v0, s43
	s_xor_b32 s13, s42, -1
	s_mov_b32 s42, 0
	s_mov_b32 s43, 2
	s_delay_alu instid0(VALU_DEP_1) | instskip(SKIP_1) | instid1(SALU_CYCLE_1)
	v_cmp_ge_i32_e32 vcc_lo, v110, v106
	s_or_b32 s13, s13, vcc_lo
	s_and_b32 s13, exec_lo, s13
	s_delay_alu instid0(SALU_CYCLE_1) | instskip(NEXT) | instid1(SALU_CYCLE_1)
	s_or_b32 s29, s13, s29
	s_and_not1_b32 exec_lo, exec_lo, s29
	s_cbranch_execnz .LBB6_274
; %bb.15045:                            ;   in Loop: Header=BB6_271 Depth=2
	s_add_pc_i64 .LBB6_5004-.Lpost_addpc32
.Lpost_addpc32:
.LBB6_274:                              ;   Parent Loop BB6_47 Depth=1
                                        ;     Parent Loop BB6_271 Depth=2
                                        ; =>    This Loop Header: Depth=3
                                        ;         Child Loop BB6_282 Depth 4
                                        ;         Child Loop BB6_310 Depth 4
	;; [unrolled: 1-line block ×9, first 2 shown]
	s_wait_xcnt 0x0
	s_and_saveexec_b32 s13, s0
	s_cbranch_execz .LBB6_276
; %bb.275:                              ;   in Loop: Header=BB6_274 Depth=3
	s_trap 2
	ds_load_b64 v[0:1], v0
	v_ashrrev_i32_e32 v111, 31, v110
	s_wait_loadcnt_dscnt 0x0
	v_add_nc_u64_e32 v[0:1], v[0:1], v[104:105]
	s_delay_alu instid0(VALU_DEP_1) | instskip(NEXT) | instid1(VALU_DEP_1)
	v_add_nc_u64_e32 v[0:1], v[0:1], v[120:121]
	v_add_nc_u64_e32 v[0:1], v[0:1], v[110:111]
	ds_store_b64 v0, v[0:1]
	ds_store_b64 v0, v[116:117]
.LBB6_276:                              ;   in Loop: Header=BB6_274 Depth=3
	s_or_b32 exec_lo, exec_lo, s13
	v_dual_sub_nc_u32 v0, v106, v110 :: v_dual_bitop2_b32 v1, 12, v81 bitop3:0x40
	s_mov_b32 s14, exec_lo
	s_delay_alu instid0(VALU_DEP_1) | instskip(NEXT) | instid1(VALU_DEP_2)
	v_min_i32_e32 v108, v108, v0
	v_cmpx_ne_u32_e32 0, v1
	s_cbranch_execz .LBB6_302
; %bb.277:                              ;   in Loop: Header=BB6_274 Depth=3
	v_dual_mov_b32 v3, v21 :: v_dual_bitop2_b32 v2, 8, v81 bitop3:0x40
	v_add_nc_u64_e32 v[0:1], 2, v[94:95]
	s_mov_b32 s62, exec_lo
	s_wait_loadcnt_dscnt 0x1
	s_delay_alu instid0(VALU_DEP_2) | instskip(NEXT) | instid1(VALU_DEP_1)
	v_add_nc_u64_e32 v[4:5], v[102:103], v[2:3]
	v_cmpx_lt_u64_e64 v[4:5], v[0:1]
	s_cbranch_execz .LBB6_289
; %bb.278:                              ;   in Loop: Header=BB6_274 Depth=3
	v_and_b32_e32 v4, 64, v81
	s_mov_b32 s63, 0
	s_mov_b32 s75, 0
                                        ; implicit-def: $sgpr72
                                        ; implicit-def: $sgpr73
                                        ; implicit-def: $sgpr74
	s_delay_alu instid0(VALU_DEP_1)
	v_cmp_eq_u32_e32 vcc_lo, 0, v4
	s_branch .LBB6_282
.LBB6_279:                              ;   in Loop: Header=BB6_282 Depth=4
	s_wait_loadcnt_dscnt 0x0
	v_add_nc_u64_e32 v[6:7], v[102:103], v[2:3]
	s_or_b32 s78, s78, exec_lo
	s_delay_alu instid0(VALU_DEP_1)
	v_cmp_ge_u64_e64 s13, v[6:7], v[0:1]
	s_or_not1_b32 s77, s13, exec_lo
.LBB6_280:                              ;   in Loop: Header=BB6_282 Depth=4
	s_or_b32 exec_lo, exec_lo, s88
	s_delay_alu instid0(SALU_CYCLE_1)
	s_and_not1_b32 s13, s74, exec_lo
	s_and_b32 s74, s78, exec_lo
	s_and_not1_b32 s73, s73, exec_lo
	s_and_b32 s77, s77, exec_lo
	s_or_b32 s74, s13, s74
	s_or_b32 s73, s73, s77
.LBB6_281:                              ;   in Loop: Header=BB6_282 Depth=4
	s_or_b32 exec_lo, exec_lo, s76
	s_delay_alu instid0(SALU_CYCLE_1) | instskip(NEXT) | instid1(SALU_CYCLE_1)
	s_and_b32 s13, exec_lo, s73
	s_or_b32 s63, s13, s63
	s_and_not1_b32 s13, s72, exec_lo
	s_and_b32 s72, s74, exec_lo
	s_delay_alu instid0(SALU_CYCLE_1)
	s_or_b32 s72, s13, s72
	s_and_not1_b32 exec_lo, exec_lo, s63
	s_cbranch_execz .LBB6_286
.LBB6_282:                              ;   Parent Loop BB6_47 Depth=1
                                        ;     Parent Loop BB6_271 Depth=2
                                        ;       Parent Loop BB6_274 Depth=3
                                        ; =>      This Inner Loop Header: Depth=4
	s_sleep 1
	s_wait_loadcnt_dscnt 0x0
	flat_load_b64 v[102:103], v[86:87] scope:SCOPE_SYS
	s_or_b32 s74, s74, exec_lo
	s_or_b32 s73, s73, exec_lo
                                        ; implicit-def: $vgpr4
	s_wait_xcnt 0x0
	s_and_saveexec_b32 s76, vcc_lo
	s_cbranch_execz .LBB6_281
; %bb.283:                              ;   in Loop: Header=BB6_282 Depth=4
	s_cmp_lt_i32 s75, 0x270f
	s_mov_b32 s77, -1
	s_cselect_b32 s79, -1, 0
	s_cmp_gt_i32 s75, 0x270e
	s_cbranch_scc0 .LBB6_285
; %bb.284:                              ;   in Loop: Header=BB6_282 Depth=4
	s_trap 2
	ds_load_b64 v[4:5], v0
	s_and_not1_b32 s75, s79, exec_lo
	s_mov_b32 s78, 0
	s_wait_storecnt 0x0
	s_wait_loadcnt_dscnt 0x0
	flat_load_b32 v4, v[4:5] scope:SCOPE_SYS
	s_wait_loadcnt_dscnt 0x0
	global_inv scope:SCOPE_SYS
	v_cmp_eq_u32_e64 s13, 0, v4
	s_and_b32 s13, s13, exec_lo
	s_delay_alu instid0(SALU_CYCLE_1)
	s_or_b32 s79, s75, s13
	s_mov_b32 s75, 0
	s_wait_xcnt 0x0
	s_and_saveexec_b32 s88, s79
	s_cbranch_execz .LBB6_280
	s_branch .LBB6_279
.LBB6_285:                              ;   in Loop: Header=BB6_282 Depth=4
	s_add_co_i32 s75, s75, 1
	s_mov_b32 s78, -1
                                        ; implicit-def: $vgpr4
	s_and_saveexec_b32 s88, s79
	s_cbranch_execz .LBB6_280
	s_branch .LBB6_279
.LBB6_286:                              ;   in Loop: Header=BB6_274 Depth=3
	s_or_b32 exec_lo, exec_lo, s63
	s_xor_b32 s13, s72, -1
	s_delay_alu instid0(SALU_CYCLE_1) | instskip(NEXT) | instid1(SALU_CYCLE_1)
	s_and_saveexec_b32 s63, s13
	s_xor_b32 s13, exec_lo, s63
	s_cbranch_execz .LBB6_288
; %bb.287:                              ;   in Loop: Header=BB6_274 Depth=3
	v_or_b32_e32 v81, 64, v81
	s_wait_storecnt 0x0
	s_wait_loadcnt_dscnt 0x0
	ds_store_b32 v0, v4
	s_trap 2
.LBB6_288:                              ;   in Loop: Header=BB6_274 Depth=3
	s_or_b32 exec_lo, exec_lo, s13
.LBB6_289:                              ;   in Loop: Header=BB6_274 Depth=3
	s_delay_alu instid0(SALU_CYCLE_1) | instskip(SKIP_3) | instid1(VALU_DEP_1)
	s_or_b32 exec_lo, exec_lo, s62
	v_and_b32_e32 v3, 0x108, v81
	s_mov_b32 s13, exec_lo
	;;#ASMSTART
	s_wakeup
	;;#ASMEND
                                        ; implicit-def: $vgpr4_vgpr5
	v_cmpx_ne_u32_e32 0x108, v3
	s_xor_b32 s13, exec_lo, s13
; %bb.290:                              ;   in Loop: Header=BB6_274 Depth=3
	v_dual_mov_b32 v5, v21 :: v_dual_bitop2_b32 v4, 7, v94 bitop3:0x40
                                        ; implicit-def: $vgpr94_vgpr95
; %bb.291:                              ;   in Loop: Header=BB6_274 Depth=3
	s_and_not1_saveexec_b32 s13, s13
	s_cbranch_execz .LBB6_293
; %bb.292:                              ;   in Loop: Header=BB6_274 Depth=3
	v_dual_ashrrev_i32 v109, 31, v108 :: v_dual_bitop2_b32 v4, 7, v94 bitop3:0x40
	v_mov_b32_e32 v5, v21
	s_delay_alu instid0(VALU_DEP_2)
	v_mad_nc_u64_u32 v[6:7], v4, 24, v[82:83]
	flat_store_b64 v[6:7], v[108:109] offset:8
.LBB6_293:                              ;   in Loop: Header=BB6_274 Depth=3
	s_wait_xcnt 0x0
	s_or_b32 exec_lo, exec_lo, s13
	v_and_b32_e32 v3, 0x100, v81
	s_mov_b32 s13, -1
	s_mov_b32 s62, exec_lo
                                        ; implicit-def: $vgpr6_vgpr7
	s_delay_alu instid0(VALU_DEP_1)
	v_cmpx_ne_u32_e32 0, v3
	s_cbranch_execz .LBB6_297
; %bb.294:                              ;   in Loop: Header=BB6_274 Depth=3
	v_mad_nc_u64_u32 v[8:9], v4, 24, v[82:83]
	s_mov_b32 s63, exec_lo
                                        ; implicit-def: $vgpr6_vgpr7
	s_delay_alu instid0(VALU_DEP_1)
	v_mad_u32 v9, v5, 24, v9
	flat_load_b32 v3, v[8:9]
	s_wait_loadcnt_dscnt 0x0
	v_cmp_ne_u32_e32 vcc_lo, 1, v3
	s_wait_xcnt 0x0
	v_cmpx_eq_u32_e32 1, v3
	s_cbranch_execz .LBB6_296
; %bb.295:                              ;   in Loop: Header=BB6_274 Depth=3
	flat_load_b32 v6, v[8:9] offset:4 scope:SCOPE_SYS
	s_wait_loadcnt_dscnt 0x0
	v_ashrrev_i32_e32 v7, 31, v6
.LBB6_296:                              ;   in Loop: Header=BB6_274 Depth=3
	s_wait_xcnt 0x0
	s_or_b32 exec_lo, exec_lo, s63
	s_delay_alu instid0(SALU_CYCLE_1)
	s_or_not1_b32 s13, vcc_lo, exec_lo
.LBB6_297:                              ;   in Loop: Header=BB6_274 Depth=3
	s_or_b32 exec_lo, exec_lo, s62
	s_and_saveexec_b32 s62, s13
; %bb.298:                              ;   in Loop: Header=BB6_274 Depth=3
	v_mul_u64_e32 v[6:7], v[4:5], v[96:97]
; %bb.299:                              ;   in Loop: Header=BB6_274 Depth=3
	s_or_b32 exec_lo, exec_lo, s62
	v_cmp_eq_u32_e32 vcc_lo, 0, v2
	s_delay_alu instid0(VALU_DEP_2) | instskip(SKIP_3) | instid1(VALU_DEP_1)
	v_add_nc_u64_e32 v[2:3], v[98:99], v[6:7]
	v_and_b32_e32 v5, 0x2000, v81
	s_mov_b32 s13, exec_lo
	v_cndmask_b32_e32 v4, 0xc8, v119, vcc_lo
	v_add_nc_u32_e32 v4, v0, v4
	ds_store_b64 v4, v[2:3] offset:584
	v_cmpx_ne_u32_e32 0, v5
	s_cbranch_execz .LBB6_301
; %bb.300:                              ;   in Loop: Header=BB6_274 Depth=3
	ds_load_b64 v[2:3], v0 offset:872
	s_wait_dscnt 0x0
	v_add_nc_u64_e32 v[2:3], 1, v[2:3]
	ds_store_b64 v0, v[2:3] offset:872
.LBB6_301:                              ;   in Loop: Header=BB6_274 Depth=3
	s_or_b32 exec_lo, exec_lo, s13
	v_mov_b64_e32 v[94:95], v[0:1]
.LBB6_302:                              ;   in Loop: Header=BB6_274 Depth=3
	s_or_b32 exec_lo, exec_lo, s14
	s_and_saveexec_b32 s13, s2
	s_cbranch_execz .LBB6_321
; %bb.303:                              ;   in Loop: Header=BB6_274 Depth=3
	s_and_saveexec_b32 s14, s3
	s_delay_alu instid0(SALU_CYCLE_1)
	s_xor_b32 s14, exec_lo, s14
	s_cbranch_execz .LBB6_318
; %bb.304:                              ;   in Loop: Header=BB6_274 Depth=3
	s_and_saveexec_b32 s62, s6
	s_cbranch_execz .LBB6_317
; %bb.305:                              ;   in Loop: Header=BB6_274 Depth=3
	s_mov_b32 s72, exec_lo
	s_mov_b32 s63, exec_lo
	v_mbcnt_lo_u32_b32 v0, s72, 0
	global_wb scope:SCOPE_DEV
	s_wait_storecnt 0x0
	s_wait_loadcnt_dscnt 0x0
	global_inv scope:SCOPE_DEV
	v_cmpx_eq_u32_e32 0, v0
	s_cbranch_execz .LBB6_307
; %bb.306:                              ;   in Loop: Header=BB6_274 Depth=3
	s_bcnt1_i32_b32 s72, s72
	s_delay_alu instid0(SALU_CYCLE_1)
	v_dual_mov_b32 v1, v21 :: v_dual_mov_b32 v0, s72
	s_wait_loadcnt 0x0
	ds_add_u64 v0, v[0:1]
	s_trap 2
.LBB6_307:                              ;   in Loop: Header=BB6_274 Depth=3
	s_or_b32 exec_lo, exec_lo, s63
	s_trap 2
	ds_load_b64 v[0:1], v0
	s_wait_dscnt 0x0
	v_add_nc_u64_e32 v[84:85], v[84:85], v[26:27]
	s_mov_b32 s63, exec_lo
	s_delay_alu instid0(VALU_DEP_1)
	v_cmpx_lt_u64_e64 v[0:1], v[84:85]
	s_cbranch_execz .LBB6_316
; %bb.308:                              ;   in Loop: Header=BB6_274 Depth=3
	s_mov_b32 s72, 0
	s_mov_b32 s75, 0
                                        ; implicit-def: $sgpr73
                                        ; implicit-def: $sgpr74
	s_branch .LBB6_310
.LBB6_309:                              ;   in Loop: Header=BB6_310 Depth=4
	s_or_b32 exec_lo, exec_lo, s77
	s_delay_alu instid0(SALU_CYCLE_1) | instskip(NEXT) | instid1(SALU_CYCLE_1)
	s_and_b32 s76, exec_lo, s78
	s_or_b32 s72, s76, s72
	s_and_not1_b32 s73, s73, exec_lo
	s_and_b32 s76, s74, exec_lo
	s_delay_alu instid0(SALU_CYCLE_1)
	s_or_b32 s73, s73, s76
	s_and_not1_b32 exec_lo, exec_lo, s72
	s_cbranch_execz .LBB6_314
.LBB6_310:                              ;   Parent Loop BB6_47 Depth=1
                                        ;     Parent Loop BB6_271 Depth=2
                                        ;       Parent Loop BB6_274 Depth=3
                                        ; =>      This Inner Loop Header: Depth=4
	s_add_co_i32 s75, s75, 1
	s_delay_alu instid0(SALU_CYCLE_1) | instskip(SKIP_1) | instid1(SALU_CYCLE_1)
	s_cmp_lg_u32 s75, 0x2710
	s_cselect_b32 s76, -1, 0
	s_and_b32 vcc_lo, exec_lo, s76
	s_cbranch_vccz .LBB6_312
; %bb.311:                              ;   in Loop: Header=BB6_310 Depth=4
	s_mov_b32 s78, -1
	s_or_b32 s74, s74, exec_lo
	s_and_saveexec_b32 s77, s76
	s_cbranch_execz .LBB6_309
	s_branch .LBB6_313
.LBB6_312:                              ;   in Loop: Header=BB6_310 Depth=4
	s_trap 2
	ds_load_b64 v[0:1], v0
	s_and_not1_b32 s76, s76, exec_lo
	s_mov_b32 s75, 0
	s_wait_loadcnt_dscnt 0x0
	flat_load_b32 v0, v[0:1] scope:SCOPE_SYS
	s_wait_loadcnt_dscnt 0x0
	global_inv scope:SCOPE_SYS
	v_cmp_eq_u32_e32 vcc_lo, 0, v0
	s_and_b32 s77, vcc_lo, exec_lo
	s_delay_alu instid0(SALU_CYCLE_1)
	s_or_b32 s76, s76, s77
	s_mov_b32 s78, -1
	s_or_b32 s74, s74, exec_lo
	s_wait_xcnt 0x0
	s_and_saveexec_b32 s77, s76
	s_cbranch_execz .LBB6_309
.LBB6_313:                              ;   in Loop: Header=BB6_310 Depth=4
	s_sleep 1
	s_trap 2
	ds_load_b64 v[0:1], v0
	s_wait_dscnt 0x0
	s_and_not1_b32 s74, s74, exec_lo
	v_cmp_ge_u64_e32 vcc_lo, v[0:1], v[84:85]
	s_or_not1_b32 s78, vcc_lo, exec_lo
	s_branch .LBB6_309
.LBB6_314:                              ;   in Loop: Header=BB6_274 Depth=3
	s_or_b32 exec_lo, exec_lo, s72
	s_and_saveexec_b32 s72, s73
	s_delay_alu instid0(SALU_CYCLE_1)
	s_xor_b32 s72, exec_lo, s72
	s_cbranch_execz .LBB6_316
; %bb.315:                              ;   in Loop: Header=BB6_274 Depth=3
	ds_store_b32 v0, v118
	s_trap 2
.LBB6_316:                              ;   in Loop: Header=BB6_274 Depth=3
	s_or_b32 exec_lo, exec_lo, s63
	;;#ASMSTART
	s_wakeup
	;;#ASMEND
.LBB6_317:                              ;   in Loop: Header=BB6_274 Depth=3
	s_or_b32 exec_lo, exec_lo, s62
.LBB6_318:                              ;   in Loop: Header=BB6_274 Depth=3
	s_and_not1_saveexec_b32 s14, s14
	s_cbranch_execz .LBB6_320
; %bb.319:                              ;   in Loop: Header=BB6_274 Depth=3
	global_wb scope:SCOPE_DEV
	s_wait_storecnt 0x0
	s_wait_loadcnt_dscnt 0x0
	global_inv scope:SCOPE_DEV
	s_barrier_signal -1
	s_barrier_wait -1
.LBB6_320:                              ;   in Loop: Header=BB6_274 Depth=3
	s_or_b32 exec_lo, exec_lo, s14
.LBB6_321:                              ;   in Loop: Header=BB6_274 Depth=3
	s_delay_alu instid0(SALU_CYCLE_1) | instskip(SKIP_4) | instid1(VALU_DEP_1)
	s_or_b32 exec_lo, exec_lo, s13
	s_trap 2
	ds_load_b32 v0, v0
	v_and_b32_e32 v1, 0x4000, v81
	s_xor_b32 s13, s1, -1
	v_cmp_ne_u32_e32 vcc_lo, 0, v1
	s_and_b32 s14, s13, vcc_lo
	s_delay_alu instid0(SALU_CYCLE_1)
	s_and_saveexec_b32 s13, s14
	s_cbranch_execz .LBB6_340
; %bb.322:                              ;   in Loop: Header=BB6_274 Depth=3
	s_and_saveexec_b32 s14, s3
	s_delay_alu instid0(SALU_CYCLE_1)
	s_xor_b32 s14, exec_lo, s14
	s_cbranch_execz .LBB6_337
; %bb.323:                              ;   in Loop: Header=BB6_274 Depth=3
	s_and_saveexec_b32 s62, s6
	s_cbranch_execz .LBB6_336
; %bb.324:                              ;   in Loop: Header=BB6_274 Depth=3
	s_mov_b32 s72, exec_lo
	s_mov_b32 s63, exec_lo
	v_mbcnt_lo_u32_b32 v1, s72, 0
	global_wb scope:SCOPE_DEV
	s_wait_storecnt 0x0
	s_wait_loadcnt_dscnt 0x0
	global_inv scope:SCOPE_DEV
	v_cmpx_eq_u32_e32 0, v1
	s_cbranch_execz .LBB6_326
; %bb.325:                              ;   in Loop: Header=BB6_274 Depth=3
	s_bcnt1_i32_b32 s72, s72
	s_delay_alu instid0(SALU_CYCLE_1)
	v_dual_mov_b32 v3, v21 :: v_dual_mov_b32 v2, s72
	s_wait_loadcnt 0x0
	ds_add_u64 v0, v[2:3]
	s_trap 2
.LBB6_326:                              ;   in Loop: Header=BB6_274 Depth=3
	s_or_b32 exec_lo, exec_lo, s63
	s_trap 2
	ds_load_b64 v[2:3], v0
	s_wait_dscnt 0x0
	v_add_nc_u64_e32 v[84:85], v[84:85], v[26:27]
	s_mov_b32 s63, exec_lo
	s_delay_alu instid0(VALU_DEP_1)
	v_cmpx_lt_u64_e64 v[2:3], v[84:85]
	s_cbranch_execz .LBB6_335
; %bb.327:                              ;   in Loop: Header=BB6_274 Depth=3
	s_mov_b32 s72, 0
	s_mov_b32 s75, 0
                                        ; implicit-def: $sgpr73
                                        ; implicit-def: $sgpr74
	s_branch .LBB6_329
.LBB6_328:                              ;   in Loop: Header=BB6_329 Depth=4
	s_or_b32 exec_lo, exec_lo, s77
	s_delay_alu instid0(SALU_CYCLE_1) | instskip(NEXT) | instid1(SALU_CYCLE_1)
	s_and_b32 s76, exec_lo, s78
	s_or_b32 s72, s76, s72
	s_and_not1_b32 s73, s73, exec_lo
	s_and_b32 s76, s74, exec_lo
	s_delay_alu instid0(SALU_CYCLE_1)
	s_or_b32 s73, s73, s76
	s_and_not1_b32 exec_lo, exec_lo, s72
	s_cbranch_execz .LBB6_333
.LBB6_329:                              ;   Parent Loop BB6_47 Depth=1
                                        ;     Parent Loop BB6_271 Depth=2
                                        ;       Parent Loop BB6_274 Depth=3
                                        ; =>      This Inner Loop Header: Depth=4
	s_add_co_i32 s75, s75, 1
	s_delay_alu instid0(SALU_CYCLE_1) | instskip(SKIP_1) | instid1(SALU_CYCLE_1)
	s_cmp_lg_u32 s75, 0x2710
	s_cselect_b32 s76, -1, 0
	s_and_b32 vcc_lo, exec_lo, s76
	s_cbranch_vccz .LBB6_331
; %bb.330:                              ;   in Loop: Header=BB6_329 Depth=4
	s_mov_b32 s78, -1
	s_or_b32 s74, s74, exec_lo
	s_and_saveexec_b32 s77, s76
	s_cbranch_execz .LBB6_328
	s_branch .LBB6_332
.LBB6_331:                              ;   in Loop: Header=BB6_329 Depth=4
	s_trap 2
	ds_load_b64 v[2:3], v0
	s_and_not1_b32 s76, s76, exec_lo
	s_mov_b32 s75, 0
	s_wait_loadcnt_dscnt 0x0
	flat_load_b32 v1, v[2:3] scope:SCOPE_SYS
	s_wait_loadcnt_dscnt 0x0
	global_inv scope:SCOPE_SYS
	v_cmp_eq_u32_e32 vcc_lo, 0, v1
	s_and_b32 s77, vcc_lo, exec_lo
	s_delay_alu instid0(SALU_CYCLE_1)
	s_or_b32 s76, s76, s77
	s_mov_b32 s78, -1
	s_or_b32 s74, s74, exec_lo
	s_wait_xcnt 0x0
	s_and_saveexec_b32 s77, s76
	s_cbranch_execz .LBB6_328
.LBB6_332:                              ;   in Loop: Header=BB6_329 Depth=4
	s_sleep 1
	s_trap 2
	ds_load_b64 v[2:3], v0
	s_wait_dscnt 0x0
	s_and_not1_b32 s74, s74, exec_lo
	v_cmp_ge_u64_e32 vcc_lo, v[2:3], v[84:85]
	s_or_not1_b32 s78, vcc_lo, exec_lo
	s_branch .LBB6_328
.LBB6_333:                              ;   in Loop: Header=BB6_274 Depth=3
	s_or_b32 exec_lo, exec_lo, s72
	s_and_saveexec_b32 s72, s73
	s_delay_alu instid0(SALU_CYCLE_1)
	s_xor_b32 s72, exec_lo, s72
	s_cbranch_execz .LBB6_335
; %bb.334:                              ;   in Loop: Header=BB6_274 Depth=3
	ds_store_b32 v0, v118
	s_trap 2
.LBB6_335:                              ;   in Loop: Header=BB6_274 Depth=3
	s_or_b32 exec_lo, exec_lo, s63
	;;#ASMSTART
	s_wakeup
	;;#ASMEND
.LBB6_336:                              ;   in Loop: Header=BB6_274 Depth=3
	s_or_b32 exec_lo, exec_lo, s62
.LBB6_337:                              ;   in Loop: Header=BB6_274 Depth=3
	s_and_not1_saveexec_b32 s14, s14
	s_cbranch_execz .LBB6_339
; %bb.338:                              ;   in Loop: Header=BB6_274 Depth=3
	global_wb scope:SCOPE_DEV
	s_wait_storecnt 0x0
	s_wait_loadcnt_dscnt 0x0
	global_inv scope:SCOPE_DEV
	s_barrier_signal -1
	s_barrier_wait -1
.LBB6_339:                              ;   in Loop: Header=BB6_274 Depth=3
	s_or_b32 exec_lo, exec_lo, s14
.LBB6_340:                              ;   in Loop: Header=BB6_274 Depth=3
	s_delay_alu instid0(SALU_CYCLE_1)
	s_or_b32 exec_lo, exec_lo, s13
	s_trap 2
	s_wait_dscnt 0x0
	ds_load_b64 v[88:89], v0
	s_wait_dscnt 0x0
	v_cmp_eq_u64_e32 vcc_lo, 0, v[88:89]
	s_cbranch_vccnz .LBB6_348
; %bb.341:                              ;   in Loop: Header=BB6_274 Depth=3
	s_trap 2
	ds_load_b64 v[90:91], v0
	s_wait_dscnt 0x0
	v_cmp_eq_u64_e32 vcc_lo, 0, v[90:91]
	s_cbranch_vccnz .LBB6_348
; %bb.342:                              ;   in Loop: Header=BB6_274 Depth=3
	s_mov_b32 s13, -1
	s_and_saveexec_b32 s14, s12
	s_cbranch_execz .LBB6_344
; %bb.343:                              ;   in Loop: Header=BB6_274 Depth=3
	ds_load_b32 v1, v0 offset:720
	s_wait_dscnt 0x0
	v_and_b32_e32 v1, 15, v1
	s_delay_alu instid0(VALU_DEP_1)
	v_cmp_eq_u32_e32 vcc_lo, 0, v1
	s_or_not1_b32 s13, vcc_lo, exec_lo
.LBB6_344:                              ;   in Loop: Header=BB6_274 Depth=3
	s_or_b32 exec_lo, exec_lo, s14
	s_and_saveexec_b32 s14, s11
	s_cbranch_execz .LBB6_346
; %bb.345:                              ;   in Loop: Header=BB6_274 Depth=3
	ds_load_b32 v1, v0 offset:784
	s_wait_dscnt 0x0
	v_and_b32_e32 v1, 15, v1
	s_delay_alu instid0(VALU_DEP_1) | instskip(SKIP_3) | instid1(SALU_CYCLE_1)
	v_cmp_eq_u32_e32 vcc_lo, 0, v1
	s_and_b32 s62, s13, vcc_lo
	s_and_not1_b32 s13, s13, exec_lo
	s_and_b32 s62, s62, exec_lo
	s_or_b32 s13, s13, s62
.LBB6_346:                              ;   in Loop: Header=BB6_274 Depth=3
	s_or_b32 exec_lo, exec_lo, s14
	v_cmp_eq_u32_e32 vcc_lo, 0, v0
	s_xor_b32 s13, s13, -1
	s_wait_loadcnt 0x4
	v_mov_b32_e32 v0, v41
	v_cndmask_b32_e64 v1, 0, 1, s13
	s_mov_b32 s13, -1
	v_dual_cndmask_b32 v107, 0, v108 :: v_dual_mov_b32 v8, 0
	v_mov_b32_e32 v5, v80
	s_delay_alu instid0(VALU_DEP_3) | instskip(NEXT) | instid1(VALU_DEP_3)
	v_cmp_ne_u32_e32 vcc_lo, 0, v1
	v_mov_b32_e32 v4, v107
	s_cbranch_vccz .LBB6_353
; %bb.347:                              ;   in Loop: Header=BB6_274 Depth=3
	s_and_saveexec_b32 s14, s13
	s_cbranch_execnz .LBB6_3502
; %bb.15021:                            ;   in Loop: Header=BB6_274 Depth=3
	s_add_pc_i64 .LBB6_4962-.Lpost_addpc20
.Lpost_addpc20:
.LBB6_348:                              ;   in Loop: Header=BB6_274 Depth=3
	s_mov_b32 s13, 0
	s_and_saveexec_b32 s14, s2
	s_cbranch_execz .LBB6_349
; %bb.15047:                            ;   in Loop: Header=BB6_274 Depth=3
	s_add_pc_i64 .LBB6_4963-.Lpost_addpc33
.Lpost_addpc33:
.LBB6_349:                              ;   in Loop: Header=BB6_274 Depth=3
	s_or_b32 exec_lo, exec_lo, s14
                                        ; implicit-def: $vgpr0
	s_and_saveexec_b32 s14, s10
	s_delay_alu instid0(SALU_CYCLE_1)
	s_xor_b32 s14, exec_lo, s14
	s_cbranch_execnz .LBB6_350
; %bb.15049:                            ;   in Loop: Header=BB6_274 Depth=3
	s_add_pc_i64 .LBB6_4981-.Lpost_addpc34
.Lpost_addpc34:
.LBB6_350:                              ;   in Loop: Header=BB6_274 Depth=3
	v_and_b32_e32 v0, 16, v81
	s_delay_alu instid0(VALU_DEP_1) | instskip(SKIP_2) | instid1(SALU_CYCLE_1)
	v_cmp_ne_u32_e32 vcc_lo, 0, v0
	v_and_b32_e32 v0, 16, v81
	s_and_b32 s62, vcc_lo, s13
	s_and_saveexec_b32 s13, s62
	s_cbranch_execz .LBB6_352
; %bb.351:                              ;   in Loop: Header=BB6_274 Depth=3
	v_mov_b32_e32 v0, 1
	global_wb scope:SCOPE_SYS
	s_wait_storecnt 0x0
	s_wait_loadcnt_dscnt 0x0
	global_inv scope:SCOPE_SYS
.LBB6_352:                              ;   in Loop: Header=BB6_274 Depth=3
	s_or_b32 exec_lo, exec_lo, s13
	s_and_not1_saveexec_b32 s13, s14
	s_cbranch_execnz .LBB6_15023
; %bb.15051:                            ;   in Loop: Header=BB6_274 Depth=3
	s_add_pc_i64 .LBB6_5000-.Lpost_addpc35
.Lpost_addpc35:
.LBB6_15023:                            ;   in Loop: Header=BB6_274 Depth=3
	s_add_pc_i64 .LBB6_4982-.Lpost_addpc21
.Lpost_addpc21:
.LBB6_353:                              ;   in Loop: Header=BB6_274 Depth=3
	v_ashrrev_i32_e32 v0, 31, v107
	s_mov_b32 s14, exec_lo
	s_delay_alu instid0(VALU_DEP_1) | instskip(NEXT) | instid1(VALU_DEP_1)
	v_lshrrev_b32_e32 v0, 21, v0
	v_add_nc_u32_e32 v0, v107, v0
	s_delay_alu instid0(VALU_DEP_1) | instskip(NEXT) | instid1(VALU_DEP_1)
	v_ashrrev_i32_e32 v23, 11, v0
	v_sub_nc_u32_e32 v22, v23, v41
	s_delay_alu instid0(VALU_DEP_1)
	v_cmpx_lt_i32_e32 0, v22
	s_cbranch_execz .LBB6_2917
; %bb.354:                              ;   in Loop: Header=BB6_274 Depth=3
	s_trap 2
	scratch_load_b64 v[2:3], off, s33 offset:524 ; 8-byte Folded Reload
	ds_load_b64 v[0:1], v0
	v_mov_b64_e32 v[56:57], v[94:95]
	s_wait_loadcnt 0x1
	v_mov_b64_e32 v[44:45], v[102:103]
	v_mov_b64_e32 v[42:43], v[84:85]
	v_mov_b32_e32 v40, v81
	s_mov_b32 s62, 0
	s_wait_loadcnt 0x0
	v_add_nc_u64_e32 v[92:93], v[88:89], v[2:3]
	s_wait_dscnt 0x0
	v_add_nc_u64_e32 v[94:95], v[0:1], v[2:3]
	v_add_nc_u64_e32 v[104:105], v[90:91], v[2:3]
	s_branch .LBB6_357
.LBB6_355:                              ;   in Loop: Header=BB6_357 Depth=4
	s_or_b32 exec_lo, exec_lo, s63
.LBB6_356:                              ;   in Loop: Header=BB6_357 Depth=4
	s_delay_alu instid0(SALU_CYCLE_1)
	s_or_b32 exec_lo, exec_lo, s13
	v_lshl_or_b32 v1, v85, 8, v84
	v_dual_lshlrev_b32 v2, 16, v17 :: v_dual_lshlrev_b32 v3, 24, v16
	v_lshl_or_b32 v5, v34, 8, v27
	v_lshlrev_b32_e32 v10, 16, v35
	v_dual_lshlrev_b32 v16, 24, v87 :: v_dual_lshlrev_b32 v17, 16, v12
	s_delay_alu instid0(VALU_DEP_4)
	v_or3_b32 v11, v1, v2, v3
	v_dual_lshlrev_b32 v1, 24, v83 :: v_dual_lshlrev_b32 v13, 24, v13
	v_lshl_or_b32 v2, v19, 8, v18
	v_lshlrev_b32_e32 v3, 16, v86
	v_lshl_or_b32 v18, v97, 8, v96
	v_lshl_or_b32 v19, v69, 8, v68
	v_dual_lshlrev_b32 v20, 16, v70 :: v_dual_lshlrev_b32 v24, 24, v24
	v_lshl_or_b32 v27, v50, 8, v39
	v_lshlrev_b32_e32 v34, 16, v51
	v_lshlrev_b32_e32 v35, 24, v67
	v_or3_b32 v10, v5, v10, v1
	v_or3_b32 v12, v2, v3, v16
	v_lshl_or_b32 v1, v32, 8, v25
	v_dual_lshlrev_b32 v2, 16, v33 :: v_dual_lshlrev_b32 v3, 24, v71
	v_or3_b32 v13, v18, v17, v13
	v_or3_b32 v17, v19, v20, v24
	v_lshlrev_b32_e32 v5, 24, v26
	v_or3_b32 v16, v27, v34, v35
	v_lshlrev_b32_e32 v19, 16, v82
	v_lshl_or_b32 v20, v81, 8, v80
	v_lshl_or_b32 v24, v53, 8, v52
	v_dual_lshlrev_b32 v25, 16, v54 :: v_dual_lshlrev_b32 v26, 24, v36
	v_lshl_or_b32 v27, v29, 8, v28
	v_dual_lshlrev_b32 v28, 16, v30 :: v_dual_lshlrev_b32 v29, 24, v31
	;; [unrolled: 2-line block ×3, first 2 shown]
	v_or3_b32 v18, v1, v2, v3
	v_dual_lshlrev_b32 v1, 24, v38 :: v_dual_lshlrev_b32 v7, 24, v7
	v_lshlrev_b32_e32 v2, 16, v66
	v_lshl_or_b32 v3, v65, 8, v64
	v_or3_b32 v19, v20, v19, v5
	v_or3_b32 v25, v24, v25, v26
	;; [unrolled: 1-line block ×4, first 2 shown]
	v_lshlrev_b32_e32 v20, 24, v99
	v_or3_b32 v27, v3, v2, v1
	v_lshl_or_b32 v5, v101, 8, v100
	v_dual_lshlrev_b32 v6, 16, v6 :: v_dual_lshlrev_b32 v28, 24, v103
	v_lshl_or_b32 v14, v15, 8, v14
	v_dual_lshlrev_b32 v15, 16, v98 :: v_dual_lshlrev_b32 v29, 24, v0
	;; [unrolled: 2-line block ×3, first 2 shown]
	v_lshl_or_b32 v30, v113, 8, v112
	s_clause 0x1
	global_store_b128 v[104:105], v[24:27], off th:TH_STORE_NT
	global_store_b128 v[104:105], v[16:19], off offset:512 th:TH_STORE_NT
	v_or3_b32 v1, v5, v6, v7
	v_or3_b32 v0, v14, v15, v20
	;; [unrolled: 1-line block ×4, first 2 shown]
	scratch_load_b64 v[26:27], off, s33 offset:188 ; 8-byte Folded Reload
	s_clause 0x1
	global_store_b128 v[104:105], v[10:13], off offset:1024 th:TH_STORE_NT
	global_store_b128 v[104:105], v[0:3], off offset:1536 th:TH_STORE_NT
	scratch_load_b64 v[0:1], off, s33 offset:252 ; 8-byte Folded Reload
	s_wait_loadcnt 0x1
	v_sub_nc_u32_e32 v22, v22, v26
	s_wait_loadcnt 0x0
	v_add_nc_u64_e32 v[92:93], v[92:93], v[0:1]
	v_add_nc_u64_e32 v[94:95], v[94:95], v[0:1]
	s_delay_alu instid0(VALU_DEP_3)
	v_cmp_gt_i32_e32 vcc_lo, 1, v22
	v_add_nc_u64_e32 v[104:105], v[104:105], v[0:1]
	s_or_b32 s62, vcc_lo, s62
	s_wait_xcnt 0x0
	s_and_not1_b32 exec_lo, exec_lo, s62
	s_cbranch_execz .LBB6_2916
.LBB6_357:                              ;   Parent Loop BB6_47 Depth=1
                                        ;     Parent Loop BB6_271 Depth=2
                                        ;       Parent Loop BB6_274 Depth=3
                                        ; =>      This Inner Loop Header: Depth=4
	s_clause 0x3
	global_load_b128 v[48:51], v[92:93], off th:TH_LOAD_NT
	global_load_b128 v[32:35], v[92:93], off offset:512 th:TH_LOAD_NT
	global_load_b128 v[12:15], v[92:93], off offset:1024 th:TH_LOAD_NT
	;; [unrolled: 1-line block ×3, first 2 shown]
	s_clause 0x3
	global_load_b128 v[36:39], v[94:95], off th:TH_LOAD_NT
	global_load_b128 v[24:27], v[94:95], off offset:512 th:TH_LOAD_NT
	global_load_b128 v[4:7], v[94:95], off offset:1024 th:TH_LOAD_NT
	;; [unrolled: 1-line block ×3, first 2 shown]
	v_mov_b32_e32 v16, 0
	s_wait_loadcnt 0x7
	v_and_b32_e32 v17, 0xff, v48
	s_delay_alu instid0(VALU_DEP_1)
	v_cmp_ne_u16_e32 vcc_lo, 0, v17
	v_mov_b32_e32 v17, 0
	s_wait_xcnt 0x0
	s_and_saveexec_b32 s13, vcc_lo
	s_cbranch_execz .LBB6_367
; %bb.358:                              ;   in Loop: Header=BB6_357 Depth=4
	v_bfe_i32 v19, v48, 0, 8
	v_bfrev_b32_e32 v17, 1
	s_mov_b32 s63, exec_lo
	s_delay_alu instid0(VALU_DEP_2)
	v_cmpx_ne_u16_e32 0xff80, v19
	s_cbranch_execz .LBB6_366
; %bb.359:                              ;   in Loop: Header=BB6_357 Depth=4
	v_and_b32_e32 v17, 0x7c, v48
	v_and_b32_e32 v18, 3, v48
	s_delay_alu instid0(VALU_DEP_2) | instskip(SKIP_1) | instid1(SALU_CYCLE_1)
	v_cmp_ne_u32_e32 vcc_lo, 0x7c, v17
                                        ; implicit-def: $vgpr17
	s_and_saveexec_b32 s72, vcc_lo
	s_xor_b32 s72, exec_lo, s72
	s_cbranch_execz .LBB6_363
; %bb.360:                              ;   in Loop: Header=BB6_357 Depth=4
	v_bfe_u32 v17, v48, 2, 5
	s_mov_b32 s73, exec_lo
	s_delay_alu instid0(VALU_DEP_1)
	v_cmpx_eq_u32_e32 0, v17
; %bb.361:                              ;   in Loop: Header=BB6_357 Depth=4
	v_clz_i32_u32_e32 v17, v18
	s_delay_alu instid0(VALU_DEP_1) | instskip(NEXT) | instid1(VALU_DEP_1)
	v_min_u32_e32 v17, 32, v17
	v_subrev_nc_u32_e32 v18, 29, v17
	s_delay_alu instid0(VALU_DEP_1) | instskip(NEXT) | instid1(VALU_DEP_1)
	v_lshlrev_b64_e32 v[18:19], v18, v[48:49]
	v_dual_sub_nc_u32 v17, 30, v17 :: v_dual_bitop2_b32 v18, 3, v18 bitop3:0x40
; %bb.362:                              ;   in Loop: Header=BB6_357 Depth=4
	s_or_b32 exec_lo, exec_lo, s73
	v_lshlrev_b32_e32 v19, 24, v48
	s_delay_alu instid0(VALU_DEP_1) | instskip(NEXT) | instid1(VALU_DEP_1)
	v_and_b32_e32 v19, 0x80000000, v19
	v_lshl_add_u32 v17, v17, 23, v19
                                        ; implicit-def: $vgpr19
	s_delay_alu instid0(VALU_DEP_1) | instskip(NEXT) | instid1(VALU_DEP_1)
	v_lshl_or_b32 v17, v18, 21, v17
                                        ; implicit-def: $vgpr18
	v_add_nc_u32_e32 v17, 0x38000000, v17
.LBB6_363:                              ;   in Loop: Header=BB6_357 Depth=4
	s_and_not1_saveexec_b32 s72, s72
; %bb.364:                              ;   in Loop: Header=BB6_357 Depth=4
	v_cmp_lt_i16_e32 vcc_lo, -1, v19
	v_mov_b32_e32 v17, 0x7f800000
	s_delay_alu instid0(VALU_DEP_1) | instskip(SKIP_1) | instid1(VALU_DEP_2)
	v_cndmask_b32_e32 v17, 0xff800000, v17, vcc_lo
	v_cmp_eq_u32_e32 vcc_lo, 0, v18
	v_cndmask_b32_e32 v17, 0x7f800001, v17, vcc_lo
; %bb.365:                              ;   in Loop: Header=BB6_357 Depth=4
	s_or_b32 exec_lo, exec_lo, s72
.LBB6_366:                              ;   in Loop: Header=BB6_357 Depth=4
	s_delay_alu instid0(SALU_CYCLE_1)
	s_or_b32 exec_lo, exec_lo, s63
.LBB6_367:                              ;   in Loop: Header=BB6_357 Depth=4
	s_delay_alu instid0(SALU_CYCLE_1) | instskip(SKIP_3) | instid1(VALU_DEP_1)
	s_or_b32 exec_lo, exec_lo, s13
	s_wait_loadcnt 0x3
	v_and_b32_e32 v18, 0xff, v36
	s_mov_b32 s13, exec_lo
	v_cmpx_ne_u16_e32 0, v18
	s_cbranch_execz .LBB6_377
; %bb.368:                              ;   in Loop: Header=BB6_357 Depth=4
	v_bfe_i32 v19, v36, 0, 8
	v_bfrev_b32_e32 v16, 1
	s_mov_b32 s63, exec_lo
	s_delay_alu instid0(VALU_DEP_2)
	v_cmpx_ne_u16_e32 0xff80, v19
	s_cbranch_execz .LBB6_376
; %bb.369:                              ;   in Loop: Header=BB6_357 Depth=4
	v_and_b32_e32 v16, 0x7c, v36
	v_and_b32_e32 v18, 3, v36
	s_delay_alu instid0(VALU_DEP_2) | instskip(SKIP_1) | instid1(SALU_CYCLE_1)
	v_cmp_ne_u32_e32 vcc_lo, 0x7c, v16
                                        ; implicit-def: $vgpr16
	s_and_saveexec_b32 s72, vcc_lo
	s_xor_b32 s72, exec_lo, s72
	s_cbranch_execz .LBB6_373
; %bb.370:                              ;   in Loop: Header=BB6_357 Depth=4
	v_bfe_u32 v16, v36, 2, 5
	s_mov_b32 s73, exec_lo
	s_delay_alu instid0(VALU_DEP_1)
	v_cmpx_eq_u32_e32 0, v16
; %bb.371:                              ;   in Loop: Header=BB6_357 Depth=4
	v_clz_i32_u32_e32 v16, v18
	s_delay_alu instid0(VALU_DEP_1) | instskip(NEXT) | instid1(VALU_DEP_1)
	v_min_u32_e32 v16, 32, v16
	v_subrev_nc_u32_e32 v18, 29, v16
	s_delay_alu instid0(VALU_DEP_1) | instskip(NEXT) | instid1(VALU_DEP_1)
	v_lshlrev_b64_e32 v[18:19], v18, v[36:37]
	v_dual_sub_nc_u32 v16, 30, v16 :: v_dual_bitop2_b32 v18, 3, v18 bitop3:0x40
; %bb.372:                              ;   in Loop: Header=BB6_357 Depth=4
	s_or_b32 exec_lo, exec_lo, s73
	v_lshlrev_b32_e32 v19, 24, v36
	s_delay_alu instid0(VALU_DEP_1) | instskip(NEXT) | instid1(VALU_DEP_1)
	v_and_b32_e32 v19, 0x80000000, v19
	v_lshl_add_u32 v16, v16, 23, v19
                                        ; implicit-def: $vgpr19
	s_delay_alu instid0(VALU_DEP_1) | instskip(NEXT) | instid1(VALU_DEP_1)
	v_lshl_or_b32 v16, v18, 21, v16
                                        ; implicit-def: $vgpr18
	v_add_nc_u32_e32 v16, 0x38000000, v16
.LBB6_373:                              ;   in Loop: Header=BB6_357 Depth=4
	s_and_not1_saveexec_b32 s72, s72
; %bb.374:                              ;   in Loop: Header=BB6_357 Depth=4
	v_cmp_lt_i16_e32 vcc_lo, -1, v19
	v_mov_b32_e32 v16, 0x7f800000
	s_delay_alu instid0(VALU_DEP_1) | instskip(SKIP_1) | instid1(VALU_DEP_2)
	v_cndmask_b32_e32 v16, 0xff800000, v16, vcc_lo
	v_cmp_eq_u32_e32 vcc_lo, 0, v18
	v_cndmask_b32_e32 v16, 0x7f800001, v16, vcc_lo
; %bb.375:                              ;   in Loop: Header=BB6_357 Depth=4
	s_or_b32 exec_lo, exec_lo, s72
.LBB6_376:                              ;   in Loop: Header=BB6_357 Depth=4
	s_delay_alu instid0(SALU_CYCLE_1)
	s_or_b32 exec_lo, exec_lo, s63
.LBB6_377:                              ;   in Loop: Header=BB6_357 Depth=4
	s_delay_alu instid0(SALU_CYCLE_1) | instskip(NEXT) | instid1(VALU_DEP_1)
	s_or_b32 exec_lo, exec_lo, s13
	v_mul_f32_e32 v16, v17, v16
	v_mov_b32_e32 v19, v21
                                        ; implicit-def: $vgpr28
	s_mov_b32 s13, exec_lo
	s_delay_alu instid0(VALU_DEP_2) | instskip(SKIP_2) | instid1(VALU_DEP_3)
	v_and_b32_e32 v18, 0x7f800000, v16
	v_and_b32_e32 v20, 0x7fffff, v16
	v_lshrrev_b32_e32 v17, 24, v16
	v_cmpx_ne_u64_e32 0x7f800000, v[18:19]
	s_xor_b32 s63, exec_lo, s13
	s_cbranch_execz .LBB6_391
; %bb.378:                              ;   in Loop: Header=BB6_357 Depth=4
	v_and_b32_e32 v18, 0x7fffffff, v16
	v_mov_b32_e32 v19, v21
	v_and_b32_e32 v29, 0x80, v17
                                        ; implicit-def: $vgpr28
	s_mov_b32 s13, exec_lo
	s_delay_alu instid0(VALU_DEP_2)
	v_cmpx_gt_u64_e32 0x47600001, v[18:19]
	s_xor_b32 s72, exec_lo, s13
	s_cbranch_execz .LBB6_388
; %bb.379:                              ;   in Loop: Header=BB6_357 Depth=4
	v_mov_b32_e32 v28, 0
	s_mov_b32 s73, exec_lo
	v_cmpx_ne_u32_e32 0, v16
	s_cbranch_execz .LBB6_387
; %bb.380:                              ;   in Loop: Header=BB6_357 Depth=4
	v_bfe_u32 v28, v16, 23, 8
	v_or_b32_e32 v17, 0x800000, v20
	s_delay_alu instid0(VALU_DEP_2) | instskip(SKIP_2) | instid1(VALU_DEP_2)
	v_cmp_gt_u32_e64 s13, 0x72, v28
	v_sub_nc_u32_e32 v16, 0x71, v28
	v_cmp_eq_u32_e32 vcc_lo, 0, v28
	v_cndmask_b32_e64 v16, 0, v16, s13
	s_delay_alu instid0(VALU_DEP_1) | instskip(SKIP_1) | instid1(VALU_DEP_2)
	v_cndmask_b32_e64 v30, v16, 0x70, vcc_lo
	v_cndmask_b32_e32 v16, v17, v20, vcc_lo
	v_dual_mov_b32 v17, v21 :: v_dual_add_nc_u32 v18, 21, v30
	v_add_nc_u32_e32 v20, 20, v30
	s_delay_alu instid0(VALU_DEP_2) | instskip(NEXT) | instid1(VALU_DEP_2)
	v_lshlrev_b64_e64 v[18:19], v18, -1
	v_lshlrev_b64_e64 v[52:53], v20, 1
	s_delay_alu instid0(VALU_DEP_2) | instskip(SKIP_1) | instid1(VALU_DEP_4)
	v_bfi_b32 v18, v18, 0, v16
	v_lshrrev_b64 v[16:17], v30, v[16:17]
	v_bfi_b32 v19, v19, 0, 0
	s_delay_alu instid0(VALU_DEP_1) | instskip(NEXT) | instid1(VALU_DEP_3)
	v_cmp_eq_u64_e64 s13, v[18:19], v[52:53]
	v_mov_b64_e32 v[18:19], v[16:17]
	s_and_saveexec_b32 s74, s13
; %bb.381:                              ;   in Loop: Header=BB6_357 Depth=4
	v_bfe_u32 v18, v16, 21, 1
	v_mov_b32_e32 v19, v21
	s_delay_alu instid0(VALU_DEP_1) | instskip(NEXT) | instid1(VALU_DEP_1)
	v_add_nc_u64_e32 v[18:19], v[16:17], v[18:19]
	v_add_nc_u64_e32 v[18:19], -1, v[18:19]
; %bb.382:                              ;   in Loop: Header=BB6_357 Depth=4
	s_or_b32 exec_lo, exec_lo, s74
	v_add_nc_u32_e32 v17, 0xffffff81, v28
	v_lshrrev_b32_e32 v19, 23, v16
	s_mov_b32 s13, exec_lo
	s_delay_alu instid0(VALU_DEP_2) | instskip(NEXT) | instid1(VALU_DEP_1)
	v_cndmask_b32_e64 v17, v17, 0xffffff82, vcc_lo
	v_add3_u32 v28, v30, v17, v19
	v_and_b32_e32 v17, 0x1fffff, v18
                                        ; implicit-def: $vgpr18
	s_delay_alu instid0(VALU_DEP_2) | instskip(NEXT) | instid1(VALU_DEP_2)
	v_add_nc_u32_e32 v19, 14, v28
	v_add_nc_u32_e32 v20, v17, v16
                                        ; implicit-def: $vgpr16_vgpr17
	s_delay_alu instid0(VALU_DEP_2)
	v_cmpx_ne_u32_e32 0, v19
	s_xor_b32 s13, exec_lo, s13
; %bb.383:                              ;   in Loop: Header=BB6_357 Depth=4
	s_delay_alu instid0(VALU_DEP_2) | instskip(SKIP_1) | instid1(VALU_DEP_1)
	v_cmp_lt_u64_e32 vcc_lo, 0xffffff, v[20:21]
	v_add_nc_u32_e32 v16, 15, v28
	v_cndmask_b32_e32 v18, v19, v16, vcc_lo
	v_cndmask_b32_e64 v16, 0, 1, vcc_lo
	s_delay_alu instid0(VALU_DEP_1)
	v_lshrrev_b64 v[16:17], v16, v[20:21]
; %bb.384:                              ;   in Loop: Header=BB6_357 Depth=4
	s_and_not1_saveexec_b32 s13, s13
; %bb.385:                              ;   in Loop: Header=BB6_357 Depth=4
	v_mov_b64_e32 v[16:17], v[20:21]
	v_bfe_u32 v18, v20, 23, 1
; %bb.386:                              ;   in Loop: Header=BB6_357 Depth=4
	s_or_b32 exec_lo, exec_lo, s13
	s_delay_alu instid0(VALU_DEP_2) | instskip(NEXT) | instid1(VALU_DEP_2)
	v_lshrrev_b64 v[16:17], 21, v[16:17]
	v_cmp_gt_i32_e32 vcc_lo, 32, v18
	v_min_i32_e32 v19, 31, v18
	v_cmp_eq_u32_e64 s13, 0, v18
	s_delay_alu instid0(VALU_DEP_2) | instskip(SKIP_1) | instid1(VALU_DEP_2)
	v_dual_cndmask_b32 v17, 0, v17, vcc_lo :: v_dual_lshlrev_b32 v19, 2, v19
	v_cndmask_b32_e32 v16, 3, v16, vcc_lo
	v_and_b32_e32 v19, 0xfc, v19
	s_delay_alu instid0(VALU_DEP_2) | instskip(NEXT) | instid1(VALU_DEP_2)
	v_cmp_eq_u64_e32 vcc_lo, 0, v[16:17]
	v_and_or_b32 v16, v16, 3, v19
	s_and_b32 s13, s13, vcc_lo
	s_delay_alu instid0(VALU_DEP_1) | instid1(SALU_CYCLE_1)
	v_cndmask_b32_e64 v16, v16, 0, s13
	s_delay_alu instid0(VALU_DEP_1)
	v_or_b32_e32 v28, v16, v29
.LBB6_387:                              ;   in Loop: Header=BB6_357 Depth=4
	s_or_b32 exec_lo, exec_lo, s73
                                        ; implicit-def: $vgpr29
.LBB6_388:                              ;   in Loop: Header=BB6_357 Depth=4
	s_and_not1_saveexec_b32 s13, s72
; %bb.389:                              ;   in Loop: Header=BB6_357 Depth=4
	v_or_b32_e32 v28, 0x7b, v29
; %bb.390:                              ;   in Loop: Header=BB6_357 Depth=4
	s_or_b32 exec_lo, exec_lo, s13
                                        ; implicit-def: $vgpr16
                                        ; implicit-def: $vgpr17
.LBB6_391:                              ;   in Loop: Header=BB6_357 Depth=4
	s_and_not1_saveexec_b32 s13, s63
	s_cbranch_execz .LBB6_397
; %bb.392:                              ;   in Loop: Header=BB6_357 Depth=4
	s_mov_b32 s63, exec_lo
                                        ; implicit-def: $vgpr28
	v_cmpx_ne_u64_e32 0, v[20:21]
	s_xor_b32 s63, exec_lo, s63
; %bb.393:                              ;   in Loop: Header=BB6_357 Depth=4
	v_or_b32_e32 v28, 0x7f, v17
                                        ; implicit-def: $vgpr16
; %bb.394:                              ;   in Loop: Header=BB6_357 Depth=4
	s_and_not1_saveexec_b32 s63, s63
; %bb.395:                              ;   in Loop: Header=BB6_357 Depth=4
	v_cmp_lt_i32_e32 vcc_lo, -1, v16
	v_mov_b32_e32 v16, 0x7c
	s_delay_alu instid0(VALU_DEP_1)
	v_cndmask_b32_e32 v28, 0xfc, v16, vcc_lo
; %bb.396:                              ;   in Loop: Header=BB6_357 Depth=4
	s_or_b32 exec_lo, exec_lo, s63
.LBB6_397:                              ;   in Loop: Header=BB6_357 Depth=4
	s_delay_alu instid0(SALU_CYCLE_1) | instskip(SKIP_3) | instid1(VALU_DEP_2)
	s_or_b32 exec_lo, exec_lo, s13
	v_lshrrev_b16 v16, 8, v48
	v_dual_mov_b32 v18, 0 :: v_dual_mov_b32 v19, 0
	s_mov_b32 s13, exec_lo
	v_cmpx_ne_u16_e32 0, v16
	s_cbranch_execz .LBB6_407
; %bb.398:                              ;   in Loop: Header=BB6_357 Depth=4
	v_bfrev_b32_e32 v19, 1
	s_mov_b32 s63, exec_lo
	v_cmpx_ne_u16_e32 0x80, v16
	s_cbranch_execz .LBB6_406
; %bb.399:                              ;   in Loop: Header=BB6_357 Depth=4
	v_and_b32_e32 v20, 0xffff, v16
	s_delay_alu instid0(VALU_DEP_1) | instskip(SKIP_1) | instid1(VALU_DEP_2)
	v_and_b32_e32 v19, 0x7c, v20
	v_and_b32_e32 v17, 3, v20
	v_cmp_ne_u32_e32 vcc_lo, 0x7c, v19
                                        ; implicit-def: $vgpr19
	s_and_saveexec_b32 s72, vcc_lo
	s_delay_alu instid0(SALU_CYCLE_1)
	s_xor_b32 s72, exec_lo, s72
	s_cbranch_execz .LBB6_403
; %bb.400:                              ;   in Loop: Header=BB6_357 Depth=4
	v_bfe_u32 v19, v20, 2, 5
	s_mov_b32 s73, exec_lo
	s_delay_alu instid0(VALU_DEP_1)
	v_cmpx_eq_u32_e32 0, v19
	s_cbranch_execz .LBB6_402
; %bb.401:                              ;   in Loop: Header=BB6_357 Depth=4
	v_clz_i32_u32_e32 v17, v17
	s_delay_alu instid0(VALU_DEP_1) | instskip(SKIP_1) | instid1(VALU_DEP_2)
	v_min_u32_e32 v19, 32, v17
	v_mov_b32_e32 v17, v21
	v_subrev_nc_u32_e32 v20, 29, v19
	v_sub_nc_u32_e32 v19, 30, v19
	s_delay_alu instid0(VALU_DEP_2) | instskip(NEXT) | instid1(VALU_DEP_1)
	v_lshlrev_b64_e32 v[16:17], v20, v[16:17]
	v_and_b32_e32 v17, 3, v16
.LBB6_402:                              ;   in Loop: Header=BB6_357 Depth=4
	s_or_b32 exec_lo, exec_lo, s73
	v_lshlrev_b32_e32 v16, 16, v48
	s_delay_alu instid0(VALU_DEP_1) | instskip(NEXT) | instid1(VALU_DEP_1)
	v_and_b32_e32 v16, 0x80000000, v16
	v_lshl_add_u32 v16, v19, 23, v16
	s_delay_alu instid0(VALU_DEP_1) | instskip(NEXT) | instid1(VALU_DEP_1)
	v_lshl_or_b32 v16, v17, 21, v16
                                        ; implicit-def: $vgpr17
	v_add_nc_u32_e32 v19, 0x38000000, v16
.LBB6_403:                              ;   in Loop: Header=BB6_357 Depth=4
	s_and_not1_saveexec_b32 s72, s72
; %bb.404:                              ;   in Loop: Header=BB6_357 Depth=4
	v_cmp_lt_i16_e32 vcc_lo, -1, v48
	v_mov_b32_e32 v16, 0x7f800000
	s_delay_alu instid0(VALU_DEP_1) | instskip(SKIP_1) | instid1(VALU_DEP_2)
	v_cndmask_b32_e32 v16, 0xff800000, v16, vcc_lo
	v_cmp_eq_u32_e32 vcc_lo, 0, v17
	v_cndmask_b32_e32 v19, 0x7f800001, v16, vcc_lo
; %bb.405:                              ;   in Loop: Header=BB6_357 Depth=4
	s_or_b32 exec_lo, exec_lo, s72
.LBB6_406:                              ;   in Loop: Header=BB6_357 Depth=4
	s_delay_alu instid0(SALU_CYCLE_1)
	s_or_b32 exec_lo, exec_lo, s63
.LBB6_407:                              ;   in Loop: Header=BB6_357 Depth=4
	s_delay_alu instid0(SALU_CYCLE_1) | instskip(SKIP_2) | instid1(VALU_DEP_1)
	s_or_b32 exec_lo, exec_lo, s13
	v_lshrrev_b16 v16, 8, v36
	s_mov_b32 s13, exec_lo
	v_cmpx_ne_u16_e32 0, v16
	s_cbranch_execz .LBB6_417
; %bb.408:                              ;   in Loop: Header=BB6_357 Depth=4
	v_bfrev_b32_e32 v18, 1
	s_mov_b32 s63, exec_lo
	v_cmpx_ne_u16_e32 0x80, v16
	s_cbranch_execz .LBB6_416
; %bb.409:                              ;   in Loop: Header=BB6_357 Depth=4
	v_and_b32_e32 v20, 0xffff, v16
	s_delay_alu instid0(VALU_DEP_1) | instskip(SKIP_1) | instid1(VALU_DEP_2)
	v_and_b32_e32 v18, 0x7c, v20
	v_and_b32_e32 v17, 3, v20
	v_cmp_ne_u32_e32 vcc_lo, 0x7c, v18
                                        ; implicit-def: $vgpr18
	s_and_saveexec_b32 s72, vcc_lo
	s_delay_alu instid0(SALU_CYCLE_1)
	s_xor_b32 s72, exec_lo, s72
	s_cbranch_execz .LBB6_413
; %bb.410:                              ;   in Loop: Header=BB6_357 Depth=4
	v_bfe_u32 v18, v20, 2, 5
	s_mov_b32 s73, exec_lo
	s_delay_alu instid0(VALU_DEP_1)
	v_cmpx_eq_u32_e32 0, v18
	s_cbranch_execz .LBB6_412
; %bb.411:                              ;   in Loop: Header=BB6_357 Depth=4
	v_clz_i32_u32_e32 v17, v17
	s_delay_alu instid0(VALU_DEP_1) | instskip(SKIP_1) | instid1(VALU_DEP_2)
	v_min_u32_e32 v18, 32, v17
	v_mov_b32_e32 v17, v21
	v_subrev_nc_u32_e32 v20, 29, v18
	v_sub_nc_u32_e32 v18, 30, v18
	s_delay_alu instid0(VALU_DEP_2) | instskip(NEXT) | instid1(VALU_DEP_1)
	v_lshlrev_b64_e32 v[16:17], v20, v[16:17]
	v_and_b32_e32 v17, 3, v16
.LBB6_412:                              ;   in Loop: Header=BB6_357 Depth=4
	s_or_b32 exec_lo, exec_lo, s73
	v_lshlrev_b32_e32 v16, 16, v36
	s_delay_alu instid0(VALU_DEP_1) | instskip(NEXT) | instid1(VALU_DEP_1)
	v_and_b32_e32 v16, 0x80000000, v16
	v_lshl_add_u32 v16, v18, 23, v16
	s_delay_alu instid0(VALU_DEP_1) | instskip(NEXT) | instid1(VALU_DEP_1)
	v_lshl_or_b32 v16, v17, 21, v16
                                        ; implicit-def: $vgpr17
	v_add_nc_u32_e32 v18, 0x38000000, v16
.LBB6_413:                              ;   in Loop: Header=BB6_357 Depth=4
	s_and_not1_saveexec_b32 s72, s72
; %bb.414:                              ;   in Loop: Header=BB6_357 Depth=4
	v_cmp_lt_i16_e32 vcc_lo, -1, v36
	v_mov_b32_e32 v16, 0x7f800000
	s_delay_alu instid0(VALU_DEP_1) | instskip(SKIP_1) | instid1(VALU_DEP_2)
	v_cndmask_b32_e32 v16, 0xff800000, v16, vcc_lo
	v_cmp_eq_u32_e32 vcc_lo, 0, v17
	v_cndmask_b32_e32 v18, 0x7f800001, v16, vcc_lo
; %bb.415:                              ;   in Loop: Header=BB6_357 Depth=4
	s_or_b32 exec_lo, exec_lo, s72
.LBB6_416:                              ;   in Loop: Header=BB6_357 Depth=4
	s_delay_alu instid0(SALU_CYCLE_1)
	s_or_b32 exec_lo, exec_lo, s63
.LBB6_417:                              ;   in Loop: Header=BB6_357 Depth=4
	s_delay_alu instid0(SALU_CYCLE_1) | instskip(NEXT) | instid1(VALU_DEP_1)
	s_or_b32 exec_lo, exec_lo, s13
	v_dual_mul_f32 v16, v19, v18 :: v_dual_mov_b32 v19, v21
                                        ; implicit-def: $vgpr29
	s_mov_b32 s13, exec_lo
	s_delay_alu instid0(VALU_DEP_1) | instskip(SKIP_2) | instid1(VALU_DEP_3)
	v_and_b32_e32 v18, 0x7f800000, v16
	v_and_b32_e32 v20, 0x7fffff, v16
	v_lshrrev_b32_e32 v17, 24, v16
	v_cmpx_ne_u64_e32 0x7f800000, v[18:19]
	s_xor_b32 s63, exec_lo, s13
	s_cbranch_execz .LBB6_431
; %bb.418:                              ;   in Loop: Header=BB6_357 Depth=4
	v_and_b32_e32 v18, 0x7fffffff, v16
	v_mov_b32_e32 v19, v21
	v_and_b32_e32 v30, 0x80, v17
                                        ; implicit-def: $vgpr29
	s_mov_b32 s13, exec_lo
	s_delay_alu instid0(VALU_DEP_2)
	v_cmpx_gt_u64_e32 0x47600001, v[18:19]
	s_xor_b32 s72, exec_lo, s13
	s_cbranch_execz .LBB6_428
; %bb.419:                              ;   in Loop: Header=BB6_357 Depth=4
	v_mov_b32_e32 v29, 0
	s_mov_b32 s73, exec_lo
	v_cmpx_ne_u32_e32 0, v16
	s_cbranch_execz .LBB6_427
; %bb.420:                              ;   in Loop: Header=BB6_357 Depth=4
	v_bfe_u32 v29, v16, 23, 8
	v_or_b32_e32 v17, 0x800000, v20
	s_delay_alu instid0(VALU_DEP_2) | instskip(SKIP_2) | instid1(VALU_DEP_2)
	v_cmp_gt_u32_e64 s13, 0x72, v29
	v_sub_nc_u32_e32 v16, 0x71, v29
	v_cmp_eq_u32_e32 vcc_lo, 0, v29
	v_cndmask_b32_e64 v16, 0, v16, s13
	s_delay_alu instid0(VALU_DEP_1) | instskip(SKIP_1) | instid1(VALU_DEP_2)
	v_cndmask_b32_e64 v31, v16, 0x70, vcc_lo
	v_cndmask_b32_e32 v16, v17, v20, vcc_lo
	v_dual_mov_b32 v17, v21 :: v_dual_add_nc_u32 v18, 21, v31
	v_add_nc_u32_e32 v20, 20, v31
	s_delay_alu instid0(VALU_DEP_2) | instskip(NEXT) | instid1(VALU_DEP_2)
	v_lshlrev_b64_e64 v[18:19], v18, -1
	v_lshlrev_b64_e64 v[52:53], v20, 1
	s_delay_alu instid0(VALU_DEP_2) | instskip(SKIP_1) | instid1(VALU_DEP_4)
	v_bfi_b32 v18, v18, 0, v16
	v_lshrrev_b64 v[16:17], v31, v[16:17]
	v_bfi_b32 v19, v19, 0, 0
	s_delay_alu instid0(VALU_DEP_1) | instskip(NEXT) | instid1(VALU_DEP_3)
	v_cmp_eq_u64_e64 s13, v[18:19], v[52:53]
	v_mov_b64_e32 v[18:19], v[16:17]
	s_and_saveexec_b32 s74, s13
; %bb.421:                              ;   in Loop: Header=BB6_357 Depth=4
	v_bfe_u32 v18, v16, 21, 1
	v_mov_b32_e32 v19, v21
	s_delay_alu instid0(VALU_DEP_1) | instskip(NEXT) | instid1(VALU_DEP_1)
	v_add_nc_u64_e32 v[18:19], v[16:17], v[18:19]
	v_add_nc_u64_e32 v[18:19], -1, v[18:19]
; %bb.422:                              ;   in Loop: Header=BB6_357 Depth=4
	s_or_b32 exec_lo, exec_lo, s74
	v_add_nc_u32_e32 v17, 0xffffff81, v29
	v_lshrrev_b32_e32 v19, 23, v16
	s_mov_b32 s13, exec_lo
	s_delay_alu instid0(VALU_DEP_2) | instskip(NEXT) | instid1(VALU_DEP_1)
	v_cndmask_b32_e64 v17, v17, 0xffffff82, vcc_lo
	v_add3_u32 v29, v31, v17, v19
	v_and_b32_e32 v17, 0x1fffff, v18
                                        ; implicit-def: $vgpr18
	s_delay_alu instid0(VALU_DEP_1) | instskip(NEXT) | instid1(VALU_DEP_1)
	v_dual_add_nc_u32 v19, 14, v29 :: v_dual_add_nc_u32 v20, v17, v16
                                        ; implicit-def: $vgpr16_vgpr17
	v_cmpx_ne_u32_e32 0, v19
	s_xor_b32 s13, exec_lo, s13
; %bb.423:                              ;   in Loop: Header=BB6_357 Depth=4
	s_delay_alu instid0(VALU_DEP_2) | instskip(SKIP_1) | instid1(VALU_DEP_1)
	v_cmp_lt_u64_e32 vcc_lo, 0xffffff, v[20:21]
	v_add_nc_u32_e32 v16, 15, v29
	v_cndmask_b32_e32 v18, v19, v16, vcc_lo
	v_cndmask_b32_e64 v16, 0, 1, vcc_lo
	s_delay_alu instid0(VALU_DEP_1)
	v_lshrrev_b64 v[16:17], v16, v[20:21]
; %bb.424:                              ;   in Loop: Header=BB6_357 Depth=4
	s_and_not1_saveexec_b32 s13, s13
; %bb.425:                              ;   in Loop: Header=BB6_357 Depth=4
	v_mov_b64_e32 v[16:17], v[20:21]
	v_bfe_u32 v18, v20, 23, 1
; %bb.426:                              ;   in Loop: Header=BB6_357 Depth=4
	s_or_b32 exec_lo, exec_lo, s13
	s_delay_alu instid0(VALU_DEP_2) | instskip(NEXT) | instid1(VALU_DEP_2)
	v_lshrrev_b64 v[16:17], 21, v[16:17]
	v_cmp_gt_i32_e32 vcc_lo, 32, v18
	v_min_i32_e32 v19, 31, v18
	v_cmp_eq_u32_e64 s13, 0, v18
	s_delay_alu instid0(VALU_DEP_2) | instskip(SKIP_1) | instid1(VALU_DEP_2)
	v_dual_cndmask_b32 v17, 0, v17, vcc_lo :: v_dual_lshlrev_b32 v19, 2, v19
	v_cndmask_b32_e32 v16, 3, v16, vcc_lo
	v_and_b32_e32 v19, 0xfc, v19
	s_delay_alu instid0(VALU_DEP_2) | instskip(NEXT) | instid1(VALU_DEP_2)
	v_cmp_eq_u64_e32 vcc_lo, 0, v[16:17]
	v_and_or_b32 v16, v16, 3, v19
	s_and_b32 s13, s13, vcc_lo
	s_delay_alu instid0(VALU_DEP_1) | instid1(SALU_CYCLE_1)
	v_cndmask_b32_e64 v16, v16, 0, s13
	s_delay_alu instid0(VALU_DEP_1)
	v_or_b32_e32 v29, v16, v30
.LBB6_427:                              ;   in Loop: Header=BB6_357 Depth=4
	s_or_b32 exec_lo, exec_lo, s73
                                        ; implicit-def: $vgpr30
.LBB6_428:                              ;   in Loop: Header=BB6_357 Depth=4
	s_and_not1_saveexec_b32 s13, s72
; %bb.429:                              ;   in Loop: Header=BB6_357 Depth=4
	v_or_b32_e32 v29, 0x7b, v30
; %bb.430:                              ;   in Loop: Header=BB6_357 Depth=4
	s_or_b32 exec_lo, exec_lo, s13
                                        ; implicit-def: $vgpr16
                                        ; implicit-def: $vgpr17
.LBB6_431:                              ;   in Loop: Header=BB6_357 Depth=4
	s_and_not1_saveexec_b32 s13, s63
	s_cbranch_execz .LBB6_437
; %bb.432:                              ;   in Loop: Header=BB6_357 Depth=4
	s_mov_b32 s63, exec_lo
                                        ; implicit-def: $vgpr29
	v_cmpx_ne_u64_e32 0, v[20:21]
	s_xor_b32 s63, exec_lo, s63
; %bb.433:                              ;   in Loop: Header=BB6_357 Depth=4
	v_or_b32_e32 v29, 0x7f, v17
                                        ; implicit-def: $vgpr16
; %bb.434:                              ;   in Loop: Header=BB6_357 Depth=4
	s_and_not1_saveexec_b32 s63, s63
; %bb.435:                              ;   in Loop: Header=BB6_357 Depth=4
	v_cmp_lt_i32_e32 vcc_lo, -1, v16
	v_mov_b32_e32 v16, 0x7c
	s_delay_alu instid0(VALU_DEP_1)
	v_cndmask_b32_e32 v29, 0xfc, v16, vcc_lo
; %bb.436:                              ;   in Loop: Header=BB6_357 Depth=4
	s_or_b32 exec_lo, exec_lo, s63
.LBB6_437:                              ;   in Loop: Header=BB6_357 Depth=4
	s_delay_alu instid0(SALU_CYCLE_1) | instskip(SKIP_3) | instid1(VALU_DEP_2)
	s_or_b32 exec_lo, exec_lo, s13
	v_dual_mov_b32 v17, 0 :: v_dual_lshrrev_b32 v16, 16, v48
	v_mov_b32_e32 v18, 0
	s_mov_b32 s63, exec_lo
	v_and_b32_e32 v19, 0xff, v16
	s_delay_alu instid0(VALU_DEP_1)
	v_cmpx_ne_u16_e32 0, v19
	s_cbranch_execz .LBB6_447
; %bb.438:                              ;   in Loop: Header=BB6_357 Depth=4
	v_bfrev_b32_e32 v18, 1
	s_mov_b32 s72, exec_lo
	v_cmpx_ne_u16_e32 0x80, v19
	s_cbranch_execz .LBB6_446
; %bb.439:                              ;   in Loop: Header=BB6_357 Depth=4
	v_and_b32_e32 v18, 0x7c0000, v48
	v_bfe_u32 v19, v48, 16, 2
	s_delay_alu instid0(VALU_DEP_2) | instskip(SKIP_1) | instid1(SALU_CYCLE_1)
	v_cmp_ne_u32_e32 vcc_lo, 0x7c0000, v18
                                        ; implicit-def: $vgpr18
	s_and_saveexec_b32 s13, vcc_lo
	s_xor_b32 s13, exec_lo, s13
	s_cbranch_execz .LBB6_443
; %bb.440:                              ;   in Loop: Header=BB6_357 Depth=4
	v_bfe_u32 v18, v48, 18, 5
	s_mov_b32 s73, exec_lo
	s_delay_alu instid0(VALU_DEP_1)
	v_cmpx_eq_u32_e32 0, v18
; %bb.441:                              ;   in Loop: Header=BB6_357 Depth=4
	v_clz_i32_u32_e32 v18, v19
	s_delay_alu instid0(VALU_DEP_1) | instskip(NEXT) | instid1(VALU_DEP_1)
	v_min_u32_e32 v18, 32, v18
	v_subrev_nc_u32_e32 v19, 29, v18
	v_sub_nc_u32_e32 v18, 30, v18
	s_delay_alu instid0(VALU_DEP_2) | instskip(NEXT) | instid1(VALU_DEP_1)
	v_lshlrev_b64_e32 v[30:31], v19, v[16:17]
	v_and_b32_e32 v19, 3, v30
; %bb.442:                              ;   in Loop: Header=BB6_357 Depth=4
	s_or_b32 exec_lo, exec_lo, s73
	v_lshlrev_b32_e32 v16, 24, v16
	s_delay_alu instid0(VALU_DEP_1) | instskip(NEXT) | instid1(VALU_DEP_1)
	v_and_b32_e32 v16, 0x80000000, v16
	v_lshl_add_u32 v16, v18, 23, v16
	s_delay_alu instid0(VALU_DEP_1) | instskip(NEXT) | instid1(VALU_DEP_1)
	v_lshl_or_b32 v16, v19, 21, v16
                                        ; implicit-def: $vgpr19
	v_add_nc_u32_e32 v18, 0x38000000, v16
                                        ; implicit-def: $vgpr16
.LBB6_443:                              ;   in Loop: Header=BB6_357 Depth=4
	s_and_not1_saveexec_b32 s73, s13
; %bb.444:                              ;   in Loop: Header=BB6_357 Depth=4
	v_bfe_i32 v16, v16, 0, 8
	v_cmp_eq_u32_e32 vcc_lo, 0, v19
	s_delay_alu instid0(VALU_DEP_2) | instskip(SKIP_1) | instid1(VALU_DEP_1)
	v_cmp_lt_i16_e64 s13, -1, v16
	v_mov_b32_e32 v16, 0x7f800000
	v_cndmask_b32_e64 v16, 0xff800000, v16, s13
	s_delay_alu instid0(VALU_DEP_1)
	v_cndmask_b32_e32 v18, 0x7f800001, v16, vcc_lo
; %bb.445:                              ;   in Loop: Header=BB6_357 Depth=4
	s_or_b32 exec_lo, exec_lo, s73
.LBB6_446:                              ;   in Loop: Header=BB6_357 Depth=4
	s_delay_alu instid0(SALU_CYCLE_1)
	s_or_b32 exec_lo, exec_lo, s72
.LBB6_447:                              ;   in Loop: Header=BB6_357 Depth=4
	s_delay_alu instid0(SALU_CYCLE_1) | instskip(SKIP_2) | instid1(VALU_DEP_1)
	s_or_b32 exec_lo, exec_lo, s63
	v_lshrrev_b32_e32 v16, 16, v36
	s_mov_b32 s63, exec_lo
	v_and_b32_e32 v19, 0xff, v16
	s_delay_alu instid0(VALU_DEP_1)
	v_cmpx_ne_u16_e32 0, v19
	s_cbranch_execz .LBB6_457
; %bb.448:                              ;   in Loop: Header=BB6_357 Depth=4
	v_bfrev_b32_e32 v17, 1
	s_mov_b32 s72, exec_lo
	v_cmpx_ne_u16_e32 0x80, v19
	s_cbranch_execz .LBB6_456
; %bb.449:                              ;   in Loop: Header=BB6_357 Depth=4
	v_and_b32_e32 v17, 0x7c0000, v36
	v_bfe_u32 v19, v36, 16, 2
	s_delay_alu instid0(VALU_DEP_2) | instskip(SKIP_1) | instid1(SALU_CYCLE_1)
	v_cmp_ne_u32_e32 vcc_lo, 0x7c0000, v17
                                        ; implicit-def: $vgpr17
	s_and_saveexec_b32 s13, vcc_lo
	s_xor_b32 s13, exec_lo, s13
	s_cbranch_execz .LBB6_453
; %bb.450:                              ;   in Loop: Header=BB6_357 Depth=4
	v_bfe_u32 v17, v36, 18, 5
	s_mov_b32 s73, exec_lo
	s_delay_alu instid0(VALU_DEP_1)
	v_cmpx_eq_u32_e32 0, v17
; %bb.451:                              ;   in Loop: Header=BB6_357 Depth=4
	v_clz_i32_u32_e32 v17, v19
	s_delay_alu instid0(VALU_DEP_1) | instskip(NEXT) | instid1(VALU_DEP_1)
	v_min_u32_e32 v17, 32, v17
	v_subrev_nc_u32_e32 v19, 29, v17
	s_delay_alu instid0(VALU_DEP_1) | instskip(NEXT) | instid1(VALU_DEP_1)
	v_lshlrev_b64_e32 v[30:31], v19, v[16:17]
	v_dual_sub_nc_u32 v17, 30, v17 :: v_dual_bitop2_b32 v19, 3, v30 bitop3:0x40
; %bb.452:                              ;   in Loop: Header=BB6_357 Depth=4
	s_or_b32 exec_lo, exec_lo, s73
	v_lshlrev_b32_e32 v16, 24, v16
	s_delay_alu instid0(VALU_DEP_1) | instskip(NEXT) | instid1(VALU_DEP_1)
	v_and_b32_e32 v16, 0x80000000, v16
	v_lshl_add_u32 v16, v17, 23, v16
	s_delay_alu instid0(VALU_DEP_1) | instskip(NEXT) | instid1(VALU_DEP_1)
	v_lshl_or_b32 v16, v19, 21, v16
                                        ; implicit-def: $vgpr19
	v_add_nc_u32_e32 v17, 0x38000000, v16
                                        ; implicit-def: $vgpr16
.LBB6_453:                              ;   in Loop: Header=BB6_357 Depth=4
	s_and_not1_saveexec_b32 s73, s13
; %bb.454:                              ;   in Loop: Header=BB6_357 Depth=4
	v_bfe_i32 v16, v16, 0, 8
	v_cmp_eq_u32_e32 vcc_lo, 0, v19
	s_delay_alu instid0(VALU_DEP_2) | instskip(SKIP_1) | instid1(VALU_DEP_1)
	v_cmp_lt_i16_e64 s13, -1, v16
	v_mov_b32_e32 v16, 0x7f800000
	v_cndmask_b32_e64 v16, 0xff800000, v16, s13
	s_delay_alu instid0(VALU_DEP_1)
	v_cndmask_b32_e32 v17, 0x7f800001, v16, vcc_lo
; %bb.455:                              ;   in Loop: Header=BB6_357 Depth=4
	s_or_b32 exec_lo, exec_lo, s73
.LBB6_456:                              ;   in Loop: Header=BB6_357 Depth=4
	s_delay_alu instid0(SALU_CYCLE_1)
	s_or_b32 exec_lo, exec_lo, s72
.LBB6_457:                              ;   in Loop: Header=BB6_357 Depth=4
	s_delay_alu instid0(SALU_CYCLE_1) | instskip(NEXT) | instid1(VALU_DEP_1)
	s_or_b32 exec_lo, exec_lo, s63
	v_dual_mul_f32 v16, v18, v17 :: v_dual_mov_b32 v19, v21
                                        ; implicit-def: $vgpr30
	s_mov_b32 s13, exec_lo
	s_delay_alu instid0(VALU_DEP_1) | instskip(SKIP_2) | instid1(VALU_DEP_3)
	v_and_b32_e32 v18, 0x7f800000, v16
	v_and_b32_e32 v20, 0x7fffff, v16
	v_lshrrev_b32_e32 v17, 24, v16
	v_cmpx_ne_u64_e32 0x7f800000, v[18:19]
	s_xor_b32 s63, exec_lo, s13
	s_cbranch_execz .LBB6_471
; %bb.458:                              ;   in Loop: Header=BB6_357 Depth=4
	v_and_b32_e32 v18, 0x7fffffff, v16
	v_mov_b32_e32 v19, v21
	v_and_b32_e32 v31, 0x80, v17
                                        ; implicit-def: $vgpr30
	s_mov_b32 s13, exec_lo
	s_delay_alu instid0(VALU_DEP_2)
	v_cmpx_gt_u64_e32 0x47600001, v[18:19]
	s_xor_b32 s72, exec_lo, s13
	s_cbranch_execz .LBB6_468
; %bb.459:                              ;   in Loop: Header=BB6_357 Depth=4
	v_mov_b32_e32 v30, 0
	s_mov_b32 s73, exec_lo
	v_cmpx_ne_u32_e32 0, v16
	s_cbranch_execz .LBB6_467
; %bb.460:                              ;   in Loop: Header=BB6_357 Depth=4
	v_bfe_u32 v30, v16, 23, 8
	v_or_b32_e32 v17, 0x800000, v20
	s_delay_alu instid0(VALU_DEP_2) | instskip(SKIP_2) | instid1(VALU_DEP_2)
	v_cmp_gt_u32_e64 s13, 0x72, v30
	v_sub_nc_u32_e32 v16, 0x71, v30
	v_cmp_eq_u32_e32 vcc_lo, 0, v30
	v_cndmask_b32_e64 v16, 0, v16, s13
	s_delay_alu instid0(VALU_DEP_1) | instskip(SKIP_1) | instid1(VALU_DEP_2)
	v_cndmask_b32_e64 v52, v16, 0x70, vcc_lo
	v_cndmask_b32_e32 v16, v17, v20, vcc_lo
	v_dual_mov_b32 v17, v21 :: v_dual_add_nc_u32 v18, 21, v52
	v_add_nc_u32_e32 v20, 20, v52
	s_delay_alu instid0(VALU_DEP_2) | instskip(NEXT) | instid1(VALU_DEP_2)
	v_lshlrev_b64_e64 v[18:19], v18, -1
	v_lshlrev_b64_e64 v[54:55], v20, 1
	s_delay_alu instid0(VALU_DEP_2) | instskip(SKIP_1) | instid1(VALU_DEP_4)
	v_bfi_b32 v18, v18, 0, v16
	v_lshrrev_b64 v[16:17], v52, v[16:17]
	v_bfi_b32 v19, v19, 0, 0
	s_delay_alu instid0(VALU_DEP_1) | instskip(NEXT) | instid1(VALU_DEP_3)
	v_cmp_eq_u64_e64 s13, v[18:19], v[54:55]
	v_mov_b64_e32 v[18:19], v[16:17]
	s_and_saveexec_b32 s74, s13
; %bb.461:                              ;   in Loop: Header=BB6_357 Depth=4
	v_bfe_u32 v18, v16, 21, 1
	v_mov_b32_e32 v19, v21
	s_delay_alu instid0(VALU_DEP_1) | instskip(NEXT) | instid1(VALU_DEP_1)
	v_add_nc_u64_e32 v[18:19], v[16:17], v[18:19]
	v_add_nc_u64_e32 v[18:19], -1, v[18:19]
; %bb.462:                              ;   in Loop: Header=BB6_357 Depth=4
	s_or_b32 exec_lo, exec_lo, s74
	v_add_nc_u32_e32 v17, 0xffffff81, v30
	v_lshrrev_b32_e32 v19, 23, v16
	s_mov_b32 s13, exec_lo
	s_delay_alu instid0(VALU_DEP_2) | instskip(NEXT) | instid1(VALU_DEP_1)
	v_cndmask_b32_e64 v17, v17, 0xffffff82, vcc_lo
	v_add3_u32 v30, v52, v17, v19
	v_and_b32_e32 v17, 0x1fffff, v18
                                        ; implicit-def: $vgpr18
	s_delay_alu instid0(VALU_DEP_1) | instskip(NEXT) | instid1(VALU_DEP_1)
	v_dual_add_nc_u32 v19, 14, v30 :: v_dual_add_nc_u32 v20, v17, v16
                                        ; implicit-def: $vgpr16_vgpr17
	v_cmpx_ne_u32_e32 0, v19
	s_xor_b32 s13, exec_lo, s13
; %bb.463:                              ;   in Loop: Header=BB6_357 Depth=4
	s_delay_alu instid0(VALU_DEP_2) | instskip(SKIP_1) | instid1(VALU_DEP_1)
	v_cmp_lt_u64_e32 vcc_lo, 0xffffff, v[20:21]
	v_add_nc_u32_e32 v16, 15, v30
	v_cndmask_b32_e32 v18, v19, v16, vcc_lo
	v_cndmask_b32_e64 v16, 0, 1, vcc_lo
	s_delay_alu instid0(VALU_DEP_1)
	v_lshrrev_b64 v[16:17], v16, v[20:21]
; %bb.464:                              ;   in Loop: Header=BB6_357 Depth=4
	s_and_not1_saveexec_b32 s13, s13
; %bb.465:                              ;   in Loop: Header=BB6_357 Depth=4
	v_mov_b64_e32 v[16:17], v[20:21]
	v_bfe_u32 v18, v20, 23, 1
; %bb.466:                              ;   in Loop: Header=BB6_357 Depth=4
	s_or_b32 exec_lo, exec_lo, s13
	s_delay_alu instid0(VALU_DEP_2) | instskip(NEXT) | instid1(VALU_DEP_2)
	v_lshrrev_b64 v[16:17], 21, v[16:17]
	v_cmp_gt_i32_e32 vcc_lo, 32, v18
	v_min_i32_e32 v19, 31, v18
	v_cmp_eq_u32_e64 s13, 0, v18
	s_delay_alu instid0(VALU_DEP_2) | instskip(SKIP_1) | instid1(VALU_DEP_2)
	v_dual_cndmask_b32 v17, 0, v17, vcc_lo :: v_dual_lshlrev_b32 v19, 2, v19
	v_cndmask_b32_e32 v16, 3, v16, vcc_lo
	v_and_b32_e32 v19, 0xfc, v19
	s_delay_alu instid0(VALU_DEP_2) | instskip(NEXT) | instid1(VALU_DEP_2)
	v_cmp_eq_u64_e32 vcc_lo, 0, v[16:17]
	v_and_or_b32 v16, v16, 3, v19
	s_and_b32 s13, s13, vcc_lo
	s_delay_alu instid0(VALU_DEP_1) | instid1(SALU_CYCLE_1)
	v_cndmask_b32_e64 v16, v16, 0, s13
	s_delay_alu instid0(VALU_DEP_1)
	v_or_b32_e32 v30, v16, v31
.LBB6_467:                              ;   in Loop: Header=BB6_357 Depth=4
	s_or_b32 exec_lo, exec_lo, s73
                                        ; implicit-def: $vgpr31
.LBB6_468:                              ;   in Loop: Header=BB6_357 Depth=4
	s_and_not1_saveexec_b32 s13, s72
; %bb.469:                              ;   in Loop: Header=BB6_357 Depth=4
	v_or_b32_e32 v30, 0x7b, v31
; %bb.470:                              ;   in Loop: Header=BB6_357 Depth=4
	s_or_b32 exec_lo, exec_lo, s13
                                        ; implicit-def: $vgpr16
                                        ; implicit-def: $vgpr17
.LBB6_471:                              ;   in Loop: Header=BB6_357 Depth=4
	s_and_not1_saveexec_b32 s13, s63
	s_cbranch_execz .LBB6_477
; %bb.472:                              ;   in Loop: Header=BB6_357 Depth=4
	s_mov_b32 s63, exec_lo
                                        ; implicit-def: $vgpr30
	v_cmpx_ne_u64_e32 0, v[20:21]
	s_xor_b32 s63, exec_lo, s63
; %bb.473:                              ;   in Loop: Header=BB6_357 Depth=4
	v_or_b32_e32 v30, 0x7f, v17
                                        ; implicit-def: $vgpr16
; %bb.474:                              ;   in Loop: Header=BB6_357 Depth=4
	s_and_not1_saveexec_b32 s63, s63
; %bb.475:                              ;   in Loop: Header=BB6_357 Depth=4
	v_cmp_lt_i32_e32 vcc_lo, -1, v16
	v_mov_b32_e32 v16, 0x7c
	s_delay_alu instid0(VALU_DEP_1)
	v_cndmask_b32_e32 v30, 0xfc, v16, vcc_lo
; %bb.476:                              ;   in Loop: Header=BB6_357 Depth=4
	s_or_b32 exec_lo, exec_lo, s63
.LBB6_477:                              ;   in Loop: Header=BB6_357 Depth=4
	s_delay_alu instid0(SALU_CYCLE_1)
	s_or_b32 exec_lo, exec_lo, s13
	v_dual_mov_b32 v17, 0 :: v_dual_mov_b32 v18, 0
	s_mov_b32 s63, exec_lo
	v_cmpx_lt_u32_e32 0xffffff, v48
	s_cbranch_execz .LBB6_487
; %bb.478:                              ;   in Loop: Header=BB6_357 Depth=4
	v_lshrrev_b32_e32 v16, 24, v48
	v_bfrev_b32_e32 v18, 1
	s_mov_b32 s72, exec_lo
	s_delay_alu instid0(VALU_DEP_2)
	v_cmpx_ne_u32_e32 0x80, v16
	s_cbranch_execz .LBB6_486
; %bb.479:                              ;   in Loop: Header=BB6_357 Depth=4
	v_and_b32_e32 v18, 0x7c000000, v48
	v_bfe_u32 v19, v48, 24, 2
	s_delay_alu instid0(VALU_DEP_2) | instskip(SKIP_1) | instid1(SALU_CYCLE_1)
	v_cmp_ne_u32_e32 vcc_lo, 0x7c000000, v18
                                        ; implicit-def: $vgpr18
	s_and_saveexec_b32 s13, vcc_lo
	s_xor_b32 s13, exec_lo, s13
	s_cbranch_execz .LBB6_483
; %bb.480:                              ;   in Loop: Header=BB6_357 Depth=4
	v_bfe_u32 v18, v48, 26, 5
	s_mov_b32 s73, exec_lo
	s_delay_alu instid0(VALU_DEP_1)
	v_cmpx_eq_u32_e32 0, v18
; %bb.481:                              ;   in Loop: Header=BB6_357 Depth=4
	v_clz_i32_u32_e32 v18, v19
	s_delay_alu instid0(VALU_DEP_1) | instskip(NEXT) | instid1(VALU_DEP_1)
	v_min_u32_e32 v18, 32, v18
	v_subrev_nc_u32_e32 v19, 29, v18
	s_delay_alu instid0(VALU_DEP_1) | instskip(NEXT) | instid1(VALU_DEP_1)
	v_lshlrev_b64_e32 v[52:53], v19, v[16:17]
	v_dual_sub_nc_u32 v18, 30, v18 :: v_dual_bitop2_b32 v19, 3, v52 bitop3:0x40
; %bb.482:                              ;   in Loop: Header=BB6_357 Depth=4
	s_or_b32 exec_lo, exec_lo, s73
	v_and_b32_e32 v16, 0x80000000, v48
	s_delay_alu instid0(VALU_DEP_1) | instskip(NEXT) | instid1(VALU_DEP_1)
	v_lshl_add_u32 v16, v18, 23, v16
	v_lshl_or_b32 v16, v19, 21, v16
                                        ; implicit-def: $vgpr19
	s_delay_alu instid0(VALU_DEP_1)
	v_add_nc_u32_e32 v18, 0x38000000, v16
.LBB6_483:                              ;   in Loop: Header=BB6_357 Depth=4
	s_and_not1_saveexec_b32 s73, s13
; %bb.484:                              ;   in Loop: Header=BB6_357 Depth=4
	v_cmp_lt_i32_e64 s13, -1, v48
	v_mov_b32_e32 v16, 0x7f800000
	v_cmp_eq_u32_e32 vcc_lo, 0, v19
	s_delay_alu instid0(VALU_DEP_2) | instskip(NEXT) | instid1(VALU_DEP_1)
	v_cndmask_b32_e64 v16, 0xff800000, v16, s13
	v_cndmask_b32_e32 v18, 0x7f800001, v16, vcc_lo
; %bb.485:                              ;   in Loop: Header=BB6_357 Depth=4
	s_or_b32 exec_lo, exec_lo, s73
.LBB6_486:                              ;   in Loop: Header=BB6_357 Depth=4
	s_delay_alu instid0(SALU_CYCLE_1)
	s_or_b32 exec_lo, exec_lo, s72
.LBB6_487:                              ;   in Loop: Header=BB6_357 Depth=4
	s_delay_alu instid0(SALU_CYCLE_1) | instskip(NEXT) | instid1(SALU_CYCLE_1)
	s_or_b32 exec_lo, exec_lo, s63
	s_mov_b32 s63, exec_lo
	v_cmpx_lt_u32_e32 0xffffff, v36
	s_cbranch_execz .LBB6_497
; %bb.488:                              ;   in Loop: Header=BB6_357 Depth=4
	v_lshrrev_b32_e32 v16, 24, v36
	v_bfrev_b32_e32 v17, 1
	s_mov_b32 s72, exec_lo
	s_delay_alu instid0(VALU_DEP_2)
	v_cmpx_ne_u32_e32 0x80, v16
	s_cbranch_execz .LBB6_496
; %bb.489:                              ;   in Loop: Header=BB6_357 Depth=4
	v_and_b32_e32 v17, 0x7c000000, v36
	v_bfe_u32 v19, v36, 24, 2
	s_delay_alu instid0(VALU_DEP_2) | instskip(SKIP_1) | instid1(SALU_CYCLE_1)
	v_cmp_ne_u32_e32 vcc_lo, 0x7c000000, v17
                                        ; implicit-def: $vgpr17
	s_and_saveexec_b32 s13, vcc_lo
	s_xor_b32 s13, exec_lo, s13
	s_cbranch_execz .LBB6_493
; %bb.490:                              ;   in Loop: Header=BB6_357 Depth=4
	v_bfe_u32 v17, v36, 26, 5
	s_mov_b32 s73, exec_lo
	s_delay_alu instid0(VALU_DEP_1)
	v_cmpx_eq_u32_e32 0, v17
; %bb.491:                              ;   in Loop: Header=BB6_357 Depth=4
	v_clz_i32_u32_e32 v17, v19
	s_delay_alu instid0(VALU_DEP_1) | instskip(NEXT) | instid1(VALU_DEP_1)
	v_min_u32_e32 v19, 32, v17
	v_subrev_nc_u32_e32 v17, 29, v19
	s_delay_alu instid0(VALU_DEP_1) | instskip(NEXT) | instid1(VALU_DEP_1)
	v_lshlrev_b64_e32 v[16:17], v17, v[16:17]
	v_dual_sub_nc_u32 v17, 30, v19 :: v_dual_bitop2_b32 v19, 3, v16 bitop3:0x40
; %bb.492:                              ;   in Loop: Header=BB6_357 Depth=4
	s_or_b32 exec_lo, exec_lo, s73
	v_and_b32_e32 v16, 0x80000000, v36
	s_delay_alu instid0(VALU_DEP_1) | instskip(NEXT) | instid1(VALU_DEP_1)
	v_lshl_add_u32 v16, v17, 23, v16
	v_lshl_or_b32 v16, v19, 21, v16
                                        ; implicit-def: $vgpr19
	s_delay_alu instid0(VALU_DEP_1)
	v_add_nc_u32_e32 v17, 0x38000000, v16
.LBB6_493:                              ;   in Loop: Header=BB6_357 Depth=4
	s_and_not1_saveexec_b32 s73, s13
; %bb.494:                              ;   in Loop: Header=BB6_357 Depth=4
	v_cmp_lt_i32_e64 s13, -1, v36
	v_mov_b32_e32 v16, 0x7f800000
	v_cmp_eq_u32_e32 vcc_lo, 0, v19
	s_delay_alu instid0(VALU_DEP_2) | instskip(NEXT) | instid1(VALU_DEP_1)
	v_cndmask_b32_e64 v16, 0xff800000, v16, s13
	v_cndmask_b32_e32 v17, 0x7f800001, v16, vcc_lo
; %bb.495:                              ;   in Loop: Header=BB6_357 Depth=4
	s_or_b32 exec_lo, exec_lo, s73
.LBB6_496:                              ;   in Loop: Header=BB6_357 Depth=4
	s_delay_alu instid0(SALU_CYCLE_1)
	s_or_b32 exec_lo, exec_lo, s72
.LBB6_497:                              ;   in Loop: Header=BB6_357 Depth=4
	s_delay_alu instid0(SALU_CYCLE_1) | instskip(NEXT) | instid1(VALU_DEP_1)
	s_or_b32 exec_lo, exec_lo, s63
	v_dual_mul_f32 v16, v18, v17 :: v_dual_mov_b32 v19, v21
                                        ; implicit-def: $vgpr31
	s_mov_b32 s13, exec_lo
	s_delay_alu instid0(VALU_DEP_1) | instskip(SKIP_2) | instid1(VALU_DEP_3)
	v_and_b32_e32 v18, 0x7f800000, v16
	v_and_b32_e32 v20, 0x7fffff, v16
	v_lshrrev_b32_e32 v17, 24, v16
	v_cmpx_ne_u64_e32 0x7f800000, v[18:19]
	s_xor_b32 s63, exec_lo, s13
	s_cbranch_execz .LBB6_511
; %bb.498:                              ;   in Loop: Header=BB6_357 Depth=4
	v_and_b32_e32 v18, 0x7fffffff, v16
	v_mov_b32_e32 v19, v21
	v_and_b32_e32 v52, 0x80, v17
                                        ; implicit-def: $vgpr31
	s_mov_b32 s13, exec_lo
	s_delay_alu instid0(VALU_DEP_2)
	v_cmpx_gt_u64_e32 0x47600001, v[18:19]
	s_xor_b32 s72, exec_lo, s13
	s_cbranch_execz .LBB6_508
; %bb.499:                              ;   in Loop: Header=BB6_357 Depth=4
	v_mov_b32_e32 v31, 0
	s_mov_b32 s73, exec_lo
	v_cmpx_ne_u32_e32 0, v16
	s_cbranch_execz .LBB6_507
; %bb.500:                              ;   in Loop: Header=BB6_357 Depth=4
	v_bfe_u32 v31, v16, 23, 8
	v_or_b32_e32 v17, 0x800000, v20
	s_delay_alu instid0(VALU_DEP_2) | instskip(SKIP_2) | instid1(VALU_DEP_2)
	v_cmp_gt_u32_e64 s13, 0x72, v31
	v_sub_nc_u32_e32 v16, 0x71, v31
	v_cmp_eq_u32_e32 vcc_lo, 0, v31
	v_cndmask_b32_e64 v16, 0, v16, s13
	s_delay_alu instid0(VALU_DEP_1) | instskip(SKIP_1) | instid1(VALU_DEP_2)
	v_cndmask_b32_e64 v53, v16, 0x70, vcc_lo
	v_cndmask_b32_e32 v16, v17, v20, vcc_lo
	v_dual_mov_b32 v17, v21 :: v_dual_add_nc_u32 v18, 21, v53
	v_add_nc_u32_e32 v20, 20, v53
	s_delay_alu instid0(VALU_DEP_2) | instskip(NEXT) | instid1(VALU_DEP_2)
	v_lshlrev_b64_e64 v[18:19], v18, -1
	v_lshlrev_b64_e64 v[54:55], v20, 1
	s_delay_alu instid0(VALU_DEP_2) | instskip(SKIP_1) | instid1(VALU_DEP_4)
	v_bfi_b32 v18, v18, 0, v16
	v_lshrrev_b64 v[16:17], v53, v[16:17]
	v_bfi_b32 v19, v19, 0, 0
	s_delay_alu instid0(VALU_DEP_1) | instskip(NEXT) | instid1(VALU_DEP_3)
	v_cmp_eq_u64_e64 s13, v[18:19], v[54:55]
	v_mov_b64_e32 v[18:19], v[16:17]
	s_and_saveexec_b32 s74, s13
; %bb.501:                              ;   in Loop: Header=BB6_357 Depth=4
	v_bfe_u32 v18, v16, 21, 1
	v_mov_b32_e32 v19, v21
	s_delay_alu instid0(VALU_DEP_1) | instskip(NEXT) | instid1(VALU_DEP_1)
	v_add_nc_u64_e32 v[18:19], v[16:17], v[18:19]
	v_add_nc_u64_e32 v[18:19], -1, v[18:19]
; %bb.502:                              ;   in Loop: Header=BB6_357 Depth=4
	s_or_b32 exec_lo, exec_lo, s74
	v_add_nc_u32_e32 v17, 0xffffff81, v31
	v_lshrrev_b32_e32 v19, 23, v16
	s_mov_b32 s13, exec_lo
	s_delay_alu instid0(VALU_DEP_2) | instskip(NEXT) | instid1(VALU_DEP_1)
	v_cndmask_b32_e64 v17, v17, 0xffffff82, vcc_lo
	v_add3_u32 v31, v53, v17, v19
	v_and_b32_e32 v17, 0x1fffff, v18
                                        ; implicit-def: $vgpr18
	s_delay_alu instid0(VALU_DEP_1) | instskip(NEXT) | instid1(VALU_DEP_1)
	v_dual_add_nc_u32 v19, 14, v31 :: v_dual_add_nc_u32 v20, v17, v16
                                        ; implicit-def: $vgpr16_vgpr17
	v_cmpx_ne_u32_e32 0, v19
	s_xor_b32 s13, exec_lo, s13
; %bb.503:                              ;   in Loop: Header=BB6_357 Depth=4
	s_delay_alu instid0(VALU_DEP_2) | instskip(SKIP_1) | instid1(VALU_DEP_1)
	v_cmp_lt_u64_e32 vcc_lo, 0xffffff, v[20:21]
	v_add_nc_u32_e32 v16, 15, v31
	v_cndmask_b32_e32 v18, v19, v16, vcc_lo
	v_cndmask_b32_e64 v16, 0, 1, vcc_lo
	s_delay_alu instid0(VALU_DEP_1)
	v_lshrrev_b64 v[16:17], v16, v[20:21]
; %bb.504:                              ;   in Loop: Header=BB6_357 Depth=4
	s_and_not1_saveexec_b32 s13, s13
; %bb.505:                              ;   in Loop: Header=BB6_357 Depth=4
	v_mov_b64_e32 v[16:17], v[20:21]
	v_bfe_u32 v18, v20, 23, 1
; %bb.506:                              ;   in Loop: Header=BB6_357 Depth=4
	s_or_b32 exec_lo, exec_lo, s13
	s_delay_alu instid0(VALU_DEP_2) | instskip(NEXT) | instid1(VALU_DEP_2)
	v_lshrrev_b64 v[16:17], 21, v[16:17]
	v_cmp_gt_i32_e32 vcc_lo, 32, v18
	v_min_i32_e32 v19, 31, v18
	v_cmp_eq_u32_e64 s13, 0, v18
	s_delay_alu instid0(VALU_DEP_2) | instskip(SKIP_1) | instid1(VALU_DEP_2)
	v_dual_cndmask_b32 v17, 0, v17, vcc_lo :: v_dual_lshlrev_b32 v19, 2, v19
	v_cndmask_b32_e32 v16, 3, v16, vcc_lo
	v_and_b32_e32 v19, 0xfc, v19
	s_delay_alu instid0(VALU_DEP_2) | instskip(NEXT) | instid1(VALU_DEP_2)
	v_cmp_eq_u64_e32 vcc_lo, 0, v[16:17]
	v_and_or_b32 v16, v16, 3, v19
	s_and_b32 s13, s13, vcc_lo
	s_delay_alu instid0(VALU_DEP_1) | instid1(SALU_CYCLE_1)
	v_cndmask_b32_e64 v16, v16, 0, s13
	s_delay_alu instid0(VALU_DEP_1)
	v_or_b32_e32 v31, v16, v52
.LBB6_507:                              ;   in Loop: Header=BB6_357 Depth=4
	s_or_b32 exec_lo, exec_lo, s73
                                        ; implicit-def: $vgpr52
.LBB6_508:                              ;   in Loop: Header=BB6_357 Depth=4
	s_and_not1_saveexec_b32 s13, s72
; %bb.509:                              ;   in Loop: Header=BB6_357 Depth=4
	v_or_b32_e32 v31, 0x7b, v52
; %bb.510:                              ;   in Loop: Header=BB6_357 Depth=4
	s_or_b32 exec_lo, exec_lo, s13
                                        ; implicit-def: $vgpr16
                                        ; implicit-def: $vgpr17
.LBB6_511:                              ;   in Loop: Header=BB6_357 Depth=4
	s_and_not1_saveexec_b32 s13, s63
	s_cbranch_execz .LBB6_517
; %bb.512:                              ;   in Loop: Header=BB6_357 Depth=4
	s_mov_b32 s63, exec_lo
                                        ; implicit-def: $vgpr31
	v_cmpx_ne_u64_e32 0, v[20:21]
	s_xor_b32 s63, exec_lo, s63
; %bb.513:                              ;   in Loop: Header=BB6_357 Depth=4
	v_or_b32_e32 v31, 0x7f, v17
                                        ; implicit-def: $vgpr16
; %bb.514:                              ;   in Loop: Header=BB6_357 Depth=4
	s_and_not1_saveexec_b32 s63, s63
; %bb.515:                              ;   in Loop: Header=BB6_357 Depth=4
	v_cmp_lt_i32_e32 vcc_lo, -1, v16
	v_mov_b32_e32 v16, 0x7c
	s_delay_alu instid0(VALU_DEP_1)
	v_cndmask_b32_e32 v31, 0xfc, v16, vcc_lo
; %bb.516:                              ;   in Loop: Header=BB6_357 Depth=4
	s_or_b32 exec_lo, exec_lo, s63
.LBB6_517:                              ;   in Loop: Header=BB6_357 Depth=4
	s_delay_alu instid0(SALU_CYCLE_1) | instskip(SKIP_4) | instid1(VALU_DEP_3)
	s_or_b32 exec_lo, exec_lo, s13
	v_and_b32_e32 v18, 0xff, v49
	v_dual_mov_b32 v20, v49 :: v_dual_mov_b32 v17, 0
	v_mov_b32_e32 v16, 0
	s_mov_b32 s63, exec_lo
	v_cmpx_ne_u16_e32 0, v18
	s_cbranch_execz .LBB6_527
; %bb.518:                              ;   in Loop: Header=BB6_357 Depth=4
	v_bfrev_b32_e32 v16, 1
	s_mov_b32 s72, exec_lo
	v_cmpx_ne_u16_e32 0x80, v18
	s_cbranch_execz .LBB6_526
; %bb.519:                              ;   in Loop: Header=BB6_357 Depth=4
	v_and_b32_e32 v16, 0x7c, v49
	v_and_b32_e32 v18, 3, v49
	s_delay_alu instid0(VALU_DEP_2) | instskip(SKIP_1) | instid1(SALU_CYCLE_1)
	v_cmp_ne_u32_e32 vcc_lo, 0x7c, v16
                                        ; implicit-def: $vgpr16
	s_and_saveexec_b32 s13, vcc_lo
	s_xor_b32 s13, exec_lo, s13
	s_cbranch_execz .LBB6_523
; %bb.520:                              ;   in Loop: Header=BB6_357 Depth=4
	v_bfe_u32 v16, v49, 2, 5
	s_mov_b32 s73, exec_lo
	s_delay_alu instid0(VALU_DEP_1)
	v_cmpx_eq_u32_e32 0, v16
; %bb.521:                              ;   in Loop: Header=BB6_357 Depth=4
	v_clz_i32_u32_e32 v16, v18
	s_delay_alu instid0(VALU_DEP_1) | instskip(NEXT) | instid1(VALU_DEP_1)
	v_min_u32_e32 v16, 32, v16
	v_subrev_nc_u32_e32 v18, 29, v16
	s_delay_alu instid0(VALU_DEP_1) | instskip(NEXT) | instid1(VALU_DEP_1)
	v_lshlrev_b64_e32 v[18:19], v18, v[20:21]
	v_dual_sub_nc_u32 v16, 30, v16 :: v_dual_bitop2_b32 v18, 3, v18 bitop3:0x40
; %bb.522:                              ;   in Loop: Header=BB6_357 Depth=4
	s_or_b32 exec_lo, exec_lo, s73
	v_lshlrev_b32_e32 v19, 24, v49
	s_delay_alu instid0(VALU_DEP_1) | instskip(NEXT) | instid1(VALU_DEP_1)
	v_and_b32_e32 v19, 0x80000000, v19
	v_lshl_add_u32 v16, v16, 23, v19
	s_delay_alu instid0(VALU_DEP_1) | instskip(NEXT) | instid1(VALU_DEP_1)
	v_lshl_or_b32 v16, v18, 21, v16
                                        ; implicit-def: $vgpr18
	v_add_nc_u32_e32 v16, 0x38000000, v16
.LBB6_523:                              ;   in Loop: Header=BB6_357 Depth=4
	s_and_not1_saveexec_b32 s73, s13
; %bb.524:                              ;   in Loop: Header=BB6_357 Depth=4
	v_bfe_i32 v16, v49, 0, 8
	v_cmp_eq_u32_e32 vcc_lo, 0, v18
	s_delay_alu instid0(VALU_DEP_2) | instskip(SKIP_1) | instid1(VALU_DEP_1)
	v_cmp_lt_i16_e64 s13, -1, v16
	v_mov_b32_e32 v16, 0x7f800000
	v_cndmask_b32_e64 v16, 0xff800000, v16, s13
	s_delay_alu instid0(VALU_DEP_1)
	v_cndmask_b32_e32 v16, 0x7f800001, v16, vcc_lo
; %bb.525:                              ;   in Loop: Header=BB6_357 Depth=4
	s_or_b32 exec_lo, exec_lo, s73
.LBB6_526:                              ;   in Loop: Header=BB6_357 Depth=4
	s_delay_alu instid0(SALU_CYCLE_1)
	s_or_b32 exec_lo, exec_lo, s72
.LBB6_527:                              ;   in Loop: Header=BB6_357 Depth=4
	s_delay_alu instid0(SALU_CYCLE_1) | instskip(SKIP_2) | instid1(VALU_DEP_1)
	s_or_b32 exec_lo, exec_lo, s63
	v_and_b32_e32 v18, 0xff, v37
	s_mov_b32 s63, exec_lo
	v_cmpx_ne_u16_e32 0, v18
	s_cbranch_execz .LBB6_537
; %bb.528:                              ;   in Loop: Header=BB6_357 Depth=4
	v_bfrev_b32_e32 v17, 1
	s_mov_b32 s72, exec_lo
	v_cmpx_ne_u16_e32 0x80, v18
	s_cbranch_execz .LBB6_536
; %bb.529:                              ;   in Loop: Header=BB6_357 Depth=4
	v_and_b32_e32 v17, 0x7c, v37
	v_and_b32_e32 v18, 3, v37
	s_delay_alu instid0(VALU_DEP_2) | instskip(SKIP_1) | instid1(SALU_CYCLE_1)
	v_cmp_ne_u32_e32 vcc_lo, 0x7c, v17
                                        ; implicit-def: $vgpr17
	s_and_saveexec_b32 s13, vcc_lo
	s_xor_b32 s13, exec_lo, s13
	s_cbranch_execz .LBB6_533
; %bb.530:                              ;   in Loop: Header=BB6_357 Depth=4
	v_bfe_u32 v17, v37, 2, 5
	s_mov_b32 s73, exec_lo
	s_delay_alu instid0(VALU_DEP_1)
	v_cmpx_eq_u32_e32 0, v17
; %bb.531:                              ;   in Loop: Header=BB6_357 Depth=4
	v_clz_i32_u32_e32 v17, v18
	v_dual_mov_b32 v18, v37 :: v_dual_mov_b32 v19, v21
	s_delay_alu instid0(VALU_DEP_2) | instskip(NEXT) | instid1(VALU_DEP_1)
	v_min_u32_e32 v17, 32, v17
	v_subrev_nc_u32_e32 v52, 29, v17
	s_delay_alu instid0(VALU_DEP_1) | instskip(NEXT) | instid1(VALU_DEP_1)
	v_lshlrev_b64_e32 v[18:19], v52, v[18:19]
	v_dual_sub_nc_u32 v17, 30, v17 :: v_dual_bitop2_b32 v18, 3, v18 bitop3:0x40
; %bb.532:                              ;   in Loop: Header=BB6_357 Depth=4
	s_or_b32 exec_lo, exec_lo, s73
	v_lshlrev_b32_e32 v19, 24, v37
	s_delay_alu instid0(VALU_DEP_1) | instskip(NEXT) | instid1(VALU_DEP_1)
	v_and_b32_e32 v19, 0x80000000, v19
	v_lshl_add_u32 v17, v17, 23, v19
	s_delay_alu instid0(VALU_DEP_1) | instskip(NEXT) | instid1(VALU_DEP_1)
	v_lshl_or_b32 v17, v18, 21, v17
                                        ; implicit-def: $vgpr18
	v_add_nc_u32_e32 v17, 0x38000000, v17
.LBB6_533:                              ;   in Loop: Header=BB6_357 Depth=4
	s_and_not1_saveexec_b32 s73, s13
; %bb.534:                              ;   in Loop: Header=BB6_357 Depth=4
	v_bfe_i32 v17, v37, 0, 8
	v_cmp_eq_u32_e32 vcc_lo, 0, v18
	s_delay_alu instid0(VALU_DEP_2) | instskip(SKIP_1) | instid1(VALU_DEP_1)
	v_cmp_lt_i16_e64 s13, -1, v17
	v_mov_b32_e32 v17, 0x7f800000
	v_cndmask_b32_e64 v17, 0xff800000, v17, s13
	s_delay_alu instid0(VALU_DEP_1)
	v_cndmask_b32_e32 v17, 0x7f800001, v17, vcc_lo
; %bb.535:                              ;   in Loop: Header=BB6_357 Depth=4
	s_or_b32 exec_lo, exec_lo, s73
.LBB6_536:                              ;   in Loop: Header=BB6_357 Depth=4
	s_delay_alu instid0(SALU_CYCLE_1)
	s_or_b32 exec_lo, exec_lo, s72
.LBB6_537:                              ;   in Loop: Header=BB6_357 Depth=4
	s_delay_alu instid0(SALU_CYCLE_1) | instskip(NEXT) | instid1(VALU_DEP_1)
	s_or_b32 exec_lo, exec_lo, s63
	v_dual_mul_f32 v18, v16, v17 :: v_dual_mov_b32 v53, v21
	s_delay_alu instid0(VALU_DEP_1) | instskip(SKIP_2) | instid1(VALU_DEP_2)
	v_dual_mov_b32 v17, v21 :: v_dual_lshrrev_b32 v19, 24, v18
	v_and_b32_e32 v52, 0x7f800000, v18
	v_and_b32_e32 v16, 0x7fffff, v18
	v_cmp_ne_u64_e32 vcc_lo, 0x7f800000, v[52:53]
                                        ; implicit-def: $vgpr52
	s_and_saveexec_b32 s13, vcc_lo
	s_delay_alu instid0(SALU_CYCLE_1)
	s_xor_b32 s63, exec_lo, s13
	s_cbranch_execz .LBB6_551
; %bb.538:                              ;   in Loop: Header=BB6_357 Depth=4
	v_and_b32_e32 v52, 0x7fffffff, v18
	v_mov_b32_e32 v53, v21
	s_delay_alu instid0(VALU_DEP_1) | instskip(SKIP_2) | instid1(SALU_CYCLE_1)
	v_cmp_gt_u64_e32 vcc_lo, 0x47600001, v[52:53]
	v_and_b32_e32 v53, 0x80, v19
                                        ; implicit-def: $vgpr52
	s_and_saveexec_b32 s13, vcc_lo
	s_xor_b32 s72, exec_lo, s13
	s_cbranch_execz .LBB6_548
; %bb.539:                              ;   in Loop: Header=BB6_357 Depth=4
	v_mov_b32_e32 v52, 0
	s_mov_b32 s73, exec_lo
	v_cmpx_ne_u32_e32 0, v18
	s_cbranch_execz .LBB6_547
; %bb.540:                              ;   in Loop: Header=BB6_357 Depth=4
	v_bfe_u32 v52, v18, 23, 8
	v_or_b32_e32 v19, 0x800000, v16
	s_delay_alu instid0(VALU_DEP_2) | instskip(SKIP_2) | instid1(VALU_DEP_2)
	v_cmp_gt_u32_e64 s13, 0x72, v52
	v_sub_nc_u32_e32 v18, 0x71, v52
	v_cmp_eq_u32_e32 vcc_lo, 0, v52
	v_dual_cndmask_b32 v18, 0, v18, s13 :: v_dual_cndmask_b32 v16, v19, v16, vcc_lo
	s_delay_alu instid0(VALU_DEP_1) | instskip(NEXT) | instid1(VALU_DEP_1)
	v_cndmask_b32_e64 v54, v18, 0x70, vcc_lo
	v_dual_add_nc_u32 v18, 21, v54 :: v_dual_add_nc_u32 v55, 20, v54
	s_delay_alu instid0(VALU_DEP_1) | instskip(NEXT) | instid1(VALU_DEP_2)
	v_lshlrev_b64_e64 v[18:19], v18, -1
	v_lshlrev_b64_e64 v[64:65], v55, 1
	s_delay_alu instid0(VALU_DEP_2) | instskip(SKIP_1) | instid1(VALU_DEP_4)
	v_bfi_b32 v18, v18, 0, v16
	v_lshrrev_b64 v[16:17], v54, v[16:17]
	v_bfi_b32 v19, v19, 0, 0
	s_delay_alu instid0(VALU_DEP_1) | instskip(NEXT) | instid1(VALU_DEP_3)
	v_cmp_eq_u64_e64 s13, v[18:19], v[64:65]
	v_mov_b64_e32 v[18:19], v[16:17]
	s_and_saveexec_b32 s74, s13
; %bb.541:                              ;   in Loop: Header=BB6_357 Depth=4
	v_bfe_u32 v18, v16, 21, 1
	v_mov_b32_e32 v19, v21
	s_delay_alu instid0(VALU_DEP_1) | instskip(NEXT) | instid1(VALU_DEP_1)
	v_add_nc_u64_e32 v[18:19], v[16:17], v[18:19]
	v_add_nc_u64_e32 v[18:19], -1, v[18:19]
; %bb.542:                              ;   in Loop: Header=BB6_357 Depth=4
	s_or_b32 exec_lo, exec_lo, s74
	v_add_nc_u32_e32 v17, 0xffffff81, v52
	v_lshrrev_b32_e32 v19, 23, v16
	s_mov_b32 s13, exec_lo
	s_delay_alu instid0(VALU_DEP_2) | instskip(NEXT) | instid1(VALU_DEP_1)
	v_cndmask_b32_e64 v17, v17, 0xffffff82, vcc_lo
	v_add3_u32 v52, v54, v17, v19
	v_and_b32_e32 v17, 0x1fffff, v18
                                        ; implicit-def: $vgpr18
	s_delay_alu instid0(VALU_DEP_2) | instskip(NEXT) | instid1(VALU_DEP_2)
	v_add_nc_u32_e32 v19, 14, v52
	v_add_nc_u32_e32 v16, v17, v16
	v_mov_b32_e32 v17, v21
	s_delay_alu instid0(VALU_DEP_3)
	v_cmpx_ne_u32_e32 0, v19
	s_xor_b32 s13, exec_lo, s13
; %bb.543:                              ;   in Loop: Header=BB6_357 Depth=4
	s_delay_alu instid0(VALU_DEP_2) | instskip(SKIP_1) | instid1(VALU_DEP_1)
	v_cmp_lt_u64_e32 vcc_lo, 0xffffff, v[16:17]
	v_add_nc_u32_e32 v18, 15, v52
	v_cndmask_b32_e32 v18, v19, v18, vcc_lo
	v_cndmask_b32_e64 v19, 0, 1, vcc_lo
	s_delay_alu instid0(VALU_DEP_1)
	v_lshrrev_b64 v[16:17], v19, v[16:17]
; %bb.544:                              ;   in Loop: Header=BB6_357 Depth=4
	s_and_not1_saveexec_b32 s13, s13
; %bb.545:                              ;   in Loop: Header=BB6_357 Depth=4
	s_delay_alu instid0(VALU_DEP_1)
	v_bfe_u32 v18, v16, 23, 1
; %bb.546:                              ;   in Loop: Header=BB6_357 Depth=4
	s_or_b32 exec_lo, exec_lo, s13
	s_delay_alu instid0(VALU_DEP_2) | instskip(NEXT) | instid1(VALU_DEP_2)
	v_lshrrev_b64 v[16:17], 21, v[16:17]
	v_cmp_gt_i32_e32 vcc_lo, 32, v18
	v_min_i32_e32 v19, 31, v18
	v_cmp_eq_u32_e64 s13, 0, v18
	s_delay_alu instid0(VALU_DEP_2) | instskip(SKIP_1) | instid1(VALU_DEP_2)
	v_dual_cndmask_b32 v17, 0, v17, vcc_lo :: v_dual_lshlrev_b32 v19, 2, v19
	v_cndmask_b32_e32 v16, 3, v16, vcc_lo
	v_and_b32_e32 v19, 0xfc, v19
	s_delay_alu instid0(VALU_DEP_2) | instskip(NEXT) | instid1(VALU_DEP_2)
	v_cmp_eq_u64_e32 vcc_lo, 0, v[16:17]
	v_and_or_b32 v16, v16, 3, v19
	s_and_b32 s13, s13, vcc_lo
	s_delay_alu instid0(VALU_DEP_1) | instid1(SALU_CYCLE_1)
	v_cndmask_b32_e64 v16, v16, 0, s13
	s_delay_alu instid0(VALU_DEP_1)
	v_or_b32_e32 v52, v16, v53
.LBB6_547:                              ;   in Loop: Header=BB6_357 Depth=4
	s_or_b32 exec_lo, exec_lo, s73
                                        ; implicit-def: $vgpr53
.LBB6_548:                              ;   in Loop: Header=BB6_357 Depth=4
	s_and_not1_saveexec_b32 s13, s72
; %bb.549:                              ;   in Loop: Header=BB6_357 Depth=4
	v_or_b32_e32 v52, 0x7b, v53
; %bb.550:                              ;   in Loop: Header=BB6_357 Depth=4
	s_or_b32 exec_lo, exec_lo, s13
                                        ; implicit-def: $vgpr18
                                        ; implicit-def: $vgpr16_vgpr17
                                        ; implicit-def: $vgpr19
.LBB6_551:                              ;   in Loop: Header=BB6_357 Depth=4
	s_and_not1_saveexec_b32 s13, s63
	s_cbranch_execz .LBB6_557
; %bb.552:                              ;   in Loop: Header=BB6_357 Depth=4
	s_mov_b32 s63, exec_lo
                                        ; implicit-def: $vgpr52
	v_cmpx_ne_u64_e32 0, v[16:17]
	s_xor_b32 s63, exec_lo, s63
; %bb.553:                              ;   in Loop: Header=BB6_357 Depth=4
	v_or_b32_e32 v52, 0x7f, v19
                                        ; implicit-def: $vgpr18
; %bb.554:                              ;   in Loop: Header=BB6_357 Depth=4
	s_and_not1_saveexec_b32 s63, s63
; %bb.555:                              ;   in Loop: Header=BB6_357 Depth=4
	v_cmp_lt_i32_e32 vcc_lo, -1, v18
	v_mov_b32_e32 v16, 0x7c
	s_delay_alu instid0(VALU_DEP_1)
	v_cndmask_b32_e32 v52, 0xfc, v16, vcc_lo
; %bb.556:                              ;   in Loop: Header=BB6_357 Depth=4
	s_or_b32 exec_lo, exec_lo, s63
.LBB6_557:                              ;   in Loop: Header=BB6_357 Depth=4
	s_delay_alu instid0(SALU_CYCLE_1) | instskip(SKIP_3) | instid1(VALU_DEP_2)
	s_or_b32 exec_lo, exec_lo, s13
	v_lshrrev_b16 v16, 8, v20
	v_dual_mov_b32 v18, 0 :: v_dual_mov_b32 v19, 0
	s_mov_b32 s63, exec_lo
	v_cmpx_ne_u16_e32 0, v16
	s_cbranch_execz .LBB6_567
; %bb.558:                              ;   in Loop: Header=BB6_357 Depth=4
	v_bfrev_b32_e32 v19, 1
	s_mov_b32 s72, exec_lo
	v_cmpx_ne_u16_e32 0x80, v16
	s_cbranch_execz .LBB6_566
; %bb.559:                              ;   in Loop: Header=BB6_357 Depth=4
	v_and_b32_e32 v53, 0xffff, v16
	s_delay_alu instid0(VALU_DEP_1) | instskip(SKIP_1) | instid1(VALU_DEP_2)
	v_and_b32_e32 v19, 0x7c, v53
	v_and_b32_e32 v17, 3, v53
	v_cmp_ne_u32_e32 vcc_lo, 0x7c, v19
                                        ; implicit-def: $vgpr19
	s_and_saveexec_b32 s13, vcc_lo
	s_delay_alu instid0(SALU_CYCLE_1)
	s_xor_b32 s13, exec_lo, s13
	s_cbranch_execz .LBB6_563
; %bb.560:                              ;   in Loop: Header=BB6_357 Depth=4
	v_bfe_u32 v19, v53, 2, 5
	s_mov_b32 s73, exec_lo
	s_delay_alu instid0(VALU_DEP_1)
	v_cmpx_eq_u32_e32 0, v19
	s_cbranch_execz .LBB6_562
; %bb.561:                              ;   in Loop: Header=BB6_357 Depth=4
	v_clz_i32_u32_e32 v17, v17
	s_delay_alu instid0(VALU_DEP_1) | instskip(SKIP_1) | instid1(VALU_DEP_2)
	v_min_u32_e32 v19, 32, v17
	v_mov_b32_e32 v17, v21
	v_subrev_nc_u32_e32 v53, 29, v19
	v_sub_nc_u32_e32 v19, 30, v19
	s_delay_alu instid0(VALU_DEP_2) | instskip(NEXT) | instid1(VALU_DEP_1)
	v_lshlrev_b64_e32 v[16:17], v53, v[16:17]
	v_and_b32_e32 v17, 3, v16
.LBB6_562:                              ;   in Loop: Header=BB6_357 Depth=4
	s_or_b32 exec_lo, exec_lo, s73
	v_lshlrev_b32_e32 v16, 16, v20
	s_delay_alu instid0(VALU_DEP_1) | instskip(NEXT) | instid1(VALU_DEP_1)
	v_and_b32_e32 v16, 0x80000000, v16
	v_lshl_add_u32 v16, v19, 23, v16
	s_delay_alu instid0(VALU_DEP_1) | instskip(NEXT) | instid1(VALU_DEP_1)
	v_lshl_or_b32 v16, v17, 21, v16
                                        ; implicit-def: $vgpr17
	v_add_nc_u32_e32 v19, 0x38000000, v16
.LBB6_563:                              ;   in Loop: Header=BB6_357 Depth=4
	s_and_not1_saveexec_b32 s73, s13
; %bb.564:                              ;   in Loop: Header=BB6_357 Depth=4
	v_cmp_lt_i16_e64 s13, -1, v20
	v_mov_b32_e32 v16, 0x7f800000
	v_cmp_eq_u32_e32 vcc_lo, 0, v17
	s_delay_alu instid0(VALU_DEP_2) | instskip(NEXT) | instid1(VALU_DEP_1)
	v_cndmask_b32_e64 v16, 0xff800000, v16, s13
	v_cndmask_b32_e32 v19, 0x7f800001, v16, vcc_lo
; %bb.565:                              ;   in Loop: Header=BB6_357 Depth=4
	s_or_b32 exec_lo, exec_lo, s73
.LBB6_566:                              ;   in Loop: Header=BB6_357 Depth=4
	s_delay_alu instid0(SALU_CYCLE_1)
	s_or_b32 exec_lo, exec_lo, s72
.LBB6_567:                              ;   in Loop: Header=BB6_357 Depth=4
	s_delay_alu instid0(SALU_CYCLE_1) | instskip(SKIP_2) | instid1(VALU_DEP_1)
	s_or_b32 exec_lo, exec_lo, s63
	v_lshrrev_b16 v16, 8, v37
	s_mov_b32 s63, exec_lo
	v_cmpx_ne_u16_e32 0, v16
	s_cbranch_execz .LBB6_577
; %bb.568:                              ;   in Loop: Header=BB6_357 Depth=4
	v_bfrev_b32_e32 v18, 1
	s_mov_b32 s72, exec_lo
	v_cmpx_ne_u16_e32 0x80, v16
	s_cbranch_execz .LBB6_576
; %bb.569:                              ;   in Loop: Header=BB6_357 Depth=4
	v_and_b32_e32 v20, 0xffff, v16
	s_delay_alu instid0(VALU_DEP_1) | instskip(SKIP_1) | instid1(VALU_DEP_2)
	v_and_b32_e32 v18, 0x7c, v20
	v_and_b32_e32 v17, 3, v20
	v_cmp_ne_u32_e32 vcc_lo, 0x7c, v18
                                        ; implicit-def: $vgpr18
	s_and_saveexec_b32 s13, vcc_lo
	s_delay_alu instid0(SALU_CYCLE_1)
	s_xor_b32 s13, exec_lo, s13
	s_cbranch_execz .LBB6_573
; %bb.570:                              ;   in Loop: Header=BB6_357 Depth=4
	v_bfe_u32 v18, v20, 2, 5
	s_mov_b32 s73, exec_lo
	s_delay_alu instid0(VALU_DEP_1)
	v_cmpx_eq_u32_e32 0, v18
	s_cbranch_execz .LBB6_572
; %bb.571:                              ;   in Loop: Header=BB6_357 Depth=4
	v_clz_i32_u32_e32 v17, v17
	s_delay_alu instid0(VALU_DEP_1) | instskip(SKIP_1) | instid1(VALU_DEP_2)
	v_min_u32_e32 v18, 32, v17
	v_mov_b32_e32 v17, v21
	v_subrev_nc_u32_e32 v20, 29, v18
	v_sub_nc_u32_e32 v18, 30, v18
	s_delay_alu instid0(VALU_DEP_2) | instskip(NEXT) | instid1(VALU_DEP_1)
	v_lshlrev_b64_e32 v[16:17], v20, v[16:17]
	v_and_b32_e32 v17, 3, v16
.LBB6_572:                              ;   in Loop: Header=BB6_357 Depth=4
	s_or_b32 exec_lo, exec_lo, s73
	v_lshlrev_b32_e32 v16, 16, v37
	s_delay_alu instid0(VALU_DEP_1) | instskip(NEXT) | instid1(VALU_DEP_1)
	v_and_b32_e32 v16, 0x80000000, v16
	v_lshl_add_u32 v16, v18, 23, v16
	s_delay_alu instid0(VALU_DEP_1) | instskip(NEXT) | instid1(VALU_DEP_1)
	v_lshl_or_b32 v16, v17, 21, v16
                                        ; implicit-def: $vgpr17
	v_add_nc_u32_e32 v18, 0x38000000, v16
.LBB6_573:                              ;   in Loop: Header=BB6_357 Depth=4
	s_and_not1_saveexec_b32 s73, s13
; %bb.574:                              ;   in Loop: Header=BB6_357 Depth=4
	v_cmp_lt_i16_e64 s13, -1, v37
	v_mov_b32_e32 v16, 0x7f800000
	v_cmp_eq_u32_e32 vcc_lo, 0, v17
	s_delay_alu instid0(VALU_DEP_2) | instskip(NEXT) | instid1(VALU_DEP_1)
	v_cndmask_b32_e64 v16, 0xff800000, v16, s13
	v_cndmask_b32_e32 v18, 0x7f800001, v16, vcc_lo
; %bb.575:                              ;   in Loop: Header=BB6_357 Depth=4
	s_or_b32 exec_lo, exec_lo, s73
.LBB6_576:                              ;   in Loop: Header=BB6_357 Depth=4
	s_delay_alu instid0(SALU_CYCLE_1)
	s_or_b32 exec_lo, exec_lo, s72
.LBB6_577:                              ;   in Loop: Header=BB6_357 Depth=4
	s_delay_alu instid0(SALU_CYCLE_1) | instskip(NEXT) | instid1(VALU_DEP_1)
	s_or_b32 exec_lo, exec_lo, s63
	v_dual_mul_f32 v16, v19, v18 :: v_dual_mov_b32 v19, v21
                                        ; implicit-def: $vgpr53
	s_mov_b32 s13, exec_lo
	s_delay_alu instid0(VALU_DEP_1) | instskip(SKIP_2) | instid1(VALU_DEP_3)
	v_and_b32_e32 v18, 0x7f800000, v16
	v_and_b32_e32 v20, 0x7fffff, v16
	v_lshrrev_b32_e32 v17, 24, v16
	v_cmpx_ne_u64_e32 0x7f800000, v[18:19]
	s_xor_b32 s63, exec_lo, s13
	s_cbranch_execz .LBB6_591
; %bb.578:                              ;   in Loop: Header=BB6_357 Depth=4
	v_and_b32_e32 v18, 0x7fffffff, v16
	v_mov_b32_e32 v19, v21
	v_and_b32_e32 v54, 0x80, v17
                                        ; implicit-def: $vgpr53
	s_mov_b32 s13, exec_lo
	s_delay_alu instid0(VALU_DEP_2)
	v_cmpx_gt_u64_e32 0x47600001, v[18:19]
	s_xor_b32 s72, exec_lo, s13
	s_cbranch_execz .LBB6_588
; %bb.579:                              ;   in Loop: Header=BB6_357 Depth=4
	v_mov_b32_e32 v53, 0
	s_mov_b32 s73, exec_lo
	v_cmpx_ne_u32_e32 0, v16
	s_cbranch_execz .LBB6_587
; %bb.580:                              ;   in Loop: Header=BB6_357 Depth=4
	v_bfe_u32 v53, v16, 23, 8
	v_or_b32_e32 v17, 0x800000, v20
	s_delay_alu instid0(VALU_DEP_2) | instskip(SKIP_2) | instid1(VALU_DEP_2)
	v_cmp_gt_u32_e64 s13, 0x72, v53
	v_sub_nc_u32_e32 v16, 0x71, v53
	v_cmp_eq_u32_e32 vcc_lo, 0, v53
	v_cndmask_b32_e64 v16, 0, v16, s13
	s_delay_alu instid0(VALU_DEP_1) | instskip(SKIP_1) | instid1(VALU_DEP_2)
	v_cndmask_b32_e64 v55, v16, 0x70, vcc_lo
	v_cndmask_b32_e32 v16, v17, v20, vcc_lo
	v_dual_mov_b32 v17, v21 :: v_dual_add_nc_u32 v18, 21, v55
	v_add_nc_u32_e32 v20, 20, v55
	s_delay_alu instid0(VALU_DEP_2) | instskip(NEXT) | instid1(VALU_DEP_2)
	v_lshlrev_b64_e64 v[18:19], v18, -1
	v_lshlrev_b64_e64 v[64:65], v20, 1
	s_delay_alu instid0(VALU_DEP_2) | instskip(SKIP_1) | instid1(VALU_DEP_4)
	v_bfi_b32 v18, v18, 0, v16
	v_lshrrev_b64 v[16:17], v55, v[16:17]
	v_bfi_b32 v19, v19, 0, 0
	s_delay_alu instid0(VALU_DEP_1) | instskip(NEXT) | instid1(VALU_DEP_3)
	v_cmp_eq_u64_e64 s13, v[18:19], v[64:65]
	v_mov_b64_e32 v[18:19], v[16:17]
	s_and_saveexec_b32 s74, s13
; %bb.581:                              ;   in Loop: Header=BB6_357 Depth=4
	v_bfe_u32 v18, v16, 21, 1
	v_mov_b32_e32 v19, v21
	s_delay_alu instid0(VALU_DEP_1) | instskip(NEXT) | instid1(VALU_DEP_1)
	v_add_nc_u64_e32 v[18:19], v[16:17], v[18:19]
	v_add_nc_u64_e32 v[18:19], -1, v[18:19]
; %bb.582:                              ;   in Loop: Header=BB6_357 Depth=4
	s_or_b32 exec_lo, exec_lo, s74
	v_add_nc_u32_e32 v17, 0xffffff81, v53
	v_lshrrev_b32_e32 v19, 23, v16
	s_mov_b32 s13, exec_lo
	s_delay_alu instid0(VALU_DEP_2) | instskip(NEXT) | instid1(VALU_DEP_1)
	v_cndmask_b32_e64 v17, v17, 0xffffff82, vcc_lo
	v_add3_u32 v53, v55, v17, v19
	v_and_b32_e32 v17, 0x1fffff, v18
                                        ; implicit-def: $vgpr18
	s_delay_alu instid0(VALU_DEP_1) | instskip(NEXT) | instid1(VALU_DEP_1)
	v_dual_add_nc_u32 v19, 14, v53 :: v_dual_add_nc_u32 v20, v17, v16
                                        ; implicit-def: $vgpr16_vgpr17
	v_cmpx_ne_u32_e32 0, v19
	s_xor_b32 s13, exec_lo, s13
; %bb.583:                              ;   in Loop: Header=BB6_357 Depth=4
	s_delay_alu instid0(VALU_DEP_2) | instskip(SKIP_1) | instid1(VALU_DEP_1)
	v_cmp_lt_u64_e32 vcc_lo, 0xffffff, v[20:21]
	v_add_nc_u32_e32 v16, 15, v53
	v_cndmask_b32_e32 v18, v19, v16, vcc_lo
	v_cndmask_b32_e64 v16, 0, 1, vcc_lo
	s_delay_alu instid0(VALU_DEP_1)
	v_lshrrev_b64 v[16:17], v16, v[20:21]
; %bb.584:                              ;   in Loop: Header=BB6_357 Depth=4
	s_and_not1_saveexec_b32 s13, s13
; %bb.585:                              ;   in Loop: Header=BB6_357 Depth=4
	v_mov_b64_e32 v[16:17], v[20:21]
	v_bfe_u32 v18, v20, 23, 1
; %bb.586:                              ;   in Loop: Header=BB6_357 Depth=4
	s_or_b32 exec_lo, exec_lo, s13
	s_delay_alu instid0(VALU_DEP_2) | instskip(NEXT) | instid1(VALU_DEP_2)
	v_lshrrev_b64 v[16:17], 21, v[16:17]
	v_cmp_gt_i32_e32 vcc_lo, 32, v18
	v_min_i32_e32 v19, 31, v18
	v_cmp_eq_u32_e64 s13, 0, v18
	s_delay_alu instid0(VALU_DEP_2) | instskip(SKIP_1) | instid1(VALU_DEP_2)
	v_dual_cndmask_b32 v17, 0, v17, vcc_lo :: v_dual_lshlrev_b32 v19, 2, v19
	v_cndmask_b32_e32 v16, 3, v16, vcc_lo
	v_and_b32_e32 v19, 0xfc, v19
	s_delay_alu instid0(VALU_DEP_2) | instskip(NEXT) | instid1(VALU_DEP_2)
	v_cmp_eq_u64_e32 vcc_lo, 0, v[16:17]
	v_and_or_b32 v16, v16, 3, v19
	s_and_b32 s13, s13, vcc_lo
	s_delay_alu instid0(VALU_DEP_1) | instid1(SALU_CYCLE_1)
	v_cndmask_b32_e64 v16, v16, 0, s13
	s_delay_alu instid0(VALU_DEP_1)
	v_or_b32_e32 v53, v16, v54
.LBB6_587:                              ;   in Loop: Header=BB6_357 Depth=4
	s_or_b32 exec_lo, exec_lo, s73
                                        ; implicit-def: $vgpr54
.LBB6_588:                              ;   in Loop: Header=BB6_357 Depth=4
	s_and_not1_saveexec_b32 s13, s72
; %bb.589:                              ;   in Loop: Header=BB6_357 Depth=4
	v_or_b32_e32 v53, 0x7b, v54
; %bb.590:                              ;   in Loop: Header=BB6_357 Depth=4
	s_or_b32 exec_lo, exec_lo, s13
                                        ; implicit-def: $vgpr16
                                        ; implicit-def: $vgpr17
.LBB6_591:                              ;   in Loop: Header=BB6_357 Depth=4
	s_and_not1_saveexec_b32 s13, s63
	s_cbranch_execz .LBB6_597
; %bb.592:                              ;   in Loop: Header=BB6_357 Depth=4
	s_mov_b32 s63, exec_lo
                                        ; implicit-def: $vgpr53
	v_cmpx_ne_u64_e32 0, v[20:21]
	s_xor_b32 s63, exec_lo, s63
; %bb.593:                              ;   in Loop: Header=BB6_357 Depth=4
	v_or_b32_e32 v53, 0x7f, v17
                                        ; implicit-def: $vgpr16
; %bb.594:                              ;   in Loop: Header=BB6_357 Depth=4
	s_and_not1_saveexec_b32 s63, s63
; %bb.595:                              ;   in Loop: Header=BB6_357 Depth=4
	v_cmp_lt_i32_e32 vcc_lo, -1, v16
	v_mov_b32_e32 v16, 0x7c
	s_delay_alu instid0(VALU_DEP_1)
	v_cndmask_b32_e32 v53, 0xfc, v16, vcc_lo
; %bb.596:                              ;   in Loop: Header=BB6_357 Depth=4
	s_or_b32 exec_lo, exec_lo, s63
.LBB6_597:                              ;   in Loop: Header=BB6_357 Depth=4
	s_delay_alu instid0(SALU_CYCLE_1) | instskip(SKIP_3) | instid1(VALU_DEP_2)
	s_or_b32 exec_lo, exec_lo, s13
	v_dual_mov_b32 v17, 0 :: v_dual_lshrrev_b32 v16, 16, v49
	v_mov_b32_e32 v18, 0
	s_mov_b32 s63, exec_lo
	v_and_b32_e32 v19, 0xff, v16
	s_delay_alu instid0(VALU_DEP_1)
	v_cmpx_ne_u16_e32 0, v19
	s_cbranch_execz .LBB6_607
; %bb.598:                              ;   in Loop: Header=BB6_357 Depth=4
	v_bfrev_b32_e32 v18, 1
	s_mov_b32 s72, exec_lo
	v_cmpx_ne_u16_e32 0x80, v19
	s_cbranch_execz .LBB6_606
; %bb.599:                              ;   in Loop: Header=BB6_357 Depth=4
	v_and_b32_e32 v18, 0x7c0000, v49
	v_bfe_u32 v19, v49, 16, 2
	s_delay_alu instid0(VALU_DEP_2) | instskip(SKIP_1) | instid1(SALU_CYCLE_1)
	v_cmp_ne_u32_e32 vcc_lo, 0x7c0000, v18
                                        ; implicit-def: $vgpr18
	s_and_saveexec_b32 s13, vcc_lo
	s_xor_b32 s13, exec_lo, s13
	s_cbranch_execz .LBB6_603
; %bb.600:                              ;   in Loop: Header=BB6_357 Depth=4
	v_bfe_u32 v18, v49, 18, 5
	s_mov_b32 s73, exec_lo
	s_delay_alu instid0(VALU_DEP_1)
	v_cmpx_eq_u32_e32 0, v18
; %bb.601:                              ;   in Loop: Header=BB6_357 Depth=4
	v_clz_i32_u32_e32 v18, v19
	s_delay_alu instid0(VALU_DEP_1) | instskip(NEXT) | instid1(VALU_DEP_1)
	v_min_u32_e32 v18, 32, v18
	v_subrev_nc_u32_e32 v19, 29, v18
	v_sub_nc_u32_e32 v18, 30, v18
	s_delay_alu instid0(VALU_DEP_2) | instskip(NEXT) | instid1(VALU_DEP_1)
	v_lshlrev_b64_e32 v[54:55], v19, v[16:17]
	v_and_b32_e32 v19, 3, v54
; %bb.602:                              ;   in Loop: Header=BB6_357 Depth=4
	s_or_b32 exec_lo, exec_lo, s73
	v_lshlrev_b32_e32 v16, 24, v16
	s_delay_alu instid0(VALU_DEP_1) | instskip(NEXT) | instid1(VALU_DEP_1)
	v_and_b32_e32 v16, 0x80000000, v16
	v_lshl_add_u32 v16, v18, 23, v16
	s_delay_alu instid0(VALU_DEP_1) | instskip(NEXT) | instid1(VALU_DEP_1)
	v_lshl_or_b32 v16, v19, 21, v16
                                        ; implicit-def: $vgpr19
	v_add_nc_u32_e32 v18, 0x38000000, v16
                                        ; implicit-def: $vgpr16
.LBB6_603:                              ;   in Loop: Header=BB6_357 Depth=4
	s_and_not1_saveexec_b32 s73, s13
; %bb.604:                              ;   in Loop: Header=BB6_357 Depth=4
	v_bfe_i32 v16, v16, 0, 8
	v_cmp_eq_u32_e32 vcc_lo, 0, v19
	s_delay_alu instid0(VALU_DEP_2) | instskip(SKIP_1) | instid1(VALU_DEP_1)
	v_cmp_lt_i16_e64 s13, -1, v16
	v_mov_b32_e32 v16, 0x7f800000
	v_cndmask_b32_e64 v16, 0xff800000, v16, s13
	s_delay_alu instid0(VALU_DEP_1)
	v_cndmask_b32_e32 v18, 0x7f800001, v16, vcc_lo
; %bb.605:                              ;   in Loop: Header=BB6_357 Depth=4
	s_or_b32 exec_lo, exec_lo, s73
.LBB6_606:                              ;   in Loop: Header=BB6_357 Depth=4
	s_delay_alu instid0(SALU_CYCLE_1)
	s_or_b32 exec_lo, exec_lo, s72
.LBB6_607:                              ;   in Loop: Header=BB6_357 Depth=4
	s_delay_alu instid0(SALU_CYCLE_1) | instskip(SKIP_2) | instid1(VALU_DEP_1)
	s_or_b32 exec_lo, exec_lo, s63
	v_lshrrev_b32_e32 v16, 16, v37
	s_mov_b32 s63, exec_lo
	v_and_b32_e32 v19, 0xff, v16
	s_delay_alu instid0(VALU_DEP_1)
	v_cmpx_ne_u16_e32 0, v19
	s_cbranch_execz .LBB6_617
; %bb.608:                              ;   in Loop: Header=BB6_357 Depth=4
	v_bfrev_b32_e32 v17, 1
	s_mov_b32 s72, exec_lo
	v_cmpx_ne_u16_e32 0x80, v19
	s_cbranch_execz .LBB6_616
; %bb.609:                              ;   in Loop: Header=BB6_357 Depth=4
	v_and_b32_e32 v17, 0x7c0000, v37
	v_bfe_u32 v19, v37, 16, 2
	s_delay_alu instid0(VALU_DEP_2) | instskip(SKIP_1) | instid1(SALU_CYCLE_1)
	v_cmp_ne_u32_e32 vcc_lo, 0x7c0000, v17
                                        ; implicit-def: $vgpr17
	s_and_saveexec_b32 s13, vcc_lo
	s_xor_b32 s13, exec_lo, s13
	s_cbranch_execz .LBB6_613
; %bb.610:                              ;   in Loop: Header=BB6_357 Depth=4
	v_bfe_u32 v17, v37, 18, 5
	s_mov_b32 s73, exec_lo
	s_delay_alu instid0(VALU_DEP_1)
	v_cmpx_eq_u32_e32 0, v17
; %bb.611:                              ;   in Loop: Header=BB6_357 Depth=4
	v_clz_i32_u32_e32 v17, v19
	s_delay_alu instid0(VALU_DEP_1) | instskip(NEXT) | instid1(VALU_DEP_1)
	v_min_u32_e32 v17, 32, v17
	v_subrev_nc_u32_e32 v19, 29, v17
	s_delay_alu instid0(VALU_DEP_1) | instskip(NEXT) | instid1(VALU_DEP_1)
	v_lshlrev_b64_e32 v[54:55], v19, v[16:17]
	v_dual_sub_nc_u32 v17, 30, v17 :: v_dual_bitop2_b32 v19, 3, v54 bitop3:0x40
; %bb.612:                              ;   in Loop: Header=BB6_357 Depth=4
	s_or_b32 exec_lo, exec_lo, s73
	v_lshlrev_b32_e32 v16, 24, v16
	s_delay_alu instid0(VALU_DEP_1) | instskip(NEXT) | instid1(VALU_DEP_1)
	v_and_b32_e32 v16, 0x80000000, v16
	v_lshl_add_u32 v16, v17, 23, v16
	s_delay_alu instid0(VALU_DEP_1) | instskip(NEXT) | instid1(VALU_DEP_1)
	v_lshl_or_b32 v16, v19, 21, v16
                                        ; implicit-def: $vgpr19
	v_add_nc_u32_e32 v17, 0x38000000, v16
                                        ; implicit-def: $vgpr16
.LBB6_613:                              ;   in Loop: Header=BB6_357 Depth=4
	s_and_not1_saveexec_b32 s73, s13
; %bb.614:                              ;   in Loop: Header=BB6_357 Depth=4
	v_bfe_i32 v16, v16, 0, 8
	v_cmp_eq_u32_e32 vcc_lo, 0, v19
	s_delay_alu instid0(VALU_DEP_2) | instskip(SKIP_1) | instid1(VALU_DEP_1)
	v_cmp_lt_i16_e64 s13, -1, v16
	v_mov_b32_e32 v16, 0x7f800000
	v_cndmask_b32_e64 v16, 0xff800000, v16, s13
	s_delay_alu instid0(VALU_DEP_1)
	v_cndmask_b32_e32 v17, 0x7f800001, v16, vcc_lo
; %bb.615:                              ;   in Loop: Header=BB6_357 Depth=4
	s_or_b32 exec_lo, exec_lo, s73
.LBB6_616:                              ;   in Loop: Header=BB6_357 Depth=4
	s_delay_alu instid0(SALU_CYCLE_1)
	s_or_b32 exec_lo, exec_lo, s72
.LBB6_617:                              ;   in Loop: Header=BB6_357 Depth=4
	s_delay_alu instid0(SALU_CYCLE_1) | instskip(NEXT) | instid1(VALU_DEP_1)
	s_or_b32 exec_lo, exec_lo, s63
	v_dual_mul_f32 v16, v18, v17 :: v_dual_mov_b32 v19, v21
                                        ; implicit-def: $vgpr54
	s_mov_b32 s13, exec_lo
	s_delay_alu instid0(VALU_DEP_1) | instskip(SKIP_2) | instid1(VALU_DEP_3)
	v_and_b32_e32 v18, 0x7f800000, v16
	v_and_b32_e32 v20, 0x7fffff, v16
	v_lshrrev_b32_e32 v17, 24, v16
	v_cmpx_ne_u64_e32 0x7f800000, v[18:19]
	s_xor_b32 s63, exec_lo, s13
	s_cbranch_execz .LBB6_631
; %bb.618:                              ;   in Loop: Header=BB6_357 Depth=4
	v_and_b32_e32 v18, 0x7fffffff, v16
	v_mov_b32_e32 v19, v21
	v_and_b32_e32 v55, 0x80, v17
                                        ; implicit-def: $vgpr54
	s_mov_b32 s13, exec_lo
	s_delay_alu instid0(VALU_DEP_2)
	v_cmpx_gt_u64_e32 0x47600001, v[18:19]
	s_xor_b32 s72, exec_lo, s13
	s_cbranch_execz .LBB6_628
; %bb.619:                              ;   in Loop: Header=BB6_357 Depth=4
	v_mov_b32_e32 v54, 0
	s_mov_b32 s73, exec_lo
	v_cmpx_ne_u32_e32 0, v16
	s_cbranch_execz .LBB6_627
; %bb.620:                              ;   in Loop: Header=BB6_357 Depth=4
	v_bfe_u32 v54, v16, 23, 8
	v_or_b32_e32 v17, 0x800000, v20
	s_delay_alu instid0(VALU_DEP_2) | instskip(SKIP_2) | instid1(VALU_DEP_2)
	v_cmp_gt_u32_e64 s13, 0x72, v54
	v_sub_nc_u32_e32 v16, 0x71, v54
	v_cmp_eq_u32_e32 vcc_lo, 0, v54
	v_cndmask_b32_e64 v16, 0, v16, s13
	s_delay_alu instid0(VALU_DEP_1) | instskip(SKIP_1) | instid1(VALU_DEP_2)
	v_cndmask_b32_e64 v64, v16, 0x70, vcc_lo
	v_cndmask_b32_e32 v16, v17, v20, vcc_lo
	v_dual_mov_b32 v17, v21 :: v_dual_add_nc_u32 v18, 21, v64
	v_add_nc_u32_e32 v20, 20, v64
	s_delay_alu instid0(VALU_DEP_2) | instskip(NEXT) | instid1(VALU_DEP_2)
	v_lshlrev_b64_e64 v[18:19], v18, -1
	v_lshlrev_b64_e64 v[66:67], v20, 1
	s_delay_alu instid0(VALU_DEP_2) | instskip(SKIP_1) | instid1(VALU_DEP_4)
	v_bfi_b32 v18, v18, 0, v16
	v_lshrrev_b64 v[16:17], v64, v[16:17]
	v_bfi_b32 v19, v19, 0, 0
	s_delay_alu instid0(VALU_DEP_1) | instskip(NEXT) | instid1(VALU_DEP_3)
	v_cmp_eq_u64_e64 s13, v[18:19], v[66:67]
	v_mov_b64_e32 v[18:19], v[16:17]
	s_and_saveexec_b32 s74, s13
; %bb.621:                              ;   in Loop: Header=BB6_357 Depth=4
	v_bfe_u32 v18, v16, 21, 1
	v_mov_b32_e32 v19, v21
	s_delay_alu instid0(VALU_DEP_1) | instskip(NEXT) | instid1(VALU_DEP_1)
	v_add_nc_u64_e32 v[18:19], v[16:17], v[18:19]
	v_add_nc_u64_e32 v[18:19], -1, v[18:19]
; %bb.622:                              ;   in Loop: Header=BB6_357 Depth=4
	s_or_b32 exec_lo, exec_lo, s74
	v_add_nc_u32_e32 v17, 0xffffff81, v54
	v_lshrrev_b32_e32 v19, 23, v16
	s_mov_b32 s13, exec_lo
	s_delay_alu instid0(VALU_DEP_2) | instskip(NEXT) | instid1(VALU_DEP_1)
	v_cndmask_b32_e64 v17, v17, 0xffffff82, vcc_lo
	v_add3_u32 v54, v64, v17, v19
	v_and_b32_e32 v17, 0x1fffff, v18
                                        ; implicit-def: $vgpr18
	s_delay_alu instid0(VALU_DEP_1) | instskip(NEXT) | instid1(VALU_DEP_1)
	v_dual_add_nc_u32 v19, 14, v54 :: v_dual_add_nc_u32 v20, v17, v16
                                        ; implicit-def: $vgpr16_vgpr17
	v_cmpx_ne_u32_e32 0, v19
	s_xor_b32 s13, exec_lo, s13
; %bb.623:                              ;   in Loop: Header=BB6_357 Depth=4
	s_delay_alu instid0(VALU_DEP_2) | instskip(SKIP_1) | instid1(VALU_DEP_1)
	v_cmp_lt_u64_e32 vcc_lo, 0xffffff, v[20:21]
	v_add_nc_u32_e32 v16, 15, v54
	v_cndmask_b32_e32 v18, v19, v16, vcc_lo
	v_cndmask_b32_e64 v16, 0, 1, vcc_lo
	s_delay_alu instid0(VALU_DEP_1)
	v_lshrrev_b64 v[16:17], v16, v[20:21]
; %bb.624:                              ;   in Loop: Header=BB6_357 Depth=4
	s_and_not1_saveexec_b32 s13, s13
; %bb.625:                              ;   in Loop: Header=BB6_357 Depth=4
	v_mov_b64_e32 v[16:17], v[20:21]
	v_bfe_u32 v18, v20, 23, 1
; %bb.626:                              ;   in Loop: Header=BB6_357 Depth=4
	s_or_b32 exec_lo, exec_lo, s13
	s_delay_alu instid0(VALU_DEP_2) | instskip(NEXT) | instid1(VALU_DEP_2)
	v_lshrrev_b64 v[16:17], 21, v[16:17]
	v_cmp_gt_i32_e32 vcc_lo, 32, v18
	v_min_i32_e32 v19, 31, v18
	v_cmp_eq_u32_e64 s13, 0, v18
	s_delay_alu instid0(VALU_DEP_2) | instskip(SKIP_1) | instid1(VALU_DEP_2)
	v_dual_cndmask_b32 v17, 0, v17, vcc_lo :: v_dual_lshlrev_b32 v19, 2, v19
	v_cndmask_b32_e32 v16, 3, v16, vcc_lo
	v_and_b32_e32 v19, 0xfc, v19
	s_delay_alu instid0(VALU_DEP_2) | instskip(NEXT) | instid1(VALU_DEP_2)
	v_cmp_eq_u64_e32 vcc_lo, 0, v[16:17]
	v_and_or_b32 v16, v16, 3, v19
	s_and_b32 s13, s13, vcc_lo
	s_delay_alu instid0(VALU_DEP_1) | instid1(SALU_CYCLE_1)
	v_cndmask_b32_e64 v16, v16, 0, s13
	s_delay_alu instid0(VALU_DEP_1)
	v_or_b32_e32 v54, v16, v55
.LBB6_627:                              ;   in Loop: Header=BB6_357 Depth=4
	s_or_b32 exec_lo, exec_lo, s73
                                        ; implicit-def: $vgpr55
.LBB6_628:                              ;   in Loop: Header=BB6_357 Depth=4
	s_and_not1_saveexec_b32 s13, s72
; %bb.629:                              ;   in Loop: Header=BB6_357 Depth=4
	v_or_b32_e32 v54, 0x7b, v55
; %bb.630:                              ;   in Loop: Header=BB6_357 Depth=4
	s_or_b32 exec_lo, exec_lo, s13
                                        ; implicit-def: $vgpr16
                                        ; implicit-def: $vgpr17
.LBB6_631:                              ;   in Loop: Header=BB6_357 Depth=4
	s_and_not1_saveexec_b32 s13, s63
	s_cbranch_execz .LBB6_637
; %bb.632:                              ;   in Loop: Header=BB6_357 Depth=4
	s_mov_b32 s63, exec_lo
                                        ; implicit-def: $vgpr54
	v_cmpx_ne_u64_e32 0, v[20:21]
	s_xor_b32 s63, exec_lo, s63
; %bb.633:                              ;   in Loop: Header=BB6_357 Depth=4
	v_or_b32_e32 v54, 0x7f, v17
                                        ; implicit-def: $vgpr16
; %bb.634:                              ;   in Loop: Header=BB6_357 Depth=4
	s_and_not1_saveexec_b32 s63, s63
; %bb.635:                              ;   in Loop: Header=BB6_357 Depth=4
	v_cmp_lt_i32_e32 vcc_lo, -1, v16
	v_mov_b32_e32 v16, 0x7c
	s_delay_alu instid0(VALU_DEP_1)
	v_cndmask_b32_e32 v54, 0xfc, v16, vcc_lo
; %bb.636:                              ;   in Loop: Header=BB6_357 Depth=4
	s_or_b32 exec_lo, exec_lo, s63
.LBB6_637:                              ;   in Loop: Header=BB6_357 Depth=4
	s_delay_alu instid0(SALU_CYCLE_1)
	s_or_b32 exec_lo, exec_lo, s13
	v_dual_mov_b32 v17, 0 :: v_dual_mov_b32 v18, 0
	s_mov_b32 s63, exec_lo
	v_cmpx_lt_u64_e64 s[22:23], v[48:49]
	s_cbranch_execz .LBB6_647
; %bb.638:                              ;   in Loop: Header=BB6_357 Depth=4
	v_lshrrev_b32_e32 v16, 24, v49
	v_bfrev_b32_e32 v18, 1
	s_mov_b32 s72, exec_lo
	s_delay_alu instid0(VALU_DEP_2)
	v_cmpx_ne_u32_e32 0x80, v16
	s_cbranch_execz .LBB6_646
; %bb.639:                              ;   in Loop: Header=BB6_357 Depth=4
	v_and_b32_e32 v18, 0x7c000000, v49
	v_bfe_u32 v19, v49, 24, 2
	s_delay_alu instid0(VALU_DEP_2) | instskip(SKIP_1) | instid1(SALU_CYCLE_1)
	v_cmp_ne_u32_e32 vcc_lo, 0x7c000000, v18
                                        ; implicit-def: $vgpr18
	s_and_saveexec_b32 s13, vcc_lo
	s_xor_b32 s13, exec_lo, s13
	s_cbranch_execz .LBB6_643
; %bb.640:                              ;   in Loop: Header=BB6_357 Depth=4
	v_bfe_u32 v18, v49, 26, 5
	s_mov_b32 s73, exec_lo
	s_delay_alu instid0(VALU_DEP_1)
	v_cmpx_eq_u32_e32 0, v18
; %bb.641:                              ;   in Loop: Header=BB6_357 Depth=4
	v_clz_i32_u32_e32 v18, v19
	s_delay_alu instid0(VALU_DEP_1) | instskip(NEXT) | instid1(VALU_DEP_1)
	v_min_u32_e32 v18, 32, v18
	v_subrev_nc_u32_e32 v19, 29, v18
	s_delay_alu instid0(VALU_DEP_1) | instskip(NEXT) | instid1(VALU_DEP_1)
	v_lshlrev_b64_e32 v[64:65], v19, v[16:17]
	v_dual_sub_nc_u32 v18, 30, v18 :: v_dual_bitop2_b32 v19, 3, v64 bitop3:0x40
; %bb.642:                              ;   in Loop: Header=BB6_357 Depth=4
	s_or_b32 exec_lo, exec_lo, s73
	v_and_b32_e32 v16, 0x80000000, v49
	s_delay_alu instid0(VALU_DEP_1) | instskip(NEXT) | instid1(VALU_DEP_1)
	v_lshl_add_u32 v16, v18, 23, v16
	v_lshl_or_b32 v16, v19, 21, v16
                                        ; implicit-def: $vgpr19
	s_delay_alu instid0(VALU_DEP_1)
	v_add_nc_u32_e32 v18, 0x38000000, v16
.LBB6_643:                              ;   in Loop: Header=BB6_357 Depth=4
	s_and_not1_saveexec_b32 s73, s13
; %bb.644:                              ;   in Loop: Header=BB6_357 Depth=4
	v_cmp_lt_i64_e64 s13, -1, v[48:49]
	v_mov_b32_e32 v16, 0x7f800000
	v_cmp_eq_u32_e32 vcc_lo, 0, v19
	s_delay_alu instid0(VALU_DEP_2) | instskip(NEXT) | instid1(VALU_DEP_1)
	v_cndmask_b32_e64 v16, 0xff800000, v16, s13
	v_cndmask_b32_e32 v18, 0x7f800001, v16, vcc_lo
; %bb.645:                              ;   in Loop: Header=BB6_357 Depth=4
	s_or_b32 exec_lo, exec_lo, s73
.LBB6_646:                              ;   in Loop: Header=BB6_357 Depth=4
	s_delay_alu instid0(SALU_CYCLE_1)
	s_or_b32 exec_lo, exec_lo, s72
.LBB6_647:                              ;   in Loop: Header=BB6_357 Depth=4
	s_delay_alu instid0(SALU_CYCLE_1) | instskip(NEXT) | instid1(SALU_CYCLE_1)
	s_or_b32 exec_lo, exec_lo, s63
	s_mov_b32 s63, exec_lo
	v_cmpx_lt_u64_e64 s[22:23], v[36:37]
	s_cbranch_execz .LBB6_657
; %bb.648:                              ;   in Loop: Header=BB6_357 Depth=4
	v_lshrrev_b32_e32 v16, 24, v37
	v_bfrev_b32_e32 v17, 1
	s_mov_b32 s72, exec_lo
	s_delay_alu instid0(VALU_DEP_2)
	v_cmpx_ne_u32_e32 0x80, v16
	s_cbranch_execz .LBB6_656
; %bb.649:                              ;   in Loop: Header=BB6_357 Depth=4
	v_and_b32_e32 v17, 0x7c000000, v37
	v_bfe_u32 v19, v37, 24, 2
	s_delay_alu instid0(VALU_DEP_2) | instskip(SKIP_1) | instid1(SALU_CYCLE_1)
	v_cmp_ne_u32_e32 vcc_lo, 0x7c000000, v17
                                        ; implicit-def: $vgpr17
	s_and_saveexec_b32 s13, vcc_lo
	s_xor_b32 s13, exec_lo, s13
	s_cbranch_execz .LBB6_653
; %bb.650:                              ;   in Loop: Header=BB6_357 Depth=4
	v_bfe_u32 v17, v37, 26, 5
	s_mov_b32 s73, exec_lo
	s_delay_alu instid0(VALU_DEP_1)
	v_cmpx_eq_u32_e32 0, v17
; %bb.651:                              ;   in Loop: Header=BB6_357 Depth=4
	v_clz_i32_u32_e32 v17, v19
	s_delay_alu instid0(VALU_DEP_1) | instskip(NEXT) | instid1(VALU_DEP_1)
	v_min_u32_e32 v19, 32, v17
	v_subrev_nc_u32_e32 v17, 29, v19
	s_delay_alu instid0(VALU_DEP_1) | instskip(NEXT) | instid1(VALU_DEP_1)
	v_lshlrev_b64_e32 v[16:17], v17, v[16:17]
	v_dual_sub_nc_u32 v17, 30, v19 :: v_dual_bitop2_b32 v19, 3, v16 bitop3:0x40
; %bb.652:                              ;   in Loop: Header=BB6_357 Depth=4
	s_or_b32 exec_lo, exec_lo, s73
	v_and_b32_e32 v16, 0x80000000, v37
	s_delay_alu instid0(VALU_DEP_1) | instskip(NEXT) | instid1(VALU_DEP_1)
	v_lshl_add_u32 v16, v17, 23, v16
	v_lshl_or_b32 v16, v19, 21, v16
                                        ; implicit-def: $vgpr19
	s_delay_alu instid0(VALU_DEP_1)
	v_add_nc_u32_e32 v17, 0x38000000, v16
.LBB6_653:                              ;   in Loop: Header=BB6_357 Depth=4
	s_and_not1_saveexec_b32 s73, s13
; %bb.654:                              ;   in Loop: Header=BB6_357 Depth=4
	v_cmp_lt_i64_e64 s13, -1, v[36:37]
	v_mov_b32_e32 v16, 0x7f800000
	v_cmp_eq_u32_e32 vcc_lo, 0, v19
	s_delay_alu instid0(VALU_DEP_2) | instskip(NEXT) | instid1(VALU_DEP_1)
	v_cndmask_b32_e64 v16, 0xff800000, v16, s13
	v_cndmask_b32_e32 v17, 0x7f800001, v16, vcc_lo
; %bb.655:                              ;   in Loop: Header=BB6_357 Depth=4
	s_or_b32 exec_lo, exec_lo, s73
.LBB6_656:                              ;   in Loop: Header=BB6_357 Depth=4
	s_delay_alu instid0(SALU_CYCLE_1)
	s_or_b32 exec_lo, exec_lo, s72
.LBB6_657:                              ;   in Loop: Header=BB6_357 Depth=4
	s_delay_alu instid0(SALU_CYCLE_1) | instskip(NEXT) | instid1(VALU_DEP_1)
	s_or_b32 exec_lo, exec_lo, s63
	v_dual_mul_f32 v16, v18, v17 :: v_dual_mov_b32 v19, v21
                                        ; implicit-def: $vgpr36
	s_mov_b32 s13, exec_lo
	s_delay_alu instid0(VALU_DEP_1) | instskip(SKIP_2) | instid1(VALU_DEP_3)
	v_and_b32_e32 v18, 0x7f800000, v16
	v_and_b32_e32 v20, 0x7fffff, v16
	v_lshrrev_b32_e32 v17, 24, v16
	v_cmpx_ne_u64_e32 0x7f800000, v[18:19]
	s_xor_b32 s63, exec_lo, s13
	s_cbranch_execz .LBB6_671
; %bb.658:                              ;   in Loop: Header=BB6_357 Depth=4
	v_and_b32_e32 v18, 0x7fffffff, v16
	v_mov_b32_e32 v19, v21
	v_and_b32_e32 v37, 0x80, v17
                                        ; implicit-def: $vgpr36
	s_mov_b32 s13, exec_lo
	s_delay_alu instid0(VALU_DEP_2)
	v_cmpx_gt_u64_e32 0x47600001, v[18:19]
	s_xor_b32 s72, exec_lo, s13
	s_cbranch_execz .LBB6_668
; %bb.659:                              ;   in Loop: Header=BB6_357 Depth=4
	v_mov_b32_e32 v36, 0
	s_mov_b32 s73, exec_lo
	v_cmpx_ne_u32_e32 0, v16
	s_cbranch_execz .LBB6_667
; %bb.660:                              ;   in Loop: Header=BB6_357 Depth=4
	v_bfe_u32 v36, v16, 23, 8
	v_or_b32_e32 v17, 0x800000, v20
	s_delay_alu instid0(VALU_DEP_2) | instskip(SKIP_2) | instid1(VALU_DEP_2)
	v_cmp_gt_u32_e64 s13, 0x72, v36
	v_sub_nc_u32_e32 v16, 0x71, v36
	v_cmp_eq_u32_e32 vcc_lo, 0, v36
	v_cndmask_b32_e64 v16, 0, v16, s13
	s_delay_alu instid0(VALU_DEP_1) | instskip(SKIP_1) | instid1(VALU_DEP_2)
	v_cndmask_b32_e64 v48, v16, 0x70, vcc_lo
	v_cndmask_b32_e32 v16, v17, v20, vcc_lo
	v_dual_mov_b32 v17, v21 :: v_dual_add_nc_u32 v18, 21, v48
	v_add_nc_u32_e32 v20, 20, v48
	s_delay_alu instid0(VALU_DEP_2) | instskip(NEXT) | instid1(VALU_DEP_2)
	v_lshlrev_b64_e64 v[18:19], v18, -1
	v_lshlrev_b64_e64 v[64:65], v20, 1
	s_delay_alu instid0(VALU_DEP_2) | instskip(SKIP_1) | instid1(VALU_DEP_4)
	v_bfi_b32 v18, v18, 0, v16
	v_lshrrev_b64 v[16:17], v48, v[16:17]
	v_bfi_b32 v19, v19, 0, 0
	s_delay_alu instid0(VALU_DEP_1) | instskip(NEXT) | instid1(VALU_DEP_3)
	v_cmp_eq_u64_e64 s13, v[18:19], v[64:65]
	v_mov_b64_e32 v[18:19], v[16:17]
	s_and_saveexec_b32 s74, s13
; %bb.661:                              ;   in Loop: Header=BB6_357 Depth=4
	v_bfe_u32 v18, v16, 21, 1
	v_mov_b32_e32 v19, v21
	s_delay_alu instid0(VALU_DEP_1) | instskip(NEXT) | instid1(VALU_DEP_1)
	v_add_nc_u64_e32 v[18:19], v[16:17], v[18:19]
	v_add_nc_u64_e32 v[18:19], -1, v[18:19]
; %bb.662:                              ;   in Loop: Header=BB6_357 Depth=4
	s_or_b32 exec_lo, exec_lo, s74
	v_add_nc_u32_e32 v17, 0xffffff81, v36
	v_lshrrev_b32_e32 v19, 23, v16
	s_mov_b32 s13, exec_lo
	s_delay_alu instid0(VALU_DEP_2) | instskip(NEXT) | instid1(VALU_DEP_1)
	v_cndmask_b32_e64 v17, v17, 0xffffff82, vcc_lo
	v_add3_u32 v36, v48, v17, v19
	v_and_b32_e32 v17, 0x1fffff, v18
                                        ; implicit-def: $vgpr18
	s_delay_alu instid0(VALU_DEP_2) | instskip(NEXT) | instid1(VALU_DEP_2)
	v_add_nc_u32_e32 v19, 14, v36
	v_add_nc_u32_e32 v20, v17, v16
                                        ; implicit-def: $vgpr16_vgpr17
	s_delay_alu instid0(VALU_DEP_2)
	v_cmpx_ne_u32_e32 0, v19
	s_xor_b32 s13, exec_lo, s13
; %bb.663:                              ;   in Loop: Header=BB6_357 Depth=4
	s_delay_alu instid0(VALU_DEP_2) | instskip(SKIP_1) | instid1(VALU_DEP_1)
	v_cmp_lt_u64_e32 vcc_lo, 0xffffff, v[20:21]
	v_add_nc_u32_e32 v16, 15, v36
	v_cndmask_b32_e32 v18, v19, v16, vcc_lo
	v_cndmask_b32_e64 v16, 0, 1, vcc_lo
	s_delay_alu instid0(VALU_DEP_1)
	v_lshrrev_b64 v[16:17], v16, v[20:21]
; %bb.664:                              ;   in Loop: Header=BB6_357 Depth=4
	s_and_not1_saveexec_b32 s13, s13
; %bb.665:                              ;   in Loop: Header=BB6_357 Depth=4
	v_mov_b64_e32 v[16:17], v[20:21]
	v_bfe_u32 v18, v20, 23, 1
; %bb.666:                              ;   in Loop: Header=BB6_357 Depth=4
	s_or_b32 exec_lo, exec_lo, s13
	s_delay_alu instid0(VALU_DEP_2) | instskip(NEXT) | instid1(VALU_DEP_2)
	v_lshrrev_b64 v[16:17], 21, v[16:17]
	v_cmp_gt_i32_e32 vcc_lo, 32, v18
	v_min_i32_e32 v19, 31, v18
	v_cmp_eq_u32_e64 s13, 0, v18
	s_delay_alu instid0(VALU_DEP_2) | instskip(SKIP_1) | instid1(VALU_DEP_2)
	v_dual_cndmask_b32 v17, 0, v17, vcc_lo :: v_dual_lshlrev_b32 v19, 2, v19
	v_cndmask_b32_e32 v16, 3, v16, vcc_lo
	v_and_b32_e32 v19, 0xfc, v19
	s_delay_alu instid0(VALU_DEP_2) | instskip(NEXT) | instid1(VALU_DEP_2)
	v_cmp_eq_u64_e32 vcc_lo, 0, v[16:17]
	v_and_or_b32 v16, v16, 3, v19
	s_and_b32 s13, s13, vcc_lo
	s_delay_alu instid0(VALU_DEP_1) | instid1(SALU_CYCLE_1)
	v_cndmask_b32_e64 v16, v16, 0, s13
	s_delay_alu instid0(VALU_DEP_1)
	v_or_b32_e32 v36, v16, v37
.LBB6_667:                              ;   in Loop: Header=BB6_357 Depth=4
	s_or_b32 exec_lo, exec_lo, s73
                                        ; implicit-def: $vgpr37
.LBB6_668:                              ;   in Loop: Header=BB6_357 Depth=4
	s_and_not1_saveexec_b32 s13, s72
; %bb.669:                              ;   in Loop: Header=BB6_357 Depth=4
	v_or_b32_e32 v36, 0x7b, v37
; %bb.670:                              ;   in Loop: Header=BB6_357 Depth=4
	s_or_b32 exec_lo, exec_lo, s13
                                        ; implicit-def: $vgpr16
                                        ; implicit-def: $vgpr17
.LBB6_671:                              ;   in Loop: Header=BB6_357 Depth=4
	s_and_not1_saveexec_b32 s13, s63
	s_cbranch_execz .LBB6_677
; %bb.672:                              ;   in Loop: Header=BB6_357 Depth=4
	s_mov_b32 s63, exec_lo
                                        ; implicit-def: $vgpr36
	v_cmpx_ne_u64_e32 0, v[20:21]
	s_xor_b32 s63, exec_lo, s63
; %bb.673:                              ;   in Loop: Header=BB6_357 Depth=4
	v_or_b32_e32 v36, 0x7f, v17
                                        ; implicit-def: $vgpr16
; %bb.674:                              ;   in Loop: Header=BB6_357 Depth=4
	s_and_not1_saveexec_b32 s63, s63
; %bb.675:                              ;   in Loop: Header=BB6_357 Depth=4
	v_cmp_lt_i32_e32 vcc_lo, -1, v16
	v_mov_b32_e32 v16, 0x7c
	s_delay_alu instid0(VALU_DEP_1)
	v_cndmask_b32_e32 v36, 0xfc, v16, vcc_lo
; %bb.676:                              ;   in Loop: Header=BB6_357 Depth=4
	s_or_b32 exec_lo, exec_lo, s63
.LBB6_677:                              ;   in Loop: Header=BB6_357 Depth=4
	s_delay_alu instid0(SALU_CYCLE_1) | instskip(SKIP_2) | instid1(VALU_DEP_2)
	s_or_b32 exec_lo, exec_lo, s13
	v_and_b32_e32 v17, 0xff, v50
	v_mov_b32_e32 v16, 0
	v_cmp_ne_u16_e32 vcc_lo, 0, v17
	v_mov_b32_e32 v17, 0
	s_and_saveexec_b32 s63, vcc_lo
	s_cbranch_execz .LBB6_687
; %bb.678:                              ;   in Loop: Header=BB6_357 Depth=4
	v_bfe_i32 v19, v50, 0, 8
	v_bfrev_b32_e32 v17, 1
	s_mov_b32 s72, exec_lo
	s_delay_alu instid0(VALU_DEP_2)
	v_cmpx_ne_u16_e32 0xff80, v19
	s_cbranch_execz .LBB6_686
; %bb.679:                              ;   in Loop: Header=BB6_357 Depth=4
	v_and_b32_e32 v17, 0x7c, v50
	v_and_b32_e32 v18, 3, v50
	s_delay_alu instid0(VALU_DEP_2) | instskip(SKIP_1) | instid1(SALU_CYCLE_1)
	v_cmp_ne_u32_e32 vcc_lo, 0x7c, v17
                                        ; implicit-def: $vgpr17
	s_and_saveexec_b32 s13, vcc_lo
	s_xor_b32 s13, exec_lo, s13
	s_cbranch_execz .LBB6_683
; %bb.680:                              ;   in Loop: Header=BB6_357 Depth=4
	v_bfe_u32 v17, v50, 2, 5
	s_mov_b32 s73, exec_lo
	s_delay_alu instid0(VALU_DEP_1)
	v_cmpx_eq_u32_e32 0, v17
; %bb.681:                              ;   in Loop: Header=BB6_357 Depth=4
	v_clz_i32_u32_e32 v17, v18
	s_delay_alu instid0(VALU_DEP_1) | instskip(NEXT) | instid1(VALU_DEP_1)
	v_min_u32_e32 v17, 32, v17
	v_subrev_nc_u32_e32 v18, 29, v17
	s_delay_alu instid0(VALU_DEP_1) | instskip(NEXT) | instid1(VALU_DEP_1)
	v_lshlrev_b64_e32 v[18:19], v18, v[50:51]
	v_dual_sub_nc_u32 v17, 30, v17 :: v_dual_bitop2_b32 v18, 3, v18 bitop3:0x40
; %bb.682:                              ;   in Loop: Header=BB6_357 Depth=4
	s_or_b32 exec_lo, exec_lo, s73
	v_lshlrev_b32_e32 v19, 24, v50
	s_delay_alu instid0(VALU_DEP_1) | instskip(NEXT) | instid1(VALU_DEP_1)
	v_and_b32_e32 v19, 0x80000000, v19
	v_lshl_add_u32 v17, v17, 23, v19
                                        ; implicit-def: $vgpr19
	s_delay_alu instid0(VALU_DEP_1) | instskip(NEXT) | instid1(VALU_DEP_1)
	v_lshl_or_b32 v17, v18, 21, v17
                                        ; implicit-def: $vgpr18
	v_add_nc_u32_e32 v17, 0x38000000, v17
.LBB6_683:                              ;   in Loop: Header=BB6_357 Depth=4
	s_and_not1_saveexec_b32 s73, s13
; %bb.684:                              ;   in Loop: Header=BB6_357 Depth=4
	v_cmp_lt_i16_e64 s13, -1, v19
	v_mov_b32_e32 v17, 0x7f800000
	v_cmp_eq_u32_e32 vcc_lo, 0, v18
	s_delay_alu instid0(VALU_DEP_2) | instskip(NEXT) | instid1(VALU_DEP_1)
	v_cndmask_b32_e64 v17, 0xff800000, v17, s13
	v_cndmask_b32_e32 v17, 0x7f800001, v17, vcc_lo
; %bb.685:                              ;   in Loop: Header=BB6_357 Depth=4
	s_or_b32 exec_lo, exec_lo, s73
.LBB6_686:                              ;   in Loop: Header=BB6_357 Depth=4
	s_delay_alu instid0(SALU_CYCLE_1)
	s_or_b32 exec_lo, exec_lo, s72
.LBB6_687:                              ;   in Loop: Header=BB6_357 Depth=4
	s_delay_alu instid0(SALU_CYCLE_1) | instskip(SKIP_2) | instid1(VALU_DEP_1)
	s_or_b32 exec_lo, exec_lo, s63
	v_and_b32_e32 v18, 0xff, v38
	s_mov_b32 s63, exec_lo
	v_cmpx_ne_u16_e32 0, v18
	s_cbranch_execz .LBB6_697
; %bb.688:                              ;   in Loop: Header=BB6_357 Depth=4
	v_bfe_i32 v19, v38, 0, 8
	v_bfrev_b32_e32 v16, 1
	s_mov_b32 s72, exec_lo
	s_delay_alu instid0(VALU_DEP_2)
	v_cmpx_ne_u16_e32 0xff80, v19
	s_cbranch_execz .LBB6_696
; %bb.689:                              ;   in Loop: Header=BB6_357 Depth=4
	v_and_b32_e32 v16, 0x7c, v38
	v_and_b32_e32 v18, 3, v38
	s_delay_alu instid0(VALU_DEP_2) | instskip(SKIP_1) | instid1(SALU_CYCLE_1)
	v_cmp_ne_u32_e32 vcc_lo, 0x7c, v16
                                        ; implicit-def: $vgpr16
	s_and_saveexec_b32 s13, vcc_lo
	s_xor_b32 s13, exec_lo, s13
	s_cbranch_execz .LBB6_693
; %bb.690:                              ;   in Loop: Header=BB6_357 Depth=4
	v_bfe_u32 v16, v38, 2, 5
	s_mov_b32 s73, exec_lo
	s_delay_alu instid0(VALU_DEP_1)
	v_cmpx_eq_u32_e32 0, v16
; %bb.691:                              ;   in Loop: Header=BB6_357 Depth=4
	v_clz_i32_u32_e32 v16, v18
	s_delay_alu instid0(VALU_DEP_1) | instskip(NEXT) | instid1(VALU_DEP_1)
	v_min_u32_e32 v16, 32, v16
	v_subrev_nc_u32_e32 v18, 29, v16
	s_delay_alu instid0(VALU_DEP_1) | instskip(NEXT) | instid1(VALU_DEP_1)
	v_lshlrev_b64_e32 v[18:19], v18, v[38:39]
	v_dual_sub_nc_u32 v16, 30, v16 :: v_dual_bitop2_b32 v18, 3, v18 bitop3:0x40
; %bb.692:                              ;   in Loop: Header=BB6_357 Depth=4
	s_or_b32 exec_lo, exec_lo, s73
	v_lshlrev_b32_e32 v19, 24, v38
	s_delay_alu instid0(VALU_DEP_1) | instskip(NEXT) | instid1(VALU_DEP_1)
	v_and_b32_e32 v19, 0x80000000, v19
	v_lshl_add_u32 v16, v16, 23, v19
                                        ; implicit-def: $vgpr19
	s_delay_alu instid0(VALU_DEP_1) | instskip(NEXT) | instid1(VALU_DEP_1)
	v_lshl_or_b32 v16, v18, 21, v16
                                        ; implicit-def: $vgpr18
	v_add_nc_u32_e32 v16, 0x38000000, v16
.LBB6_693:                              ;   in Loop: Header=BB6_357 Depth=4
	s_and_not1_saveexec_b32 s73, s13
; %bb.694:                              ;   in Loop: Header=BB6_357 Depth=4
	v_cmp_lt_i16_e64 s13, -1, v19
	v_mov_b32_e32 v16, 0x7f800000
	v_cmp_eq_u32_e32 vcc_lo, 0, v18
	s_delay_alu instid0(VALU_DEP_2) | instskip(NEXT) | instid1(VALU_DEP_1)
	v_cndmask_b32_e64 v16, 0xff800000, v16, s13
	v_cndmask_b32_e32 v16, 0x7f800001, v16, vcc_lo
; %bb.695:                              ;   in Loop: Header=BB6_357 Depth=4
	s_or_b32 exec_lo, exec_lo, s73
.LBB6_696:                              ;   in Loop: Header=BB6_357 Depth=4
	s_delay_alu instid0(SALU_CYCLE_1)
	s_or_b32 exec_lo, exec_lo, s72
.LBB6_697:                              ;   in Loop: Header=BB6_357 Depth=4
	s_delay_alu instid0(SALU_CYCLE_1) | instskip(NEXT) | instid1(VALU_DEP_1)
	s_or_b32 exec_lo, exec_lo, s63
	v_mul_f32_e32 v16, v17, v16
	v_mov_b32_e32 v19, v21
                                        ; implicit-def: $vgpr37
	s_mov_b32 s13, exec_lo
	s_delay_alu instid0(VALU_DEP_2) | instskip(SKIP_2) | instid1(VALU_DEP_3)
	v_and_b32_e32 v18, 0x7f800000, v16
	v_and_b32_e32 v20, 0x7fffff, v16
	v_lshrrev_b32_e32 v17, 24, v16
	v_cmpx_ne_u64_e32 0x7f800000, v[18:19]
	s_xor_b32 s63, exec_lo, s13
	s_cbranch_execz .LBB6_711
; %bb.698:                              ;   in Loop: Header=BB6_357 Depth=4
	v_and_b32_e32 v18, 0x7fffffff, v16
	v_mov_b32_e32 v19, v21
	v_and_b32_e32 v48, 0x80, v17
                                        ; implicit-def: $vgpr37
	s_mov_b32 s13, exec_lo
	s_delay_alu instid0(VALU_DEP_2)
	v_cmpx_gt_u64_e32 0x47600001, v[18:19]
	s_xor_b32 s72, exec_lo, s13
	s_cbranch_execz .LBB6_708
; %bb.699:                              ;   in Loop: Header=BB6_357 Depth=4
	v_mov_b32_e32 v37, 0
	s_mov_b32 s73, exec_lo
	v_cmpx_ne_u32_e32 0, v16
	s_cbranch_execz .LBB6_707
; %bb.700:                              ;   in Loop: Header=BB6_357 Depth=4
	v_bfe_u32 v37, v16, 23, 8
	v_or_b32_e32 v17, 0x800000, v20
	s_delay_alu instid0(VALU_DEP_2) | instskip(SKIP_2) | instid1(VALU_DEP_2)
	v_cmp_gt_u32_e64 s13, 0x72, v37
	v_sub_nc_u32_e32 v16, 0x71, v37
	v_cmp_eq_u32_e32 vcc_lo, 0, v37
	v_cndmask_b32_e64 v16, 0, v16, s13
	s_delay_alu instid0(VALU_DEP_1) | instskip(SKIP_1) | instid1(VALU_DEP_2)
	v_cndmask_b32_e64 v49, v16, 0x70, vcc_lo
	v_cndmask_b32_e32 v16, v17, v20, vcc_lo
	v_dual_mov_b32 v17, v21 :: v_dual_add_nc_u32 v18, 21, v49
	v_add_nc_u32_e32 v20, 20, v49
	s_delay_alu instid0(VALU_DEP_2) | instskip(NEXT) | instid1(VALU_DEP_2)
	v_lshlrev_b64_e64 v[18:19], v18, -1
	v_lshlrev_b64_e64 v[64:65], v20, 1
	s_delay_alu instid0(VALU_DEP_2) | instskip(SKIP_1) | instid1(VALU_DEP_4)
	v_bfi_b32 v18, v18, 0, v16
	v_lshrrev_b64 v[16:17], v49, v[16:17]
	v_bfi_b32 v19, v19, 0, 0
	s_delay_alu instid0(VALU_DEP_1) | instskip(NEXT) | instid1(VALU_DEP_3)
	v_cmp_eq_u64_e64 s13, v[18:19], v[64:65]
	v_mov_b64_e32 v[18:19], v[16:17]
	s_and_saveexec_b32 s74, s13
; %bb.701:                              ;   in Loop: Header=BB6_357 Depth=4
	v_bfe_u32 v18, v16, 21, 1
	v_mov_b32_e32 v19, v21
	s_delay_alu instid0(VALU_DEP_1) | instskip(NEXT) | instid1(VALU_DEP_1)
	v_add_nc_u64_e32 v[18:19], v[16:17], v[18:19]
	v_add_nc_u64_e32 v[18:19], -1, v[18:19]
; %bb.702:                              ;   in Loop: Header=BB6_357 Depth=4
	s_or_b32 exec_lo, exec_lo, s74
	v_add_nc_u32_e32 v17, 0xffffff81, v37
	v_lshrrev_b32_e32 v19, 23, v16
	s_mov_b32 s13, exec_lo
	s_delay_alu instid0(VALU_DEP_2) | instskip(NEXT) | instid1(VALU_DEP_1)
	v_cndmask_b32_e64 v17, v17, 0xffffff82, vcc_lo
	v_add3_u32 v37, v49, v17, v19
	v_and_b32_e32 v17, 0x1fffff, v18
                                        ; implicit-def: $vgpr18
	s_delay_alu instid0(VALU_DEP_1) | instskip(NEXT) | instid1(VALU_DEP_1)
	v_dual_add_nc_u32 v19, 14, v37 :: v_dual_add_nc_u32 v20, v17, v16
                                        ; implicit-def: $vgpr16_vgpr17
	v_cmpx_ne_u32_e32 0, v19
	s_xor_b32 s13, exec_lo, s13
; %bb.703:                              ;   in Loop: Header=BB6_357 Depth=4
	s_delay_alu instid0(VALU_DEP_2) | instskip(SKIP_1) | instid1(VALU_DEP_1)
	v_cmp_lt_u64_e32 vcc_lo, 0xffffff, v[20:21]
	v_add_nc_u32_e32 v16, 15, v37
	v_cndmask_b32_e32 v18, v19, v16, vcc_lo
	v_cndmask_b32_e64 v16, 0, 1, vcc_lo
	s_delay_alu instid0(VALU_DEP_1)
	v_lshrrev_b64 v[16:17], v16, v[20:21]
; %bb.704:                              ;   in Loop: Header=BB6_357 Depth=4
	s_and_not1_saveexec_b32 s13, s13
; %bb.705:                              ;   in Loop: Header=BB6_357 Depth=4
	v_mov_b64_e32 v[16:17], v[20:21]
	v_bfe_u32 v18, v20, 23, 1
; %bb.706:                              ;   in Loop: Header=BB6_357 Depth=4
	s_or_b32 exec_lo, exec_lo, s13
	s_delay_alu instid0(VALU_DEP_2) | instskip(NEXT) | instid1(VALU_DEP_2)
	v_lshrrev_b64 v[16:17], 21, v[16:17]
	v_cmp_gt_i32_e32 vcc_lo, 32, v18
	v_min_i32_e32 v19, 31, v18
	v_cmp_eq_u32_e64 s13, 0, v18
	s_delay_alu instid0(VALU_DEP_2) | instskip(SKIP_1) | instid1(VALU_DEP_2)
	v_dual_cndmask_b32 v17, 0, v17, vcc_lo :: v_dual_lshlrev_b32 v19, 2, v19
	v_cndmask_b32_e32 v16, 3, v16, vcc_lo
	v_and_b32_e32 v19, 0xfc, v19
	s_delay_alu instid0(VALU_DEP_2) | instskip(NEXT) | instid1(VALU_DEP_2)
	v_cmp_eq_u64_e32 vcc_lo, 0, v[16:17]
	v_and_or_b32 v16, v16, 3, v19
	s_and_b32 s13, s13, vcc_lo
	s_delay_alu instid0(VALU_DEP_1) | instid1(SALU_CYCLE_1)
	v_cndmask_b32_e64 v16, v16, 0, s13
	s_delay_alu instid0(VALU_DEP_1)
	v_or_b32_e32 v37, v16, v48
.LBB6_707:                              ;   in Loop: Header=BB6_357 Depth=4
	s_or_b32 exec_lo, exec_lo, s73
                                        ; implicit-def: $vgpr48
.LBB6_708:                              ;   in Loop: Header=BB6_357 Depth=4
	s_and_not1_saveexec_b32 s13, s72
; %bb.709:                              ;   in Loop: Header=BB6_357 Depth=4
	v_or_b32_e32 v37, 0x7b, v48
; %bb.710:                              ;   in Loop: Header=BB6_357 Depth=4
	s_or_b32 exec_lo, exec_lo, s13
                                        ; implicit-def: $vgpr16
                                        ; implicit-def: $vgpr17
.LBB6_711:                              ;   in Loop: Header=BB6_357 Depth=4
	s_and_not1_saveexec_b32 s13, s63
	s_cbranch_execz .LBB6_717
; %bb.712:                              ;   in Loop: Header=BB6_357 Depth=4
	s_mov_b32 s63, exec_lo
                                        ; implicit-def: $vgpr37
	v_cmpx_ne_u64_e32 0, v[20:21]
	s_xor_b32 s63, exec_lo, s63
; %bb.713:                              ;   in Loop: Header=BB6_357 Depth=4
	v_or_b32_e32 v37, 0x7f, v17
                                        ; implicit-def: $vgpr16
; %bb.714:                              ;   in Loop: Header=BB6_357 Depth=4
	s_and_not1_saveexec_b32 s63, s63
; %bb.715:                              ;   in Loop: Header=BB6_357 Depth=4
	v_cmp_lt_i32_e32 vcc_lo, -1, v16
	v_mov_b32_e32 v16, 0x7c
	s_delay_alu instid0(VALU_DEP_1)
	v_cndmask_b32_e32 v37, 0xfc, v16, vcc_lo
; %bb.716:                              ;   in Loop: Header=BB6_357 Depth=4
	s_or_b32 exec_lo, exec_lo, s63
.LBB6_717:                              ;   in Loop: Header=BB6_357 Depth=4
	s_delay_alu instid0(SALU_CYCLE_1) | instskip(SKIP_3) | instid1(VALU_DEP_2)
	s_or_b32 exec_lo, exec_lo, s13
	v_lshrrev_b16 v16, 8, v50
	v_dual_mov_b32 v18, 0 :: v_dual_mov_b32 v19, 0
	s_mov_b32 s63, exec_lo
	v_cmpx_ne_u16_e32 0, v16
	s_cbranch_execz .LBB6_727
; %bb.718:                              ;   in Loop: Header=BB6_357 Depth=4
	v_bfrev_b32_e32 v19, 1
	s_mov_b32 s72, exec_lo
	v_cmpx_ne_u16_e32 0x80, v16
	s_cbranch_execz .LBB6_726
; %bb.719:                              ;   in Loop: Header=BB6_357 Depth=4
	v_and_b32_e32 v20, 0xffff, v16
	s_delay_alu instid0(VALU_DEP_1) | instskip(SKIP_1) | instid1(VALU_DEP_2)
	v_and_b32_e32 v19, 0x7c, v20
	v_and_b32_e32 v17, 3, v20
	v_cmp_ne_u32_e32 vcc_lo, 0x7c, v19
                                        ; implicit-def: $vgpr19
	s_and_saveexec_b32 s13, vcc_lo
	s_delay_alu instid0(SALU_CYCLE_1)
	s_xor_b32 s13, exec_lo, s13
	s_cbranch_execz .LBB6_723
; %bb.720:                              ;   in Loop: Header=BB6_357 Depth=4
	v_bfe_u32 v19, v20, 2, 5
	s_mov_b32 s73, exec_lo
	s_delay_alu instid0(VALU_DEP_1)
	v_cmpx_eq_u32_e32 0, v19
	s_cbranch_execz .LBB6_722
; %bb.721:                              ;   in Loop: Header=BB6_357 Depth=4
	v_clz_i32_u32_e32 v17, v17
	s_delay_alu instid0(VALU_DEP_1) | instskip(SKIP_1) | instid1(VALU_DEP_2)
	v_min_u32_e32 v19, 32, v17
	v_mov_b32_e32 v17, v21
	v_subrev_nc_u32_e32 v20, 29, v19
	v_sub_nc_u32_e32 v19, 30, v19
	s_delay_alu instid0(VALU_DEP_2) | instskip(NEXT) | instid1(VALU_DEP_1)
	v_lshlrev_b64_e32 v[16:17], v20, v[16:17]
	v_and_b32_e32 v17, 3, v16
.LBB6_722:                              ;   in Loop: Header=BB6_357 Depth=4
	s_or_b32 exec_lo, exec_lo, s73
	v_lshlrev_b32_e32 v16, 16, v50
	s_delay_alu instid0(VALU_DEP_1) | instskip(NEXT) | instid1(VALU_DEP_1)
	v_and_b32_e32 v16, 0x80000000, v16
	v_lshl_add_u32 v16, v19, 23, v16
	s_delay_alu instid0(VALU_DEP_1) | instskip(NEXT) | instid1(VALU_DEP_1)
	v_lshl_or_b32 v16, v17, 21, v16
                                        ; implicit-def: $vgpr17
	v_add_nc_u32_e32 v19, 0x38000000, v16
.LBB6_723:                              ;   in Loop: Header=BB6_357 Depth=4
	s_and_not1_saveexec_b32 s73, s13
; %bb.724:                              ;   in Loop: Header=BB6_357 Depth=4
	v_cmp_lt_i16_e64 s13, -1, v50
	v_mov_b32_e32 v16, 0x7f800000
	v_cmp_eq_u32_e32 vcc_lo, 0, v17
	s_delay_alu instid0(VALU_DEP_2) | instskip(NEXT) | instid1(VALU_DEP_1)
	v_cndmask_b32_e64 v16, 0xff800000, v16, s13
	v_cndmask_b32_e32 v19, 0x7f800001, v16, vcc_lo
; %bb.725:                              ;   in Loop: Header=BB6_357 Depth=4
	s_or_b32 exec_lo, exec_lo, s73
.LBB6_726:                              ;   in Loop: Header=BB6_357 Depth=4
	s_delay_alu instid0(SALU_CYCLE_1)
	s_or_b32 exec_lo, exec_lo, s72
.LBB6_727:                              ;   in Loop: Header=BB6_357 Depth=4
	s_delay_alu instid0(SALU_CYCLE_1) | instskip(SKIP_2) | instid1(VALU_DEP_1)
	s_or_b32 exec_lo, exec_lo, s63
	v_lshrrev_b16 v16, 8, v38
	s_mov_b32 s63, exec_lo
	v_cmpx_ne_u16_e32 0, v16
	s_cbranch_execz .LBB6_737
; %bb.728:                              ;   in Loop: Header=BB6_357 Depth=4
	v_bfrev_b32_e32 v18, 1
	s_mov_b32 s72, exec_lo
	v_cmpx_ne_u16_e32 0x80, v16
	s_cbranch_execz .LBB6_736
; %bb.729:                              ;   in Loop: Header=BB6_357 Depth=4
	v_and_b32_e32 v20, 0xffff, v16
	s_delay_alu instid0(VALU_DEP_1) | instskip(SKIP_1) | instid1(VALU_DEP_2)
	v_and_b32_e32 v18, 0x7c, v20
	v_and_b32_e32 v17, 3, v20
	v_cmp_ne_u32_e32 vcc_lo, 0x7c, v18
                                        ; implicit-def: $vgpr18
	s_and_saveexec_b32 s13, vcc_lo
	s_delay_alu instid0(SALU_CYCLE_1)
	s_xor_b32 s13, exec_lo, s13
	s_cbranch_execz .LBB6_733
; %bb.730:                              ;   in Loop: Header=BB6_357 Depth=4
	v_bfe_u32 v18, v20, 2, 5
	s_mov_b32 s73, exec_lo
	s_delay_alu instid0(VALU_DEP_1)
	v_cmpx_eq_u32_e32 0, v18
	s_cbranch_execz .LBB6_732
; %bb.731:                              ;   in Loop: Header=BB6_357 Depth=4
	v_clz_i32_u32_e32 v17, v17
	s_delay_alu instid0(VALU_DEP_1) | instskip(SKIP_1) | instid1(VALU_DEP_2)
	v_min_u32_e32 v18, 32, v17
	v_mov_b32_e32 v17, v21
	v_subrev_nc_u32_e32 v20, 29, v18
	v_sub_nc_u32_e32 v18, 30, v18
	s_delay_alu instid0(VALU_DEP_2) | instskip(NEXT) | instid1(VALU_DEP_1)
	v_lshlrev_b64_e32 v[16:17], v20, v[16:17]
	v_and_b32_e32 v17, 3, v16
.LBB6_732:                              ;   in Loop: Header=BB6_357 Depth=4
	s_or_b32 exec_lo, exec_lo, s73
	v_lshlrev_b32_e32 v16, 16, v38
	s_delay_alu instid0(VALU_DEP_1) | instskip(NEXT) | instid1(VALU_DEP_1)
	v_and_b32_e32 v16, 0x80000000, v16
	v_lshl_add_u32 v16, v18, 23, v16
	s_delay_alu instid0(VALU_DEP_1) | instskip(NEXT) | instid1(VALU_DEP_1)
	v_lshl_or_b32 v16, v17, 21, v16
                                        ; implicit-def: $vgpr17
	v_add_nc_u32_e32 v18, 0x38000000, v16
.LBB6_733:                              ;   in Loop: Header=BB6_357 Depth=4
	s_and_not1_saveexec_b32 s73, s13
; %bb.734:                              ;   in Loop: Header=BB6_357 Depth=4
	v_cmp_lt_i16_e64 s13, -1, v38
	v_mov_b32_e32 v16, 0x7f800000
	v_cmp_eq_u32_e32 vcc_lo, 0, v17
	s_delay_alu instid0(VALU_DEP_2) | instskip(NEXT) | instid1(VALU_DEP_1)
	v_cndmask_b32_e64 v16, 0xff800000, v16, s13
	v_cndmask_b32_e32 v18, 0x7f800001, v16, vcc_lo
; %bb.735:                              ;   in Loop: Header=BB6_357 Depth=4
	s_or_b32 exec_lo, exec_lo, s73
.LBB6_736:                              ;   in Loop: Header=BB6_357 Depth=4
	s_delay_alu instid0(SALU_CYCLE_1)
	s_or_b32 exec_lo, exec_lo, s72
.LBB6_737:                              ;   in Loop: Header=BB6_357 Depth=4
	s_delay_alu instid0(SALU_CYCLE_1) | instskip(NEXT) | instid1(VALU_DEP_1)
	s_or_b32 exec_lo, exec_lo, s63
	v_dual_mul_f32 v16, v19, v18 :: v_dual_mov_b32 v19, v21
                                        ; implicit-def: $vgpr48
	s_mov_b32 s13, exec_lo
	s_delay_alu instid0(VALU_DEP_1) | instskip(SKIP_2) | instid1(VALU_DEP_3)
	v_and_b32_e32 v18, 0x7f800000, v16
	v_and_b32_e32 v20, 0x7fffff, v16
	v_lshrrev_b32_e32 v17, 24, v16
	v_cmpx_ne_u64_e32 0x7f800000, v[18:19]
	s_xor_b32 s63, exec_lo, s13
	s_cbranch_execz .LBB6_751
; %bb.738:                              ;   in Loop: Header=BB6_357 Depth=4
	v_and_b32_e32 v18, 0x7fffffff, v16
	v_mov_b32_e32 v19, v21
	v_and_b32_e32 v49, 0x80, v17
                                        ; implicit-def: $vgpr48
	s_mov_b32 s13, exec_lo
	s_delay_alu instid0(VALU_DEP_2)
	v_cmpx_gt_u64_e32 0x47600001, v[18:19]
	s_xor_b32 s72, exec_lo, s13
	s_cbranch_execz .LBB6_748
; %bb.739:                              ;   in Loop: Header=BB6_357 Depth=4
	v_mov_b32_e32 v48, 0
	s_mov_b32 s73, exec_lo
	v_cmpx_ne_u32_e32 0, v16
	s_cbranch_execz .LBB6_747
; %bb.740:                              ;   in Loop: Header=BB6_357 Depth=4
	v_bfe_u32 v48, v16, 23, 8
	v_or_b32_e32 v17, 0x800000, v20
	s_delay_alu instid0(VALU_DEP_2) | instskip(SKIP_2) | instid1(VALU_DEP_2)
	v_cmp_gt_u32_e64 s13, 0x72, v48
	v_sub_nc_u32_e32 v16, 0x71, v48
	v_cmp_eq_u32_e32 vcc_lo, 0, v48
	v_cndmask_b32_e64 v16, 0, v16, s13
	s_delay_alu instid0(VALU_DEP_1) | instskip(SKIP_1) | instid1(VALU_DEP_2)
	v_cndmask_b32_e64 v55, v16, 0x70, vcc_lo
	v_cndmask_b32_e32 v16, v17, v20, vcc_lo
	v_dual_mov_b32 v17, v21 :: v_dual_add_nc_u32 v18, 21, v55
	v_add_nc_u32_e32 v20, 20, v55
	s_delay_alu instid0(VALU_DEP_2) | instskip(NEXT) | instid1(VALU_DEP_2)
	v_lshlrev_b64_e64 v[18:19], v18, -1
	v_lshlrev_b64_e64 v[64:65], v20, 1
	s_delay_alu instid0(VALU_DEP_2) | instskip(SKIP_1) | instid1(VALU_DEP_4)
	v_bfi_b32 v18, v18, 0, v16
	v_lshrrev_b64 v[16:17], v55, v[16:17]
	v_bfi_b32 v19, v19, 0, 0
	s_delay_alu instid0(VALU_DEP_1) | instskip(NEXT) | instid1(VALU_DEP_3)
	v_cmp_eq_u64_e64 s13, v[18:19], v[64:65]
	v_mov_b64_e32 v[18:19], v[16:17]
	s_and_saveexec_b32 s74, s13
; %bb.741:                              ;   in Loop: Header=BB6_357 Depth=4
	v_bfe_u32 v18, v16, 21, 1
	v_mov_b32_e32 v19, v21
	s_delay_alu instid0(VALU_DEP_1) | instskip(NEXT) | instid1(VALU_DEP_1)
	v_add_nc_u64_e32 v[18:19], v[16:17], v[18:19]
	v_add_nc_u64_e32 v[18:19], -1, v[18:19]
; %bb.742:                              ;   in Loop: Header=BB6_357 Depth=4
	s_or_b32 exec_lo, exec_lo, s74
	v_add_nc_u32_e32 v17, 0xffffff81, v48
	v_lshrrev_b32_e32 v19, 23, v16
	s_mov_b32 s13, exec_lo
	s_delay_alu instid0(VALU_DEP_2) | instskip(NEXT) | instid1(VALU_DEP_1)
	v_cndmask_b32_e64 v17, v17, 0xffffff82, vcc_lo
	v_add3_u32 v48, v55, v17, v19
	v_and_b32_e32 v17, 0x1fffff, v18
                                        ; implicit-def: $vgpr18
	s_delay_alu instid0(VALU_DEP_2) | instskip(NEXT) | instid1(VALU_DEP_2)
	v_add_nc_u32_e32 v19, 14, v48
	v_add_nc_u32_e32 v20, v17, v16
                                        ; implicit-def: $vgpr16_vgpr17
	s_delay_alu instid0(VALU_DEP_2)
	v_cmpx_ne_u32_e32 0, v19
	s_xor_b32 s13, exec_lo, s13
; %bb.743:                              ;   in Loop: Header=BB6_357 Depth=4
	s_delay_alu instid0(VALU_DEP_2) | instskip(SKIP_1) | instid1(VALU_DEP_1)
	v_cmp_lt_u64_e32 vcc_lo, 0xffffff, v[20:21]
	v_add_nc_u32_e32 v16, 15, v48
	v_cndmask_b32_e32 v18, v19, v16, vcc_lo
	v_cndmask_b32_e64 v16, 0, 1, vcc_lo
	s_delay_alu instid0(VALU_DEP_1)
	v_lshrrev_b64 v[16:17], v16, v[20:21]
; %bb.744:                              ;   in Loop: Header=BB6_357 Depth=4
	s_and_not1_saveexec_b32 s13, s13
; %bb.745:                              ;   in Loop: Header=BB6_357 Depth=4
	v_mov_b64_e32 v[16:17], v[20:21]
	v_bfe_u32 v18, v20, 23, 1
; %bb.746:                              ;   in Loop: Header=BB6_357 Depth=4
	s_or_b32 exec_lo, exec_lo, s13
	s_delay_alu instid0(VALU_DEP_2) | instskip(NEXT) | instid1(VALU_DEP_2)
	v_lshrrev_b64 v[16:17], 21, v[16:17]
	v_cmp_gt_i32_e32 vcc_lo, 32, v18
	v_min_i32_e32 v19, 31, v18
	v_cmp_eq_u32_e64 s13, 0, v18
	s_delay_alu instid0(VALU_DEP_2) | instskip(SKIP_1) | instid1(VALU_DEP_2)
	v_dual_cndmask_b32 v17, 0, v17, vcc_lo :: v_dual_lshlrev_b32 v19, 2, v19
	v_cndmask_b32_e32 v16, 3, v16, vcc_lo
	v_and_b32_e32 v19, 0xfc, v19
	s_delay_alu instid0(VALU_DEP_2) | instskip(NEXT) | instid1(VALU_DEP_2)
	v_cmp_eq_u64_e32 vcc_lo, 0, v[16:17]
	v_and_or_b32 v16, v16, 3, v19
	s_and_b32 s13, s13, vcc_lo
	s_delay_alu instid0(VALU_DEP_1) | instid1(SALU_CYCLE_1)
	v_cndmask_b32_e64 v16, v16, 0, s13
	s_delay_alu instid0(VALU_DEP_1)
	v_or_b32_e32 v48, v16, v49
.LBB6_747:                              ;   in Loop: Header=BB6_357 Depth=4
	s_or_b32 exec_lo, exec_lo, s73
                                        ; implicit-def: $vgpr49
.LBB6_748:                              ;   in Loop: Header=BB6_357 Depth=4
	s_and_not1_saveexec_b32 s13, s72
; %bb.749:                              ;   in Loop: Header=BB6_357 Depth=4
	v_or_b32_e32 v48, 0x7b, v49
; %bb.750:                              ;   in Loop: Header=BB6_357 Depth=4
	s_or_b32 exec_lo, exec_lo, s13
                                        ; implicit-def: $vgpr16
                                        ; implicit-def: $vgpr17
.LBB6_751:                              ;   in Loop: Header=BB6_357 Depth=4
	s_and_not1_saveexec_b32 s13, s63
	s_cbranch_execz .LBB6_757
; %bb.752:                              ;   in Loop: Header=BB6_357 Depth=4
	s_mov_b32 s63, exec_lo
                                        ; implicit-def: $vgpr48
	v_cmpx_ne_u64_e32 0, v[20:21]
	s_xor_b32 s63, exec_lo, s63
; %bb.753:                              ;   in Loop: Header=BB6_357 Depth=4
	v_or_b32_e32 v48, 0x7f, v17
                                        ; implicit-def: $vgpr16
; %bb.754:                              ;   in Loop: Header=BB6_357 Depth=4
	s_and_not1_saveexec_b32 s63, s63
; %bb.755:                              ;   in Loop: Header=BB6_357 Depth=4
	v_cmp_lt_i32_e32 vcc_lo, -1, v16
	v_mov_b32_e32 v16, 0x7c
	s_delay_alu instid0(VALU_DEP_1)
	v_cndmask_b32_e32 v48, 0xfc, v16, vcc_lo
; %bb.756:                              ;   in Loop: Header=BB6_357 Depth=4
	s_or_b32 exec_lo, exec_lo, s63
.LBB6_757:                              ;   in Loop: Header=BB6_357 Depth=4
	s_delay_alu instid0(SALU_CYCLE_1) | instskip(SKIP_3) | instid1(VALU_DEP_2)
	s_or_b32 exec_lo, exec_lo, s13
	v_dual_mov_b32 v17, 0 :: v_dual_lshrrev_b32 v16, 16, v50
	v_mov_b32_e32 v18, 0
	s_mov_b32 s63, exec_lo
	v_and_b32_e32 v19, 0xff, v16
	s_delay_alu instid0(VALU_DEP_1)
	v_cmpx_ne_u16_e32 0, v19
	s_cbranch_execz .LBB6_767
; %bb.758:                              ;   in Loop: Header=BB6_357 Depth=4
	v_bfrev_b32_e32 v18, 1
	s_mov_b32 s72, exec_lo
	v_cmpx_ne_u16_e32 0x80, v19
	s_cbranch_execz .LBB6_766
; %bb.759:                              ;   in Loop: Header=BB6_357 Depth=4
	v_and_b32_e32 v18, 0x7c0000, v50
	v_bfe_u32 v19, v50, 16, 2
	s_delay_alu instid0(VALU_DEP_2) | instskip(SKIP_1) | instid1(SALU_CYCLE_1)
	v_cmp_ne_u32_e32 vcc_lo, 0x7c0000, v18
                                        ; implicit-def: $vgpr18
	s_and_saveexec_b32 s13, vcc_lo
	s_xor_b32 s13, exec_lo, s13
	s_cbranch_execz .LBB6_763
; %bb.760:                              ;   in Loop: Header=BB6_357 Depth=4
	v_bfe_u32 v18, v50, 18, 5
	s_mov_b32 s73, exec_lo
	s_delay_alu instid0(VALU_DEP_1)
	v_cmpx_eq_u32_e32 0, v18
; %bb.761:                              ;   in Loop: Header=BB6_357 Depth=4
	v_clz_i32_u32_e32 v18, v19
	s_delay_alu instid0(VALU_DEP_1) | instskip(NEXT) | instid1(VALU_DEP_1)
	v_min_u32_e32 v18, 32, v18
	v_subrev_nc_u32_e32 v19, 29, v18
	s_delay_alu instid0(VALU_DEP_1) | instskip(NEXT) | instid1(VALU_DEP_1)
	v_lshlrev_b64_e32 v[64:65], v19, v[16:17]
	v_dual_sub_nc_u32 v18, 30, v18 :: v_dual_bitop2_b32 v19, 3, v64 bitop3:0x40
; %bb.762:                              ;   in Loop: Header=BB6_357 Depth=4
	s_or_b32 exec_lo, exec_lo, s73
	v_lshlrev_b32_e32 v16, 24, v16
	s_delay_alu instid0(VALU_DEP_1) | instskip(NEXT) | instid1(VALU_DEP_1)
	v_and_b32_e32 v16, 0x80000000, v16
	v_lshl_add_u32 v16, v18, 23, v16
	s_delay_alu instid0(VALU_DEP_1) | instskip(NEXT) | instid1(VALU_DEP_1)
	v_lshl_or_b32 v16, v19, 21, v16
                                        ; implicit-def: $vgpr19
	v_add_nc_u32_e32 v18, 0x38000000, v16
                                        ; implicit-def: $vgpr16
.LBB6_763:                              ;   in Loop: Header=BB6_357 Depth=4
	s_and_not1_saveexec_b32 s73, s13
; %bb.764:                              ;   in Loop: Header=BB6_357 Depth=4
	v_bfe_i32 v16, v16, 0, 8
	v_cmp_eq_u32_e32 vcc_lo, 0, v19
	s_delay_alu instid0(VALU_DEP_2) | instskip(SKIP_1) | instid1(VALU_DEP_1)
	v_cmp_lt_i16_e64 s13, -1, v16
	v_mov_b32_e32 v16, 0x7f800000
	v_cndmask_b32_e64 v16, 0xff800000, v16, s13
	s_delay_alu instid0(VALU_DEP_1)
	v_cndmask_b32_e32 v18, 0x7f800001, v16, vcc_lo
; %bb.765:                              ;   in Loop: Header=BB6_357 Depth=4
	s_or_b32 exec_lo, exec_lo, s73
.LBB6_766:                              ;   in Loop: Header=BB6_357 Depth=4
	s_delay_alu instid0(SALU_CYCLE_1)
	s_or_b32 exec_lo, exec_lo, s72
.LBB6_767:                              ;   in Loop: Header=BB6_357 Depth=4
	s_delay_alu instid0(SALU_CYCLE_1) | instskip(SKIP_2) | instid1(VALU_DEP_1)
	s_or_b32 exec_lo, exec_lo, s63
	v_lshrrev_b32_e32 v16, 16, v38
	s_mov_b32 s63, exec_lo
	v_and_b32_e32 v19, 0xff, v16
	s_delay_alu instid0(VALU_DEP_1)
	v_cmpx_ne_u16_e32 0, v19
	s_cbranch_execz .LBB6_777
; %bb.768:                              ;   in Loop: Header=BB6_357 Depth=4
	v_bfrev_b32_e32 v17, 1
	s_mov_b32 s72, exec_lo
	v_cmpx_ne_u16_e32 0x80, v19
	s_cbranch_execz .LBB6_776
; %bb.769:                              ;   in Loop: Header=BB6_357 Depth=4
	v_and_b32_e32 v17, 0x7c0000, v38
	v_bfe_u32 v19, v38, 16, 2
	s_delay_alu instid0(VALU_DEP_2) | instskip(SKIP_1) | instid1(SALU_CYCLE_1)
	v_cmp_ne_u32_e32 vcc_lo, 0x7c0000, v17
                                        ; implicit-def: $vgpr17
	s_and_saveexec_b32 s13, vcc_lo
	s_xor_b32 s13, exec_lo, s13
	s_cbranch_execz .LBB6_773
; %bb.770:                              ;   in Loop: Header=BB6_357 Depth=4
	v_bfe_u32 v17, v38, 18, 5
	s_mov_b32 s73, exec_lo
	s_delay_alu instid0(VALU_DEP_1)
	v_cmpx_eq_u32_e32 0, v17
; %bb.771:                              ;   in Loop: Header=BB6_357 Depth=4
	v_clz_i32_u32_e32 v17, v19
	s_delay_alu instid0(VALU_DEP_1) | instskip(NEXT) | instid1(VALU_DEP_1)
	v_min_u32_e32 v17, 32, v17
	v_subrev_nc_u32_e32 v19, 29, v17
	s_delay_alu instid0(VALU_DEP_1) | instskip(NEXT) | instid1(VALU_DEP_1)
	v_lshlrev_b64_e32 v[64:65], v19, v[16:17]
	v_dual_sub_nc_u32 v17, 30, v17 :: v_dual_bitop2_b32 v19, 3, v64 bitop3:0x40
; %bb.772:                              ;   in Loop: Header=BB6_357 Depth=4
	s_or_b32 exec_lo, exec_lo, s73
	v_lshlrev_b32_e32 v16, 24, v16
	s_delay_alu instid0(VALU_DEP_1) | instskip(NEXT) | instid1(VALU_DEP_1)
	v_and_b32_e32 v16, 0x80000000, v16
	v_lshl_add_u32 v16, v17, 23, v16
	s_delay_alu instid0(VALU_DEP_1) | instskip(NEXT) | instid1(VALU_DEP_1)
	v_lshl_or_b32 v16, v19, 21, v16
                                        ; implicit-def: $vgpr19
	v_add_nc_u32_e32 v17, 0x38000000, v16
                                        ; implicit-def: $vgpr16
.LBB6_773:                              ;   in Loop: Header=BB6_357 Depth=4
	s_and_not1_saveexec_b32 s73, s13
; %bb.774:                              ;   in Loop: Header=BB6_357 Depth=4
	v_bfe_i32 v16, v16, 0, 8
	v_cmp_eq_u32_e32 vcc_lo, 0, v19
	s_delay_alu instid0(VALU_DEP_2) | instskip(SKIP_1) | instid1(VALU_DEP_1)
	v_cmp_lt_i16_e64 s13, -1, v16
	v_mov_b32_e32 v16, 0x7f800000
	v_cndmask_b32_e64 v16, 0xff800000, v16, s13
	s_delay_alu instid0(VALU_DEP_1)
	v_cndmask_b32_e32 v17, 0x7f800001, v16, vcc_lo
; %bb.775:                              ;   in Loop: Header=BB6_357 Depth=4
	s_or_b32 exec_lo, exec_lo, s73
.LBB6_776:                              ;   in Loop: Header=BB6_357 Depth=4
	s_delay_alu instid0(SALU_CYCLE_1)
	s_or_b32 exec_lo, exec_lo, s72
.LBB6_777:                              ;   in Loop: Header=BB6_357 Depth=4
	s_delay_alu instid0(SALU_CYCLE_1) | instskip(NEXT) | instid1(VALU_DEP_1)
	s_or_b32 exec_lo, exec_lo, s63
	v_dual_mul_f32 v16, v18, v17 :: v_dual_mov_b32 v19, v21
                                        ; implicit-def: $vgpr49
	s_mov_b32 s13, exec_lo
	s_delay_alu instid0(VALU_DEP_1) | instskip(SKIP_2) | instid1(VALU_DEP_3)
	v_and_b32_e32 v18, 0x7f800000, v16
	v_and_b32_e32 v20, 0x7fffff, v16
	v_lshrrev_b32_e32 v17, 24, v16
	v_cmpx_ne_u64_e32 0x7f800000, v[18:19]
	s_xor_b32 s63, exec_lo, s13
	s_cbranch_execz .LBB6_791
; %bb.778:                              ;   in Loop: Header=BB6_357 Depth=4
	v_and_b32_e32 v18, 0x7fffffff, v16
	v_mov_b32_e32 v19, v21
	v_and_b32_e32 v55, 0x80, v17
                                        ; implicit-def: $vgpr49
	s_mov_b32 s13, exec_lo
	s_delay_alu instid0(VALU_DEP_2)
	v_cmpx_gt_u64_e32 0x47600001, v[18:19]
	s_xor_b32 s72, exec_lo, s13
	s_cbranch_execz .LBB6_788
; %bb.779:                              ;   in Loop: Header=BB6_357 Depth=4
	v_mov_b32_e32 v49, 0
	s_mov_b32 s73, exec_lo
	v_cmpx_ne_u32_e32 0, v16
	s_cbranch_execz .LBB6_787
; %bb.780:                              ;   in Loop: Header=BB6_357 Depth=4
	v_bfe_u32 v49, v16, 23, 8
	v_or_b32_e32 v17, 0x800000, v20
	s_delay_alu instid0(VALU_DEP_2) | instskip(SKIP_2) | instid1(VALU_DEP_2)
	v_cmp_gt_u32_e64 s13, 0x72, v49
	v_sub_nc_u32_e32 v16, 0x71, v49
	v_cmp_eq_u32_e32 vcc_lo, 0, v49
	v_cndmask_b32_e64 v16, 0, v16, s13
	s_delay_alu instid0(VALU_DEP_1) | instskip(SKIP_1) | instid1(VALU_DEP_2)
	v_cndmask_b32_e64 v64, v16, 0x70, vcc_lo
	v_cndmask_b32_e32 v16, v17, v20, vcc_lo
	v_dual_mov_b32 v17, v21 :: v_dual_add_nc_u32 v18, 21, v64
	v_add_nc_u32_e32 v20, 20, v64
	s_delay_alu instid0(VALU_DEP_2) | instskip(NEXT) | instid1(VALU_DEP_2)
	v_lshlrev_b64_e64 v[18:19], v18, -1
	v_lshlrev_b64_e64 v[66:67], v20, 1
	s_delay_alu instid0(VALU_DEP_2) | instskip(SKIP_1) | instid1(VALU_DEP_4)
	v_bfi_b32 v18, v18, 0, v16
	v_lshrrev_b64 v[16:17], v64, v[16:17]
	v_bfi_b32 v19, v19, 0, 0
	s_delay_alu instid0(VALU_DEP_1) | instskip(NEXT) | instid1(VALU_DEP_3)
	v_cmp_eq_u64_e64 s13, v[18:19], v[66:67]
	v_mov_b64_e32 v[18:19], v[16:17]
	s_and_saveexec_b32 s74, s13
; %bb.781:                              ;   in Loop: Header=BB6_357 Depth=4
	v_bfe_u32 v18, v16, 21, 1
	v_mov_b32_e32 v19, v21
	s_delay_alu instid0(VALU_DEP_1) | instskip(NEXT) | instid1(VALU_DEP_1)
	v_add_nc_u64_e32 v[18:19], v[16:17], v[18:19]
	v_add_nc_u64_e32 v[18:19], -1, v[18:19]
; %bb.782:                              ;   in Loop: Header=BB6_357 Depth=4
	s_or_b32 exec_lo, exec_lo, s74
	v_add_nc_u32_e32 v17, 0xffffff81, v49
	v_lshrrev_b32_e32 v19, 23, v16
	s_mov_b32 s13, exec_lo
	s_delay_alu instid0(VALU_DEP_2) | instskip(NEXT) | instid1(VALU_DEP_1)
	v_cndmask_b32_e64 v17, v17, 0xffffff82, vcc_lo
	v_add3_u32 v49, v64, v17, v19
	v_and_b32_e32 v17, 0x1fffff, v18
                                        ; implicit-def: $vgpr18
	s_delay_alu instid0(VALU_DEP_1) | instskip(NEXT) | instid1(VALU_DEP_1)
	v_dual_add_nc_u32 v19, 14, v49 :: v_dual_add_nc_u32 v20, v17, v16
                                        ; implicit-def: $vgpr16_vgpr17
	v_cmpx_ne_u32_e32 0, v19
	s_xor_b32 s13, exec_lo, s13
; %bb.783:                              ;   in Loop: Header=BB6_357 Depth=4
	s_delay_alu instid0(VALU_DEP_2) | instskip(SKIP_1) | instid1(VALU_DEP_1)
	v_cmp_lt_u64_e32 vcc_lo, 0xffffff, v[20:21]
	v_add_nc_u32_e32 v16, 15, v49
	v_cndmask_b32_e32 v18, v19, v16, vcc_lo
	v_cndmask_b32_e64 v16, 0, 1, vcc_lo
	s_delay_alu instid0(VALU_DEP_1)
	v_lshrrev_b64 v[16:17], v16, v[20:21]
; %bb.784:                              ;   in Loop: Header=BB6_357 Depth=4
	s_and_not1_saveexec_b32 s13, s13
; %bb.785:                              ;   in Loop: Header=BB6_357 Depth=4
	v_mov_b64_e32 v[16:17], v[20:21]
	v_bfe_u32 v18, v20, 23, 1
; %bb.786:                              ;   in Loop: Header=BB6_357 Depth=4
	s_or_b32 exec_lo, exec_lo, s13
	s_delay_alu instid0(VALU_DEP_2) | instskip(NEXT) | instid1(VALU_DEP_2)
	v_lshrrev_b64 v[16:17], 21, v[16:17]
	v_cmp_gt_i32_e32 vcc_lo, 32, v18
	v_min_i32_e32 v19, 31, v18
	v_cmp_eq_u32_e64 s13, 0, v18
	s_delay_alu instid0(VALU_DEP_2) | instskip(SKIP_1) | instid1(VALU_DEP_2)
	v_dual_cndmask_b32 v17, 0, v17, vcc_lo :: v_dual_lshlrev_b32 v19, 2, v19
	v_cndmask_b32_e32 v16, 3, v16, vcc_lo
	v_and_b32_e32 v19, 0xfc, v19
	s_delay_alu instid0(VALU_DEP_2) | instskip(NEXT) | instid1(VALU_DEP_2)
	v_cmp_eq_u64_e32 vcc_lo, 0, v[16:17]
	v_and_or_b32 v16, v16, 3, v19
	s_and_b32 s13, s13, vcc_lo
	s_delay_alu instid0(VALU_DEP_1) | instid1(SALU_CYCLE_1)
	v_cndmask_b32_e64 v16, v16, 0, s13
	s_delay_alu instid0(VALU_DEP_1)
	v_or_b32_e32 v49, v16, v55
.LBB6_787:                              ;   in Loop: Header=BB6_357 Depth=4
	s_or_b32 exec_lo, exec_lo, s73
                                        ; implicit-def: $vgpr55
.LBB6_788:                              ;   in Loop: Header=BB6_357 Depth=4
	s_and_not1_saveexec_b32 s13, s72
; %bb.789:                              ;   in Loop: Header=BB6_357 Depth=4
	v_or_b32_e32 v49, 0x7b, v55
; %bb.790:                              ;   in Loop: Header=BB6_357 Depth=4
	s_or_b32 exec_lo, exec_lo, s13
                                        ; implicit-def: $vgpr16
                                        ; implicit-def: $vgpr17
.LBB6_791:                              ;   in Loop: Header=BB6_357 Depth=4
	s_and_not1_saveexec_b32 s13, s63
	s_cbranch_execz .LBB6_797
; %bb.792:                              ;   in Loop: Header=BB6_357 Depth=4
	s_mov_b32 s63, exec_lo
                                        ; implicit-def: $vgpr49
	v_cmpx_ne_u64_e32 0, v[20:21]
	s_xor_b32 s63, exec_lo, s63
; %bb.793:                              ;   in Loop: Header=BB6_357 Depth=4
	v_or_b32_e32 v49, 0x7f, v17
                                        ; implicit-def: $vgpr16
; %bb.794:                              ;   in Loop: Header=BB6_357 Depth=4
	s_and_not1_saveexec_b32 s63, s63
; %bb.795:                              ;   in Loop: Header=BB6_357 Depth=4
	v_cmp_lt_i32_e32 vcc_lo, -1, v16
	v_mov_b32_e32 v16, 0x7c
	s_delay_alu instid0(VALU_DEP_1)
	v_cndmask_b32_e32 v49, 0xfc, v16, vcc_lo
; %bb.796:                              ;   in Loop: Header=BB6_357 Depth=4
	s_or_b32 exec_lo, exec_lo, s63
.LBB6_797:                              ;   in Loop: Header=BB6_357 Depth=4
	s_delay_alu instid0(SALU_CYCLE_1)
	s_or_b32 exec_lo, exec_lo, s13
	v_dual_mov_b32 v17, 0 :: v_dual_mov_b32 v18, 0
	s_mov_b32 s63, exec_lo
	v_cmpx_lt_u32_e32 0xffffff, v50
	s_cbranch_execz .LBB6_807
; %bb.798:                              ;   in Loop: Header=BB6_357 Depth=4
	v_lshrrev_b32_e32 v16, 24, v50
	v_bfrev_b32_e32 v18, 1
	s_mov_b32 s72, exec_lo
	s_delay_alu instid0(VALU_DEP_2)
	v_cmpx_ne_u32_e32 0x80, v16
	s_cbranch_execz .LBB6_806
; %bb.799:                              ;   in Loop: Header=BB6_357 Depth=4
	v_and_b32_e32 v18, 0x7c000000, v50
	v_bfe_u32 v19, v50, 24, 2
	s_delay_alu instid0(VALU_DEP_2) | instskip(SKIP_1) | instid1(SALU_CYCLE_1)
	v_cmp_ne_u32_e32 vcc_lo, 0x7c000000, v18
                                        ; implicit-def: $vgpr18
	s_and_saveexec_b32 s13, vcc_lo
	s_xor_b32 s13, exec_lo, s13
	s_cbranch_execz .LBB6_803
; %bb.800:                              ;   in Loop: Header=BB6_357 Depth=4
	v_bfe_u32 v18, v50, 26, 5
	s_mov_b32 s73, exec_lo
	s_delay_alu instid0(VALU_DEP_1)
	v_cmpx_eq_u32_e32 0, v18
; %bb.801:                              ;   in Loop: Header=BB6_357 Depth=4
	v_clz_i32_u32_e32 v18, v19
	s_delay_alu instid0(VALU_DEP_1) | instskip(NEXT) | instid1(VALU_DEP_1)
	v_min_u32_e32 v18, 32, v18
	v_subrev_nc_u32_e32 v19, 29, v18
	s_delay_alu instid0(VALU_DEP_1) | instskip(NEXT) | instid1(VALU_DEP_1)
	v_lshlrev_b64_e32 v[64:65], v19, v[16:17]
	v_dual_sub_nc_u32 v18, 30, v18 :: v_dual_bitop2_b32 v19, 3, v64 bitop3:0x40
; %bb.802:                              ;   in Loop: Header=BB6_357 Depth=4
	s_or_b32 exec_lo, exec_lo, s73
	v_and_b32_e32 v16, 0x80000000, v50
	s_delay_alu instid0(VALU_DEP_1) | instskip(NEXT) | instid1(VALU_DEP_1)
	v_lshl_add_u32 v16, v18, 23, v16
	v_lshl_or_b32 v16, v19, 21, v16
                                        ; implicit-def: $vgpr19
	s_delay_alu instid0(VALU_DEP_1)
	v_add_nc_u32_e32 v18, 0x38000000, v16
.LBB6_803:                              ;   in Loop: Header=BB6_357 Depth=4
	s_and_not1_saveexec_b32 s73, s13
; %bb.804:                              ;   in Loop: Header=BB6_357 Depth=4
	v_cmp_lt_i32_e64 s13, -1, v50
	v_mov_b32_e32 v16, 0x7f800000
	v_cmp_eq_u32_e32 vcc_lo, 0, v19
	s_delay_alu instid0(VALU_DEP_2) | instskip(NEXT) | instid1(VALU_DEP_1)
	v_cndmask_b32_e64 v16, 0xff800000, v16, s13
	v_cndmask_b32_e32 v18, 0x7f800001, v16, vcc_lo
; %bb.805:                              ;   in Loop: Header=BB6_357 Depth=4
	s_or_b32 exec_lo, exec_lo, s73
.LBB6_806:                              ;   in Loop: Header=BB6_357 Depth=4
	s_delay_alu instid0(SALU_CYCLE_1)
	s_or_b32 exec_lo, exec_lo, s72
.LBB6_807:                              ;   in Loop: Header=BB6_357 Depth=4
	s_delay_alu instid0(SALU_CYCLE_1) | instskip(NEXT) | instid1(SALU_CYCLE_1)
	s_or_b32 exec_lo, exec_lo, s63
	s_mov_b32 s63, exec_lo
	v_cmpx_lt_u32_e32 0xffffff, v38
	s_cbranch_execz .LBB6_817
; %bb.808:                              ;   in Loop: Header=BB6_357 Depth=4
	v_lshrrev_b32_e32 v16, 24, v38
	v_bfrev_b32_e32 v17, 1
	s_mov_b32 s72, exec_lo
	s_delay_alu instid0(VALU_DEP_2)
	v_cmpx_ne_u32_e32 0x80, v16
	s_cbranch_execz .LBB6_816
; %bb.809:                              ;   in Loop: Header=BB6_357 Depth=4
	v_and_b32_e32 v17, 0x7c000000, v38
	v_bfe_u32 v19, v38, 24, 2
	s_delay_alu instid0(VALU_DEP_2) | instskip(SKIP_1) | instid1(SALU_CYCLE_1)
	v_cmp_ne_u32_e32 vcc_lo, 0x7c000000, v17
                                        ; implicit-def: $vgpr17
	s_and_saveexec_b32 s13, vcc_lo
	s_xor_b32 s13, exec_lo, s13
	s_cbranch_execz .LBB6_813
; %bb.810:                              ;   in Loop: Header=BB6_357 Depth=4
	v_bfe_u32 v17, v38, 26, 5
	s_mov_b32 s73, exec_lo
	s_delay_alu instid0(VALU_DEP_1)
	v_cmpx_eq_u32_e32 0, v17
; %bb.811:                              ;   in Loop: Header=BB6_357 Depth=4
	v_clz_i32_u32_e32 v17, v19
	s_delay_alu instid0(VALU_DEP_1) | instskip(NEXT) | instid1(VALU_DEP_1)
	v_min_u32_e32 v19, 32, v17
	v_subrev_nc_u32_e32 v17, 29, v19
	s_delay_alu instid0(VALU_DEP_1) | instskip(NEXT) | instid1(VALU_DEP_1)
	v_lshlrev_b64_e32 v[16:17], v17, v[16:17]
	v_dual_sub_nc_u32 v17, 30, v19 :: v_dual_bitop2_b32 v19, 3, v16 bitop3:0x40
; %bb.812:                              ;   in Loop: Header=BB6_357 Depth=4
	s_or_b32 exec_lo, exec_lo, s73
	v_and_b32_e32 v16, 0x80000000, v38
	s_delay_alu instid0(VALU_DEP_1) | instskip(NEXT) | instid1(VALU_DEP_1)
	v_lshl_add_u32 v16, v17, 23, v16
	v_lshl_or_b32 v16, v19, 21, v16
                                        ; implicit-def: $vgpr19
	s_delay_alu instid0(VALU_DEP_1)
	v_add_nc_u32_e32 v17, 0x38000000, v16
.LBB6_813:                              ;   in Loop: Header=BB6_357 Depth=4
	s_and_not1_saveexec_b32 s73, s13
; %bb.814:                              ;   in Loop: Header=BB6_357 Depth=4
	v_cmp_lt_i32_e64 s13, -1, v38
	v_mov_b32_e32 v16, 0x7f800000
	v_cmp_eq_u32_e32 vcc_lo, 0, v19
	s_delay_alu instid0(VALU_DEP_2) | instskip(NEXT) | instid1(VALU_DEP_1)
	v_cndmask_b32_e64 v16, 0xff800000, v16, s13
	v_cndmask_b32_e32 v17, 0x7f800001, v16, vcc_lo
; %bb.815:                              ;   in Loop: Header=BB6_357 Depth=4
	s_or_b32 exec_lo, exec_lo, s73
.LBB6_816:                              ;   in Loop: Header=BB6_357 Depth=4
	s_delay_alu instid0(SALU_CYCLE_1)
	s_or_b32 exec_lo, exec_lo, s72
.LBB6_817:                              ;   in Loop: Header=BB6_357 Depth=4
	s_delay_alu instid0(SALU_CYCLE_1) | instskip(NEXT) | instid1(VALU_DEP_1)
	s_or_b32 exec_lo, exec_lo, s63
	v_dual_mul_f32 v16, v18, v17 :: v_dual_mov_b32 v19, v21
                                        ; implicit-def: $vgpr55
	s_mov_b32 s13, exec_lo
	s_delay_alu instid0(VALU_DEP_1) | instskip(SKIP_2) | instid1(VALU_DEP_3)
	v_and_b32_e32 v18, 0x7f800000, v16
	v_and_b32_e32 v20, 0x7fffff, v16
	v_lshrrev_b32_e32 v17, 24, v16
	v_cmpx_ne_u64_e32 0x7f800000, v[18:19]
	s_xor_b32 s63, exec_lo, s13
	s_cbranch_execz .LBB6_831
; %bb.818:                              ;   in Loop: Header=BB6_357 Depth=4
	v_and_b32_e32 v18, 0x7fffffff, v16
	v_mov_b32_e32 v19, v21
	v_and_b32_e32 v64, 0x80, v17
                                        ; implicit-def: $vgpr55
	s_mov_b32 s13, exec_lo
	s_delay_alu instid0(VALU_DEP_2)
	v_cmpx_gt_u64_e32 0x47600001, v[18:19]
	s_xor_b32 s72, exec_lo, s13
	s_cbranch_execz .LBB6_828
; %bb.819:                              ;   in Loop: Header=BB6_357 Depth=4
	v_mov_b32_e32 v55, 0
	s_mov_b32 s73, exec_lo
	v_cmpx_ne_u32_e32 0, v16
	s_cbranch_execz .LBB6_827
; %bb.820:                              ;   in Loop: Header=BB6_357 Depth=4
	v_bfe_u32 v55, v16, 23, 8
	v_or_b32_e32 v17, 0x800000, v20
	s_delay_alu instid0(VALU_DEP_2) | instskip(SKIP_2) | instid1(VALU_DEP_2)
	v_cmp_gt_u32_e64 s13, 0x72, v55
	v_sub_nc_u32_e32 v16, 0x71, v55
	v_cmp_eq_u32_e32 vcc_lo, 0, v55
	v_cndmask_b32_e64 v16, 0, v16, s13
	s_delay_alu instid0(VALU_DEP_1) | instskip(SKIP_1) | instid1(VALU_DEP_2)
	v_cndmask_b32_e64 v65, v16, 0x70, vcc_lo
	v_cndmask_b32_e32 v16, v17, v20, vcc_lo
	v_dual_mov_b32 v17, v21 :: v_dual_add_nc_u32 v18, 21, v65
	v_add_nc_u32_e32 v20, 20, v65
	s_delay_alu instid0(VALU_DEP_2) | instskip(NEXT) | instid1(VALU_DEP_2)
	v_lshlrev_b64_e64 v[18:19], v18, -1
	v_lshlrev_b64_e64 v[66:67], v20, 1
	s_delay_alu instid0(VALU_DEP_2) | instskip(SKIP_1) | instid1(VALU_DEP_4)
	v_bfi_b32 v18, v18, 0, v16
	v_lshrrev_b64 v[16:17], v65, v[16:17]
	v_bfi_b32 v19, v19, 0, 0
	s_delay_alu instid0(VALU_DEP_1) | instskip(NEXT) | instid1(VALU_DEP_3)
	v_cmp_eq_u64_e64 s13, v[18:19], v[66:67]
	v_mov_b64_e32 v[18:19], v[16:17]
	s_and_saveexec_b32 s74, s13
; %bb.821:                              ;   in Loop: Header=BB6_357 Depth=4
	v_bfe_u32 v18, v16, 21, 1
	v_mov_b32_e32 v19, v21
	s_delay_alu instid0(VALU_DEP_1) | instskip(NEXT) | instid1(VALU_DEP_1)
	v_add_nc_u64_e32 v[18:19], v[16:17], v[18:19]
	v_add_nc_u64_e32 v[18:19], -1, v[18:19]
; %bb.822:                              ;   in Loop: Header=BB6_357 Depth=4
	s_or_b32 exec_lo, exec_lo, s74
	v_add_nc_u32_e32 v17, 0xffffff81, v55
	v_lshrrev_b32_e32 v19, 23, v16
	s_mov_b32 s13, exec_lo
	s_delay_alu instid0(VALU_DEP_2) | instskip(NEXT) | instid1(VALU_DEP_1)
	v_cndmask_b32_e64 v17, v17, 0xffffff82, vcc_lo
	v_add3_u32 v55, v65, v17, v19
	v_and_b32_e32 v17, 0x1fffff, v18
                                        ; implicit-def: $vgpr18
	s_delay_alu instid0(VALU_DEP_1) | instskip(NEXT) | instid1(VALU_DEP_1)
	v_dual_add_nc_u32 v19, 14, v55 :: v_dual_add_nc_u32 v20, v17, v16
                                        ; implicit-def: $vgpr16_vgpr17
	v_cmpx_ne_u32_e32 0, v19
	s_xor_b32 s13, exec_lo, s13
; %bb.823:                              ;   in Loop: Header=BB6_357 Depth=4
	s_delay_alu instid0(VALU_DEP_2) | instskip(SKIP_1) | instid1(VALU_DEP_1)
	v_cmp_lt_u64_e32 vcc_lo, 0xffffff, v[20:21]
	v_add_nc_u32_e32 v16, 15, v55
	v_cndmask_b32_e32 v18, v19, v16, vcc_lo
	v_cndmask_b32_e64 v16, 0, 1, vcc_lo
	s_delay_alu instid0(VALU_DEP_1)
	v_lshrrev_b64 v[16:17], v16, v[20:21]
; %bb.824:                              ;   in Loop: Header=BB6_357 Depth=4
	s_and_not1_saveexec_b32 s13, s13
; %bb.825:                              ;   in Loop: Header=BB6_357 Depth=4
	v_mov_b64_e32 v[16:17], v[20:21]
	v_bfe_u32 v18, v20, 23, 1
; %bb.826:                              ;   in Loop: Header=BB6_357 Depth=4
	s_or_b32 exec_lo, exec_lo, s13
	s_delay_alu instid0(VALU_DEP_2) | instskip(NEXT) | instid1(VALU_DEP_2)
	v_lshrrev_b64 v[16:17], 21, v[16:17]
	v_cmp_gt_i32_e32 vcc_lo, 32, v18
	v_min_i32_e32 v19, 31, v18
	v_cmp_eq_u32_e64 s13, 0, v18
	s_delay_alu instid0(VALU_DEP_2) | instskip(SKIP_1) | instid1(VALU_DEP_2)
	v_dual_cndmask_b32 v17, 0, v17, vcc_lo :: v_dual_lshlrev_b32 v19, 2, v19
	v_cndmask_b32_e32 v16, 3, v16, vcc_lo
	v_and_b32_e32 v19, 0xfc, v19
	s_delay_alu instid0(VALU_DEP_2) | instskip(NEXT) | instid1(VALU_DEP_2)
	v_cmp_eq_u64_e32 vcc_lo, 0, v[16:17]
	v_and_or_b32 v16, v16, 3, v19
	s_and_b32 s13, s13, vcc_lo
	s_delay_alu instid0(VALU_DEP_1) | instid1(SALU_CYCLE_1)
	v_cndmask_b32_e64 v16, v16, 0, s13
	s_delay_alu instid0(VALU_DEP_1)
	v_or_b32_e32 v55, v16, v64
.LBB6_827:                              ;   in Loop: Header=BB6_357 Depth=4
	s_or_b32 exec_lo, exec_lo, s73
                                        ; implicit-def: $vgpr64
.LBB6_828:                              ;   in Loop: Header=BB6_357 Depth=4
	s_and_not1_saveexec_b32 s13, s72
; %bb.829:                              ;   in Loop: Header=BB6_357 Depth=4
	v_or_b32_e32 v55, 0x7b, v64
; %bb.830:                              ;   in Loop: Header=BB6_357 Depth=4
	s_or_b32 exec_lo, exec_lo, s13
                                        ; implicit-def: $vgpr16
                                        ; implicit-def: $vgpr17
.LBB6_831:                              ;   in Loop: Header=BB6_357 Depth=4
	s_and_not1_saveexec_b32 s13, s63
	s_cbranch_execz .LBB6_837
; %bb.832:                              ;   in Loop: Header=BB6_357 Depth=4
	s_mov_b32 s63, exec_lo
                                        ; implicit-def: $vgpr55
	v_cmpx_ne_u64_e32 0, v[20:21]
	s_xor_b32 s63, exec_lo, s63
; %bb.833:                              ;   in Loop: Header=BB6_357 Depth=4
	v_or_b32_e32 v55, 0x7f, v17
                                        ; implicit-def: $vgpr16
; %bb.834:                              ;   in Loop: Header=BB6_357 Depth=4
	s_and_not1_saveexec_b32 s63, s63
; %bb.835:                              ;   in Loop: Header=BB6_357 Depth=4
	v_cmp_lt_i32_e32 vcc_lo, -1, v16
	v_mov_b32_e32 v16, 0x7c
	s_delay_alu instid0(VALU_DEP_1)
	v_cndmask_b32_e32 v55, 0xfc, v16, vcc_lo
; %bb.836:                              ;   in Loop: Header=BB6_357 Depth=4
	s_or_b32 exec_lo, exec_lo, s63
.LBB6_837:                              ;   in Loop: Header=BB6_357 Depth=4
	s_delay_alu instid0(SALU_CYCLE_1) | instskip(SKIP_4) | instid1(VALU_DEP_3)
	s_or_b32 exec_lo, exec_lo, s13
	v_and_b32_e32 v18, 0xff, v51
	v_dual_mov_b32 v20, v51 :: v_dual_mov_b32 v17, 0
	v_mov_b32_e32 v16, 0
	s_mov_b32 s63, exec_lo
	v_cmpx_ne_u16_e32 0, v18
	s_cbranch_execz .LBB6_847
; %bb.838:                              ;   in Loop: Header=BB6_357 Depth=4
	v_bfrev_b32_e32 v16, 1
	s_mov_b32 s72, exec_lo
	v_cmpx_ne_u16_e32 0x80, v18
	s_cbranch_execz .LBB6_846
; %bb.839:                              ;   in Loop: Header=BB6_357 Depth=4
	v_and_b32_e32 v16, 0x7c, v51
	v_and_b32_e32 v18, 3, v51
	s_delay_alu instid0(VALU_DEP_2) | instskip(SKIP_1) | instid1(SALU_CYCLE_1)
	v_cmp_ne_u32_e32 vcc_lo, 0x7c, v16
                                        ; implicit-def: $vgpr16
	s_and_saveexec_b32 s13, vcc_lo
	s_xor_b32 s13, exec_lo, s13
	s_cbranch_execz .LBB6_843
; %bb.840:                              ;   in Loop: Header=BB6_357 Depth=4
	v_bfe_u32 v16, v51, 2, 5
	s_mov_b32 s73, exec_lo
	s_delay_alu instid0(VALU_DEP_1)
	v_cmpx_eq_u32_e32 0, v16
; %bb.841:                              ;   in Loop: Header=BB6_357 Depth=4
	v_clz_i32_u32_e32 v16, v18
	s_delay_alu instid0(VALU_DEP_1) | instskip(NEXT) | instid1(VALU_DEP_1)
	v_min_u32_e32 v16, 32, v16
	v_subrev_nc_u32_e32 v18, 29, v16
	s_delay_alu instid0(VALU_DEP_1) | instskip(NEXT) | instid1(VALU_DEP_1)
	v_lshlrev_b64_e32 v[18:19], v18, v[20:21]
	v_dual_sub_nc_u32 v16, 30, v16 :: v_dual_bitop2_b32 v18, 3, v18 bitop3:0x40
; %bb.842:                              ;   in Loop: Header=BB6_357 Depth=4
	s_or_b32 exec_lo, exec_lo, s73
	v_lshlrev_b32_e32 v19, 24, v51
	s_delay_alu instid0(VALU_DEP_1) | instskip(NEXT) | instid1(VALU_DEP_1)
	v_and_b32_e32 v19, 0x80000000, v19
	v_lshl_add_u32 v16, v16, 23, v19
	s_delay_alu instid0(VALU_DEP_1) | instskip(NEXT) | instid1(VALU_DEP_1)
	v_lshl_or_b32 v16, v18, 21, v16
                                        ; implicit-def: $vgpr18
	v_add_nc_u32_e32 v16, 0x38000000, v16
.LBB6_843:                              ;   in Loop: Header=BB6_357 Depth=4
	s_and_not1_saveexec_b32 s73, s13
; %bb.844:                              ;   in Loop: Header=BB6_357 Depth=4
	v_bfe_i32 v16, v51, 0, 8
	v_cmp_eq_u32_e32 vcc_lo, 0, v18
	s_delay_alu instid0(VALU_DEP_2) | instskip(SKIP_1) | instid1(VALU_DEP_1)
	v_cmp_lt_i16_e64 s13, -1, v16
	v_mov_b32_e32 v16, 0x7f800000
	v_cndmask_b32_e64 v16, 0xff800000, v16, s13
	s_delay_alu instid0(VALU_DEP_1)
	v_cndmask_b32_e32 v16, 0x7f800001, v16, vcc_lo
; %bb.845:                              ;   in Loop: Header=BB6_357 Depth=4
	s_or_b32 exec_lo, exec_lo, s73
.LBB6_846:                              ;   in Loop: Header=BB6_357 Depth=4
	s_delay_alu instid0(SALU_CYCLE_1)
	s_or_b32 exec_lo, exec_lo, s72
.LBB6_847:                              ;   in Loop: Header=BB6_357 Depth=4
	s_delay_alu instid0(SALU_CYCLE_1) | instskip(SKIP_2) | instid1(VALU_DEP_1)
	s_or_b32 exec_lo, exec_lo, s63
	v_and_b32_e32 v18, 0xff, v39
	s_mov_b32 s63, exec_lo
	v_cmpx_ne_u16_e32 0, v18
	s_cbranch_execz .LBB6_857
; %bb.848:                              ;   in Loop: Header=BB6_357 Depth=4
	v_bfrev_b32_e32 v17, 1
	s_mov_b32 s72, exec_lo
	v_cmpx_ne_u16_e32 0x80, v18
	s_cbranch_execz .LBB6_856
; %bb.849:                              ;   in Loop: Header=BB6_357 Depth=4
	v_and_b32_e32 v17, 0x7c, v39
	v_and_b32_e32 v18, 3, v39
	s_delay_alu instid0(VALU_DEP_2) | instskip(SKIP_1) | instid1(SALU_CYCLE_1)
	v_cmp_ne_u32_e32 vcc_lo, 0x7c, v17
                                        ; implicit-def: $vgpr17
	s_and_saveexec_b32 s13, vcc_lo
	s_xor_b32 s13, exec_lo, s13
	s_cbranch_execz .LBB6_853
; %bb.850:                              ;   in Loop: Header=BB6_357 Depth=4
	v_bfe_u32 v17, v39, 2, 5
	s_mov_b32 s73, exec_lo
	s_delay_alu instid0(VALU_DEP_1)
	v_cmpx_eq_u32_e32 0, v17
; %bb.851:                              ;   in Loop: Header=BB6_357 Depth=4
	v_clz_i32_u32_e32 v17, v18
	v_dual_mov_b32 v18, v39 :: v_dual_mov_b32 v19, v21
	s_delay_alu instid0(VALU_DEP_2) | instskip(NEXT) | instid1(VALU_DEP_1)
	v_min_u32_e32 v17, 32, v17
	v_subrev_nc_u32_e32 v64, 29, v17
	s_delay_alu instid0(VALU_DEP_1) | instskip(NEXT) | instid1(VALU_DEP_1)
	v_lshlrev_b64_e32 v[18:19], v64, v[18:19]
	v_dual_sub_nc_u32 v17, 30, v17 :: v_dual_bitop2_b32 v18, 3, v18 bitop3:0x40
; %bb.852:                              ;   in Loop: Header=BB6_357 Depth=4
	s_or_b32 exec_lo, exec_lo, s73
	v_lshlrev_b32_e32 v19, 24, v39
	s_delay_alu instid0(VALU_DEP_1) | instskip(NEXT) | instid1(VALU_DEP_1)
	v_and_b32_e32 v19, 0x80000000, v19
	v_lshl_add_u32 v17, v17, 23, v19
	s_delay_alu instid0(VALU_DEP_1) | instskip(NEXT) | instid1(VALU_DEP_1)
	v_lshl_or_b32 v17, v18, 21, v17
                                        ; implicit-def: $vgpr18
	v_add_nc_u32_e32 v17, 0x38000000, v17
.LBB6_853:                              ;   in Loop: Header=BB6_357 Depth=4
	s_and_not1_saveexec_b32 s73, s13
; %bb.854:                              ;   in Loop: Header=BB6_357 Depth=4
	v_bfe_i32 v17, v39, 0, 8
	v_cmp_eq_u32_e32 vcc_lo, 0, v18
	s_delay_alu instid0(VALU_DEP_2) | instskip(SKIP_1) | instid1(VALU_DEP_1)
	v_cmp_lt_i16_e64 s13, -1, v17
	v_mov_b32_e32 v17, 0x7f800000
	v_cndmask_b32_e64 v17, 0xff800000, v17, s13
	s_delay_alu instid0(VALU_DEP_1)
	v_cndmask_b32_e32 v17, 0x7f800001, v17, vcc_lo
; %bb.855:                              ;   in Loop: Header=BB6_357 Depth=4
	s_or_b32 exec_lo, exec_lo, s73
.LBB6_856:                              ;   in Loop: Header=BB6_357 Depth=4
	s_delay_alu instid0(SALU_CYCLE_1)
	s_or_b32 exec_lo, exec_lo, s72
.LBB6_857:                              ;   in Loop: Header=BB6_357 Depth=4
	s_delay_alu instid0(SALU_CYCLE_1) | instskip(NEXT) | instid1(VALU_DEP_1)
	s_or_b32 exec_lo, exec_lo, s63
	v_dual_mul_f32 v18, v16, v17 :: v_dual_mov_b32 v65, v21
	s_delay_alu instid0(VALU_DEP_1) | instskip(SKIP_2) | instid1(VALU_DEP_2)
	v_dual_mov_b32 v17, v21 :: v_dual_lshrrev_b32 v19, 24, v18
	v_and_b32_e32 v64, 0x7f800000, v18
	v_and_b32_e32 v16, 0x7fffff, v18
	v_cmp_ne_u64_e32 vcc_lo, 0x7f800000, v[64:65]
                                        ; implicit-def: $vgpr64
	s_and_saveexec_b32 s13, vcc_lo
	s_delay_alu instid0(SALU_CYCLE_1)
	s_xor_b32 s63, exec_lo, s13
	s_cbranch_execz .LBB6_871
; %bb.858:                              ;   in Loop: Header=BB6_357 Depth=4
	v_and_b32_e32 v64, 0x7fffffff, v18
	v_mov_b32_e32 v65, v21
	s_delay_alu instid0(VALU_DEP_1) | instskip(SKIP_2) | instid1(SALU_CYCLE_1)
	v_cmp_gt_u64_e32 vcc_lo, 0x47600001, v[64:65]
	v_and_b32_e32 v65, 0x80, v19
                                        ; implicit-def: $vgpr64
	s_and_saveexec_b32 s13, vcc_lo
	s_xor_b32 s72, exec_lo, s13
	s_cbranch_execz .LBB6_868
; %bb.859:                              ;   in Loop: Header=BB6_357 Depth=4
	v_mov_b32_e32 v64, 0
	s_mov_b32 s73, exec_lo
	v_cmpx_ne_u32_e32 0, v18
	s_cbranch_execz .LBB6_867
; %bb.860:                              ;   in Loop: Header=BB6_357 Depth=4
	v_bfe_u32 v64, v18, 23, 8
	v_or_b32_e32 v19, 0x800000, v16
	s_delay_alu instid0(VALU_DEP_2) | instskip(SKIP_2) | instid1(VALU_DEP_2)
	v_cmp_gt_u32_e64 s13, 0x72, v64
	v_sub_nc_u32_e32 v18, 0x71, v64
	v_cmp_eq_u32_e32 vcc_lo, 0, v64
	v_dual_cndmask_b32 v18, 0, v18, s13 :: v_dual_cndmask_b32 v16, v19, v16, vcc_lo
	s_delay_alu instid0(VALU_DEP_1) | instskip(NEXT) | instid1(VALU_DEP_1)
	v_cndmask_b32_e64 v66, v18, 0x70, vcc_lo
	v_dual_add_nc_u32 v18, 21, v66 :: v_dual_add_nc_u32 v67, 20, v66
	s_delay_alu instid0(VALU_DEP_1) | instskip(NEXT) | instid1(VALU_DEP_2)
	v_lshlrev_b64_e64 v[18:19], v18, -1
	v_lshlrev_b64_e64 v[68:69], v67, 1
	s_delay_alu instid0(VALU_DEP_2) | instskip(SKIP_1) | instid1(VALU_DEP_4)
	v_bfi_b32 v18, v18, 0, v16
	v_lshrrev_b64 v[16:17], v66, v[16:17]
	v_bfi_b32 v19, v19, 0, 0
	s_delay_alu instid0(VALU_DEP_1) | instskip(NEXT) | instid1(VALU_DEP_3)
	v_cmp_eq_u64_e64 s13, v[18:19], v[68:69]
	v_mov_b64_e32 v[18:19], v[16:17]
	s_and_saveexec_b32 s74, s13
; %bb.861:                              ;   in Loop: Header=BB6_357 Depth=4
	v_bfe_u32 v18, v16, 21, 1
	v_mov_b32_e32 v19, v21
	s_delay_alu instid0(VALU_DEP_1) | instskip(NEXT) | instid1(VALU_DEP_1)
	v_add_nc_u64_e32 v[18:19], v[16:17], v[18:19]
	v_add_nc_u64_e32 v[18:19], -1, v[18:19]
; %bb.862:                              ;   in Loop: Header=BB6_357 Depth=4
	s_or_b32 exec_lo, exec_lo, s74
	v_add_nc_u32_e32 v17, 0xffffff81, v64
	v_lshrrev_b32_e32 v19, 23, v16
	s_mov_b32 s13, exec_lo
	s_delay_alu instid0(VALU_DEP_2) | instskip(NEXT) | instid1(VALU_DEP_1)
	v_cndmask_b32_e64 v17, v17, 0xffffff82, vcc_lo
	v_add3_u32 v64, v66, v17, v19
	v_and_b32_e32 v17, 0x1fffff, v18
                                        ; implicit-def: $vgpr18
	s_delay_alu instid0(VALU_DEP_2) | instskip(NEXT) | instid1(VALU_DEP_2)
	v_add_nc_u32_e32 v19, 14, v64
	v_add_nc_u32_e32 v16, v17, v16
	v_mov_b32_e32 v17, v21
	s_delay_alu instid0(VALU_DEP_3)
	v_cmpx_ne_u32_e32 0, v19
	s_xor_b32 s13, exec_lo, s13
; %bb.863:                              ;   in Loop: Header=BB6_357 Depth=4
	s_delay_alu instid0(VALU_DEP_2) | instskip(SKIP_1) | instid1(VALU_DEP_1)
	v_cmp_lt_u64_e32 vcc_lo, 0xffffff, v[16:17]
	v_add_nc_u32_e32 v18, 15, v64
	v_cndmask_b32_e32 v18, v19, v18, vcc_lo
	v_cndmask_b32_e64 v19, 0, 1, vcc_lo
	s_delay_alu instid0(VALU_DEP_1)
	v_lshrrev_b64 v[16:17], v19, v[16:17]
; %bb.864:                              ;   in Loop: Header=BB6_357 Depth=4
	s_and_not1_saveexec_b32 s13, s13
; %bb.865:                              ;   in Loop: Header=BB6_357 Depth=4
	s_delay_alu instid0(VALU_DEP_1)
	v_bfe_u32 v18, v16, 23, 1
; %bb.866:                              ;   in Loop: Header=BB6_357 Depth=4
	s_or_b32 exec_lo, exec_lo, s13
	s_delay_alu instid0(VALU_DEP_2) | instskip(NEXT) | instid1(VALU_DEP_2)
	v_lshrrev_b64 v[16:17], 21, v[16:17]
	v_cmp_gt_i32_e32 vcc_lo, 32, v18
	v_min_i32_e32 v19, 31, v18
	v_cmp_eq_u32_e64 s13, 0, v18
	s_delay_alu instid0(VALU_DEP_2) | instskip(SKIP_1) | instid1(VALU_DEP_2)
	v_dual_cndmask_b32 v17, 0, v17, vcc_lo :: v_dual_lshlrev_b32 v19, 2, v19
	v_cndmask_b32_e32 v16, 3, v16, vcc_lo
	v_and_b32_e32 v19, 0xfc, v19
	s_delay_alu instid0(VALU_DEP_2) | instskip(NEXT) | instid1(VALU_DEP_2)
	v_cmp_eq_u64_e32 vcc_lo, 0, v[16:17]
	v_and_or_b32 v16, v16, 3, v19
	s_and_b32 s13, s13, vcc_lo
	s_delay_alu instid0(VALU_DEP_1) | instid1(SALU_CYCLE_1)
	v_cndmask_b32_e64 v16, v16, 0, s13
	s_delay_alu instid0(VALU_DEP_1)
	v_or_b32_e32 v64, v16, v65
.LBB6_867:                              ;   in Loop: Header=BB6_357 Depth=4
	s_or_b32 exec_lo, exec_lo, s73
                                        ; implicit-def: $vgpr65
.LBB6_868:                              ;   in Loop: Header=BB6_357 Depth=4
	s_and_not1_saveexec_b32 s13, s72
; %bb.869:                              ;   in Loop: Header=BB6_357 Depth=4
	v_or_b32_e32 v64, 0x7b, v65
; %bb.870:                              ;   in Loop: Header=BB6_357 Depth=4
	s_or_b32 exec_lo, exec_lo, s13
                                        ; implicit-def: $vgpr18
                                        ; implicit-def: $vgpr16_vgpr17
                                        ; implicit-def: $vgpr19
.LBB6_871:                              ;   in Loop: Header=BB6_357 Depth=4
	s_and_not1_saveexec_b32 s13, s63
	s_cbranch_execz .LBB6_877
; %bb.872:                              ;   in Loop: Header=BB6_357 Depth=4
	s_mov_b32 s63, exec_lo
                                        ; implicit-def: $vgpr64
	v_cmpx_ne_u64_e32 0, v[16:17]
	s_xor_b32 s63, exec_lo, s63
; %bb.873:                              ;   in Loop: Header=BB6_357 Depth=4
	v_or_b32_e32 v64, 0x7f, v19
                                        ; implicit-def: $vgpr18
; %bb.874:                              ;   in Loop: Header=BB6_357 Depth=4
	s_and_not1_saveexec_b32 s63, s63
; %bb.875:                              ;   in Loop: Header=BB6_357 Depth=4
	v_cmp_lt_i32_e32 vcc_lo, -1, v18
	v_mov_b32_e32 v16, 0x7c
	s_delay_alu instid0(VALU_DEP_1)
	v_cndmask_b32_e32 v64, 0xfc, v16, vcc_lo
; %bb.876:                              ;   in Loop: Header=BB6_357 Depth=4
	s_or_b32 exec_lo, exec_lo, s63
.LBB6_877:                              ;   in Loop: Header=BB6_357 Depth=4
	s_delay_alu instid0(SALU_CYCLE_1) | instskip(SKIP_3) | instid1(VALU_DEP_2)
	s_or_b32 exec_lo, exec_lo, s13
	v_lshrrev_b16 v16, 8, v20
	v_dual_mov_b32 v18, 0 :: v_dual_mov_b32 v19, 0
	s_mov_b32 s63, exec_lo
	v_cmpx_ne_u16_e32 0, v16
	s_cbranch_execz .LBB6_887
; %bb.878:                              ;   in Loop: Header=BB6_357 Depth=4
	v_bfrev_b32_e32 v19, 1
	s_mov_b32 s72, exec_lo
	v_cmpx_ne_u16_e32 0x80, v16
	s_cbranch_execz .LBB6_886
; %bb.879:                              ;   in Loop: Header=BB6_357 Depth=4
	v_and_b32_e32 v65, 0xffff, v16
	s_delay_alu instid0(VALU_DEP_1) | instskip(SKIP_1) | instid1(VALU_DEP_2)
	v_and_b32_e32 v19, 0x7c, v65
	v_and_b32_e32 v17, 3, v65
	v_cmp_ne_u32_e32 vcc_lo, 0x7c, v19
                                        ; implicit-def: $vgpr19
	s_and_saveexec_b32 s13, vcc_lo
	s_delay_alu instid0(SALU_CYCLE_1)
	s_xor_b32 s13, exec_lo, s13
	s_cbranch_execz .LBB6_883
; %bb.880:                              ;   in Loop: Header=BB6_357 Depth=4
	v_bfe_u32 v19, v65, 2, 5
	s_mov_b32 s73, exec_lo
	s_delay_alu instid0(VALU_DEP_1)
	v_cmpx_eq_u32_e32 0, v19
	s_cbranch_execz .LBB6_882
; %bb.881:                              ;   in Loop: Header=BB6_357 Depth=4
	v_clz_i32_u32_e32 v17, v17
	s_delay_alu instid0(VALU_DEP_1) | instskip(SKIP_1) | instid1(VALU_DEP_2)
	v_min_u32_e32 v19, 32, v17
	v_mov_b32_e32 v17, v21
	v_subrev_nc_u32_e32 v65, 29, v19
	v_sub_nc_u32_e32 v19, 30, v19
	s_delay_alu instid0(VALU_DEP_2) | instskip(NEXT) | instid1(VALU_DEP_1)
	v_lshlrev_b64_e32 v[16:17], v65, v[16:17]
	v_and_b32_e32 v17, 3, v16
.LBB6_882:                              ;   in Loop: Header=BB6_357 Depth=4
	s_or_b32 exec_lo, exec_lo, s73
	v_lshlrev_b32_e32 v16, 16, v20
	s_delay_alu instid0(VALU_DEP_1) | instskip(NEXT) | instid1(VALU_DEP_1)
	v_and_b32_e32 v16, 0x80000000, v16
	v_lshl_add_u32 v16, v19, 23, v16
	s_delay_alu instid0(VALU_DEP_1) | instskip(NEXT) | instid1(VALU_DEP_1)
	v_lshl_or_b32 v16, v17, 21, v16
                                        ; implicit-def: $vgpr17
	v_add_nc_u32_e32 v19, 0x38000000, v16
.LBB6_883:                              ;   in Loop: Header=BB6_357 Depth=4
	s_and_not1_saveexec_b32 s73, s13
; %bb.884:                              ;   in Loop: Header=BB6_357 Depth=4
	v_cmp_lt_i16_e64 s13, -1, v20
	v_mov_b32_e32 v16, 0x7f800000
	v_cmp_eq_u32_e32 vcc_lo, 0, v17
	s_delay_alu instid0(VALU_DEP_2) | instskip(NEXT) | instid1(VALU_DEP_1)
	v_cndmask_b32_e64 v16, 0xff800000, v16, s13
	v_cndmask_b32_e32 v19, 0x7f800001, v16, vcc_lo
; %bb.885:                              ;   in Loop: Header=BB6_357 Depth=4
	s_or_b32 exec_lo, exec_lo, s73
.LBB6_886:                              ;   in Loop: Header=BB6_357 Depth=4
	s_delay_alu instid0(SALU_CYCLE_1)
	s_or_b32 exec_lo, exec_lo, s72
.LBB6_887:                              ;   in Loop: Header=BB6_357 Depth=4
	s_delay_alu instid0(SALU_CYCLE_1) | instskip(SKIP_2) | instid1(VALU_DEP_1)
	s_or_b32 exec_lo, exec_lo, s63
	v_lshrrev_b16 v16, 8, v39
	s_mov_b32 s63, exec_lo
	v_cmpx_ne_u16_e32 0, v16
	s_cbranch_execz .LBB6_897
; %bb.888:                              ;   in Loop: Header=BB6_357 Depth=4
	v_bfrev_b32_e32 v18, 1
	s_mov_b32 s72, exec_lo
	v_cmpx_ne_u16_e32 0x80, v16
	s_cbranch_execz .LBB6_896
; %bb.889:                              ;   in Loop: Header=BB6_357 Depth=4
	v_and_b32_e32 v20, 0xffff, v16
	s_delay_alu instid0(VALU_DEP_1) | instskip(SKIP_1) | instid1(VALU_DEP_2)
	v_and_b32_e32 v18, 0x7c, v20
	v_and_b32_e32 v17, 3, v20
	v_cmp_ne_u32_e32 vcc_lo, 0x7c, v18
                                        ; implicit-def: $vgpr18
	s_and_saveexec_b32 s13, vcc_lo
	s_delay_alu instid0(SALU_CYCLE_1)
	s_xor_b32 s13, exec_lo, s13
	s_cbranch_execz .LBB6_893
; %bb.890:                              ;   in Loop: Header=BB6_357 Depth=4
	v_bfe_u32 v18, v20, 2, 5
	s_mov_b32 s73, exec_lo
	s_delay_alu instid0(VALU_DEP_1)
	v_cmpx_eq_u32_e32 0, v18
	s_cbranch_execz .LBB6_892
; %bb.891:                              ;   in Loop: Header=BB6_357 Depth=4
	v_clz_i32_u32_e32 v17, v17
	s_delay_alu instid0(VALU_DEP_1) | instskip(SKIP_1) | instid1(VALU_DEP_2)
	v_min_u32_e32 v18, 32, v17
	v_mov_b32_e32 v17, v21
	v_subrev_nc_u32_e32 v20, 29, v18
	v_sub_nc_u32_e32 v18, 30, v18
	s_delay_alu instid0(VALU_DEP_2) | instskip(NEXT) | instid1(VALU_DEP_1)
	v_lshlrev_b64_e32 v[16:17], v20, v[16:17]
	v_and_b32_e32 v17, 3, v16
.LBB6_892:                              ;   in Loop: Header=BB6_357 Depth=4
	s_or_b32 exec_lo, exec_lo, s73
	v_lshlrev_b32_e32 v16, 16, v39
	s_delay_alu instid0(VALU_DEP_1) | instskip(NEXT) | instid1(VALU_DEP_1)
	v_and_b32_e32 v16, 0x80000000, v16
	v_lshl_add_u32 v16, v18, 23, v16
	s_delay_alu instid0(VALU_DEP_1) | instskip(NEXT) | instid1(VALU_DEP_1)
	v_lshl_or_b32 v16, v17, 21, v16
                                        ; implicit-def: $vgpr17
	v_add_nc_u32_e32 v18, 0x38000000, v16
.LBB6_893:                              ;   in Loop: Header=BB6_357 Depth=4
	s_and_not1_saveexec_b32 s73, s13
; %bb.894:                              ;   in Loop: Header=BB6_357 Depth=4
	v_cmp_lt_i16_e64 s13, -1, v39
	v_mov_b32_e32 v16, 0x7f800000
	v_cmp_eq_u32_e32 vcc_lo, 0, v17
	s_delay_alu instid0(VALU_DEP_2) | instskip(NEXT) | instid1(VALU_DEP_1)
	v_cndmask_b32_e64 v16, 0xff800000, v16, s13
	v_cndmask_b32_e32 v18, 0x7f800001, v16, vcc_lo
; %bb.895:                              ;   in Loop: Header=BB6_357 Depth=4
	s_or_b32 exec_lo, exec_lo, s73
.LBB6_896:                              ;   in Loop: Header=BB6_357 Depth=4
	s_delay_alu instid0(SALU_CYCLE_1)
	s_or_b32 exec_lo, exec_lo, s72
.LBB6_897:                              ;   in Loop: Header=BB6_357 Depth=4
	s_delay_alu instid0(SALU_CYCLE_1) | instskip(NEXT) | instid1(VALU_DEP_1)
	s_or_b32 exec_lo, exec_lo, s63
	v_dual_mul_f32 v16, v19, v18 :: v_dual_mov_b32 v19, v21
                                        ; implicit-def: $vgpr65
	s_mov_b32 s13, exec_lo
	s_delay_alu instid0(VALU_DEP_1) | instskip(SKIP_2) | instid1(VALU_DEP_3)
	v_and_b32_e32 v18, 0x7f800000, v16
	v_and_b32_e32 v20, 0x7fffff, v16
	v_lshrrev_b32_e32 v17, 24, v16
	v_cmpx_ne_u64_e32 0x7f800000, v[18:19]
	s_xor_b32 s63, exec_lo, s13
	s_cbranch_execz .LBB6_911
; %bb.898:                              ;   in Loop: Header=BB6_357 Depth=4
	v_and_b32_e32 v18, 0x7fffffff, v16
	v_mov_b32_e32 v19, v21
	v_and_b32_e32 v66, 0x80, v17
                                        ; implicit-def: $vgpr65
	s_mov_b32 s13, exec_lo
	s_delay_alu instid0(VALU_DEP_2)
	v_cmpx_gt_u64_e32 0x47600001, v[18:19]
	s_xor_b32 s72, exec_lo, s13
	s_cbranch_execz .LBB6_908
; %bb.899:                              ;   in Loop: Header=BB6_357 Depth=4
	v_mov_b32_e32 v65, 0
	s_mov_b32 s73, exec_lo
	v_cmpx_ne_u32_e32 0, v16
	s_cbranch_execz .LBB6_907
; %bb.900:                              ;   in Loop: Header=BB6_357 Depth=4
	v_bfe_u32 v65, v16, 23, 8
	v_or_b32_e32 v17, 0x800000, v20
	s_delay_alu instid0(VALU_DEP_2) | instskip(SKIP_2) | instid1(VALU_DEP_2)
	v_cmp_gt_u32_e64 s13, 0x72, v65
	v_sub_nc_u32_e32 v16, 0x71, v65
	v_cmp_eq_u32_e32 vcc_lo, 0, v65
	v_cndmask_b32_e64 v16, 0, v16, s13
	s_delay_alu instid0(VALU_DEP_1) | instskip(SKIP_1) | instid1(VALU_DEP_2)
	v_cndmask_b32_e64 v67, v16, 0x70, vcc_lo
	v_cndmask_b32_e32 v16, v17, v20, vcc_lo
	v_dual_mov_b32 v17, v21 :: v_dual_add_nc_u32 v18, 21, v67
	v_add_nc_u32_e32 v20, 20, v67
	s_delay_alu instid0(VALU_DEP_2) | instskip(NEXT) | instid1(VALU_DEP_2)
	v_lshlrev_b64_e64 v[18:19], v18, -1
	v_lshlrev_b64_e64 v[68:69], v20, 1
	s_delay_alu instid0(VALU_DEP_2) | instskip(SKIP_1) | instid1(VALU_DEP_4)
	v_bfi_b32 v18, v18, 0, v16
	v_lshrrev_b64 v[16:17], v67, v[16:17]
	v_bfi_b32 v19, v19, 0, 0
	s_delay_alu instid0(VALU_DEP_1) | instskip(NEXT) | instid1(VALU_DEP_3)
	v_cmp_eq_u64_e64 s13, v[18:19], v[68:69]
	v_mov_b64_e32 v[18:19], v[16:17]
	s_and_saveexec_b32 s74, s13
; %bb.901:                              ;   in Loop: Header=BB6_357 Depth=4
	v_bfe_u32 v18, v16, 21, 1
	v_mov_b32_e32 v19, v21
	s_delay_alu instid0(VALU_DEP_1) | instskip(NEXT) | instid1(VALU_DEP_1)
	v_add_nc_u64_e32 v[18:19], v[16:17], v[18:19]
	v_add_nc_u64_e32 v[18:19], -1, v[18:19]
; %bb.902:                              ;   in Loop: Header=BB6_357 Depth=4
	s_or_b32 exec_lo, exec_lo, s74
	v_add_nc_u32_e32 v17, 0xffffff81, v65
	v_lshrrev_b32_e32 v19, 23, v16
	s_mov_b32 s13, exec_lo
	s_delay_alu instid0(VALU_DEP_2) | instskip(NEXT) | instid1(VALU_DEP_1)
	v_cndmask_b32_e64 v17, v17, 0xffffff82, vcc_lo
	v_add3_u32 v65, v67, v17, v19
	v_and_b32_e32 v17, 0x1fffff, v18
                                        ; implicit-def: $vgpr18
	s_delay_alu instid0(VALU_DEP_1) | instskip(NEXT) | instid1(VALU_DEP_1)
	v_dual_add_nc_u32 v19, 14, v65 :: v_dual_add_nc_u32 v20, v17, v16
                                        ; implicit-def: $vgpr16_vgpr17
	v_cmpx_ne_u32_e32 0, v19
	s_xor_b32 s13, exec_lo, s13
; %bb.903:                              ;   in Loop: Header=BB6_357 Depth=4
	s_delay_alu instid0(VALU_DEP_2) | instskip(SKIP_1) | instid1(VALU_DEP_1)
	v_cmp_lt_u64_e32 vcc_lo, 0xffffff, v[20:21]
	v_add_nc_u32_e32 v16, 15, v65
	v_cndmask_b32_e32 v18, v19, v16, vcc_lo
	v_cndmask_b32_e64 v16, 0, 1, vcc_lo
	s_delay_alu instid0(VALU_DEP_1)
	v_lshrrev_b64 v[16:17], v16, v[20:21]
; %bb.904:                              ;   in Loop: Header=BB6_357 Depth=4
	s_and_not1_saveexec_b32 s13, s13
; %bb.905:                              ;   in Loop: Header=BB6_357 Depth=4
	v_mov_b64_e32 v[16:17], v[20:21]
	v_bfe_u32 v18, v20, 23, 1
; %bb.906:                              ;   in Loop: Header=BB6_357 Depth=4
	s_or_b32 exec_lo, exec_lo, s13
	s_delay_alu instid0(VALU_DEP_2) | instskip(NEXT) | instid1(VALU_DEP_2)
	v_lshrrev_b64 v[16:17], 21, v[16:17]
	v_cmp_gt_i32_e32 vcc_lo, 32, v18
	v_min_i32_e32 v19, 31, v18
	v_cmp_eq_u32_e64 s13, 0, v18
	s_delay_alu instid0(VALU_DEP_2) | instskip(SKIP_1) | instid1(VALU_DEP_2)
	v_dual_cndmask_b32 v17, 0, v17, vcc_lo :: v_dual_lshlrev_b32 v19, 2, v19
	v_cndmask_b32_e32 v16, 3, v16, vcc_lo
	v_and_b32_e32 v19, 0xfc, v19
	s_delay_alu instid0(VALU_DEP_2) | instskip(NEXT) | instid1(VALU_DEP_2)
	v_cmp_eq_u64_e32 vcc_lo, 0, v[16:17]
	v_and_or_b32 v16, v16, 3, v19
	s_and_b32 s13, s13, vcc_lo
	s_delay_alu instid0(VALU_DEP_1) | instid1(SALU_CYCLE_1)
	v_cndmask_b32_e64 v16, v16, 0, s13
	s_delay_alu instid0(VALU_DEP_1)
	v_or_b32_e32 v65, v16, v66
.LBB6_907:                              ;   in Loop: Header=BB6_357 Depth=4
	s_or_b32 exec_lo, exec_lo, s73
                                        ; implicit-def: $vgpr66
.LBB6_908:                              ;   in Loop: Header=BB6_357 Depth=4
	s_and_not1_saveexec_b32 s13, s72
; %bb.909:                              ;   in Loop: Header=BB6_357 Depth=4
	v_or_b32_e32 v65, 0x7b, v66
; %bb.910:                              ;   in Loop: Header=BB6_357 Depth=4
	s_or_b32 exec_lo, exec_lo, s13
                                        ; implicit-def: $vgpr16
                                        ; implicit-def: $vgpr17
.LBB6_911:                              ;   in Loop: Header=BB6_357 Depth=4
	s_and_not1_saveexec_b32 s13, s63
	s_cbranch_execz .LBB6_917
; %bb.912:                              ;   in Loop: Header=BB6_357 Depth=4
	s_mov_b32 s63, exec_lo
                                        ; implicit-def: $vgpr65
	v_cmpx_ne_u64_e32 0, v[20:21]
	s_xor_b32 s63, exec_lo, s63
; %bb.913:                              ;   in Loop: Header=BB6_357 Depth=4
	v_or_b32_e32 v65, 0x7f, v17
                                        ; implicit-def: $vgpr16
; %bb.914:                              ;   in Loop: Header=BB6_357 Depth=4
	s_and_not1_saveexec_b32 s63, s63
; %bb.915:                              ;   in Loop: Header=BB6_357 Depth=4
	v_cmp_lt_i32_e32 vcc_lo, -1, v16
	v_mov_b32_e32 v16, 0x7c
	s_delay_alu instid0(VALU_DEP_1)
	v_cndmask_b32_e32 v65, 0xfc, v16, vcc_lo
; %bb.916:                              ;   in Loop: Header=BB6_357 Depth=4
	s_or_b32 exec_lo, exec_lo, s63
.LBB6_917:                              ;   in Loop: Header=BB6_357 Depth=4
	s_delay_alu instid0(SALU_CYCLE_1) | instskip(SKIP_3) | instid1(VALU_DEP_2)
	s_or_b32 exec_lo, exec_lo, s13
	v_dual_mov_b32 v17, 0 :: v_dual_lshrrev_b32 v16, 16, v51
	v_mov_b32_e32 v18, 0
	s_mov_b32 s63, exec_lo
	v_and_b32_e32 v19, 0xff, v16
	s_delay_alu instid0(VALU_DEP_1)
	v_cmpx_ne_u16_e32 0, v19
	s_cbranch_execz .LBB6_927
; %bb.918:                              ;   in Loop: Header=BB6_357 Depth=4
	v_bfrev_b32_e32 v18, 1
	s_mov_b32 s72, exec_lo
	v_cmpx_ne_u16_e32 0x80, v19
	s_cbranch_execz .LBB6_926
; %bb.919:                              ;   in Loop: Header=BB6_357 Depth=4
	v_and_b32_e32 v18, 0x7c0000, v51
	v_bfe_u32 v19, v51, 16, 2
	s_delay_alu instid0(VALU_DEP_2) | instskip(SKIP_1) | instid1(SALU_CYCLE_1)
	v_cmp_ne_u32_e32 vcc_lo, 0x7c0000, v18
                                        ; implicit-def: $vgpr18
	s_and_saveexec_b32 s13, vcc_lo
	s_xor_b32 s13, exec_lo, s13
	s_cbranch_execz .LBB6_923
; %bb.920:                              ;   in Loop: Header=BB6_357 Depth=4
	v_bfe_u32 v18, v51, 18, 5
	s_mov_b32 s73, exec_lo
	s_delay_alu instid0(VALU_DEP_1)
	v_cmpx_eq_u32_e32 0, v18
; %bb.921:                              ;   in Loop: Header=BB6_357 Depth=4
	v_clz_i32_u32_e32 v18, v19
	s_delay_alu instid0(VALU_DEP_1) | instskip(NEXT) | instid1(VALU_DEP_1)
	v_min_u32_e32 v18, 32, v18
	v_subrev_nc_u32_e32 v19, 29, v18
	v_sub_nc_u32_e32 v18, 30, v18
	s_delay_alu instid0(VALU_DEP_2) | instskip(NEXT) | instid1(VALU_DEP_1)
	v_lshlrev_b64_e32 v[66:67], v19, v[16:17]
	v_and_b32_e32 v19, 3, v66
; %bb.922:                              ;   in Loop: Header=BB6_357 Depth=4
	s_or_b32 exec_lo, exec_lo, s73
	v_lshlrev_b32_e32 v16, 24, v16
	s_delay_alu instid0(VALU_DEP_1) | instskip(NEXT) | instid1(VALU_DEP_1)
	v_and_b32_e32 v16, 0x80000000, v16
	v_lshl_add_u32 v16, v18, 23, v16
	s_delay_alu instid0(VALU_DEP_1) | instskip(NEXT) | instid1(VALU_DEP_1)
	v_lshl_or_b32 v16, v19, 21, v16
                                        ; implicit-def: $vgpr19
	v_add_nc_u32_e32 v18, 0x38000000, v16
                                        ; implicit-def: $vgpr16
.LBB6_923:                              ;   in Loop: Header=BB6_357 Depth=4
	s_and_not1_saveexec_b32 s73, s13
; %bb.924:                              ;   in Loop: Header=BB6_357 Depth=4
	v_bfe_i32 v16, v16, 0, 8
	v_cmp_eq_u32_e32 vcc_lo, 0, v19
	s_delay_alu instid0(VALU_DEP_2) | instskip(SKIP_1) | instid1(VALU_DEP_1)
	v_cmp_lt_i16_e64 s13, -1, v16
	v_mov_b32_e32 v16, 0x7f800000
	v_cndmask_b32_e64 v16, 0xff800000, v16, s13
	s_delay_alu instid0(VALU_DEP_1)
	v_cndmask_b32_e32 v18, 0x7f800001, v16, vcc_lo
; %bb.925:                              ;   in Loop: Header=BB6_357 Depth=4
	s_or_b32 exec_lo, exec_lo, s73
.LBB6_926:                              ;   in Loop: Header=BB6_357 Depth=4
	s_delay_alu instid0(SALU_CYCLE_1)
	s_or_b32 exec_lo, exec_lo, s72
.LBB6_927:                              ;   in Loop: Header=BB6_357 Depth=4
	s_delay_alu instid0(SALU_CYCLE_1) | instskip(SKIP_2) | instid1(VALU_DEP_1)
	s_or_b32 exec_lo, exec_lo, s63
	v_lshrrev_b32_e32 v16, 16, v39
	s_mov_b32 s63, exec_lo
	v_and_b32_e32 v19, 0xff, v16
	s_delay_alu instid0(VALU_DEP_1)
	v_cmpx_ne_u16_e32 0, v19
	s_cbranch_execz .LBB6_937
; %bb.928:                              ;   in Loop: Header=BB6_357 Depth=4
	v_bfrev_b32_e32 v17, 1
	s_mov_b32 s72, exec_lo
	v_cmpx_ne_u16_e32 0x80, v19
	s_cbranch_execz .LBB6_936
; %bb.929:                              ;   in Loop: Header=BB6_357 Depth=4
	v_and_b32_e32 v17, 0x7c0000, v39
	v_bfe_u32 v19, v39, 16, 2
	s_delay_alu instid0(VALU_DEP_2) | instskip(SKIP_1) | instid1(SALU_CYCLE_1)
	v_cmp_ne_u32_e32 vcc_lo, 0x7c0000, v17
                                        ; implicit-def: $vgpr17
	s_and_saveexec_b32 s13, vcc_lo
	s_xor_b32 s13, exec_lo, s13
	s_cbranch_execz .LBB6_933
; %bb.930:                              ;   in Loop: Header=BB6_357 Depth=4
	v_bfe_u32 v17, v39, 18, 5
	s_mov_b32 s73, exec_lo
	s_delay_alu instid0(VALU_DEP_1)
	v_cmpx_eq_u32_e32 0, v17
; %bb.931:                              ;   in Loop: Header=BB6_357 Depth=4
	v_clz_i32_u32_e32 v17, v19
	s_delay_alu instid0(VALU_DEP_1) | instskip(NEXT) | instid1(VALU_DEP_1)
	v_min_u32_e32 v17, 32, v17
	v_subrev_nc_u32_e32 v19, 29, v17
	s_delay_alu instid0(VALU_DEP_1) | instskip(NEXT) | instid1(VALU_DEP_1)
	v_lshlrev_b64_e32 v[66:67], v19, v[16:17]
	v_dual_sub_nc_u32 v17, 30, v17 :: v_dual_bitop2_b32 v19, 3, v66 bitop3:0x40
; %bb.932:                              ;   in Loop: Header=BB6_357 Depth=4
	s_or_b32 exec_lo, exec_lo, s73
	v_lshlrev_b32_e32 v16, 24, v16
	s_delay_alu instid0(VALU_DEP_1) | instskip(NEXT) | instid1(VALU_DEP_1)
	v_and_b32_e32 v16, 0x80000000, v16
	v_lshl_add_u32 v16, v17, 23, v16
	s_delay_alu instid0(VALU_DEP_1) | instskip(NEXT) | instid1(VALU_DEP_1)
	v_lshl_or_b32 v16, v19, 21, v16
                                        ; implicit-def: $vgpr19
	v_add_nc_u32_e32 v17, 0x38000000, v16
                                        ; implicit-def: $vgpr16
.LBB6_933:                              ;   in Loop: Header=BB6_357 Depth=4
	s_and_not1_saveexec_b32 s73, s13
; %bb.934:                              ;   in Loop: Header=BB6_357 Depth=4
	v_bfe_i32 v16, v16, 0, 8
	v_cmp_eq_u32_e32 vcc_lo, 0, v19
	s_delay_alu instid0(VALU_DEP_2) | instskip(SKIP_1) | instid1(VALU_DEP_1)
	v_cmp_lt_i16_e64 s13, -1, v16
	v_mov_b32_e32 v16, 0x7f800000
	v_cndmask_b32_e64 v16, 0xff800000, v16, s13
	s_delay_alu instid0(VALU_DEP_1)
	v_cndmask_b32_e32 v17, 0x7f800001, v16, vcc_lo
; %bb.935:                              ;   in Loop: Header=BB6_357 Depth=4
	s_or_b32 exec_lo, exec_lo, s73
.LBB6_936:                              ;   in Loop: Header=BB6_357 Depth=4
	s_delay_alu instid0(SALU_CYCLE_1)
	s_or_b32 exec_lo, exec_lo, s72
.LBB6_937:                              ;   in Loop: Header=BB6_357 Depth=4
	s_delay_alu instid0(SALU_CYCLE_1) | instskip(NEXT) | instid1(VALU_DEP_1)
	s_or_b32 exec_lo, exec_lo, s63
	v_dual_mul_f32 v16, v18, v17 :: v_dual_mov_b32 v19, v21
                                        ; implicit-def: $vgpr66
	s_mov_b32 s13, exec_lo
	s_delay_alu instid0(VALU_DEP_1) | instskip(SKIP_2) | instid1(VALU_DEP_3)
	v_and_b32_e32 v18, 0x7f800000, v16
	v_and_b32_e32 v20, 0x7fffff, v16
	v_lshrrev_b32_e32 v17, 24, v16
	v_cmpx_ne_u64_e32 0x7f800000, v[18:19]
	s_xor_b32 s63, exec_lo, s13
	s_cbranch_execz .LBB6_951
; %bb.938:                              ;   in Loop: Header=BB6_357 Depth=4
	v_and_b32_e32 v18, 0x7fffffff, v16
	v_mov_b32_e32 v19, v21
	v_and_b32_e32 v67, 0x80, v17
                                        ; implicit-def: $vgpr66
	s_mov_b32 s13, exec_lo
	s_delay_alu instid0(VALU_DEP_2)
	v_cmpx_gt_u64_e32 0x47600001, v[18:19]
	s_xor_b32 s72, exec_lo, s13
	s_cbranch_execz .LBB6_948
; %bb.939:                              ;   in Loop: Header=BB6_357 Depth=4
	v_mov_b32_e32 v66, 0
	s_mov_b32 s73, exec_lo
	v_cmpx_ne_u32_e32 0, v16
	s_cbranch_execz .LBB6_947
; %bb.940:                              ;   in Loop: Header=BB6_357 Depth=4
	v_bfe_u32 v66, v16, 23, 8
	v_or_b32_e32 v17, 0x800000, v20
	s_delay_alu instid0(VALU_DEP_2) | instskip(SKIP_2) | instid1(VALU_DEP_2)
	v_cmp_gt_u32_e64 s13, 0x72, v66
	v_sub_nc_u32_e32 v16, 0x71, v66
	v_cmp_eq_u32_e32 vcc_lo, 0, v66
	v_cndmask_b32_e64 v16, 0, v16, s13
	s_delay_alu instid0(VALU_DEP_1) | instskip(SKIP_1) | instid1(VALU_DEP_2)
	v_cndmask_b32_e64 v68, v16, 0x70, vcc_lo
	v_cndmask_b32_e32 v16, v17, v20, vcc_lo
	v_dual_mov_b32 v17, v21 :: v_dual_add_nc_u32 v18, 21, v68
	v_add_nc_u32_e32 v20, 20, v68
	s_delay_alu instid0(VALU_DEP_2) | instskip(NEXT) | instid1(VALU_DEP_2)
	v_lshlrev_b64_e64 v[18:19], v18, -1
	v_lshlrev_b64_e64 v[70:71], v20, 1
	s_delay_alu instid0(VALU_DEP_2) | instskip(SKIP_1) | instid1(VALU_DEP_4)
	v_bfi_b32 v18, v18, 0, v16
	v_lshrrev_b64 v[16:17], v68, v[16:17]
	v_bfi_b32 v19, v19, 0, 0
	s_delay_alu instid0(VALU_DEP_1) | instskip(NEXT) | instid1(VALU_DEP_3)
	v_cmp_eq_u64_e64 s13, v[18:19], v[70:71]
	v_mov_b64_e32 v[18:19], v[16:17]
	s_and_saveexec_b32 s74, s13
; %bb.941:                              ;   in Loop: Header=BB6_357 Depth=4
	v_bfe_u32 v18, v16, 21, 1
	v_mov_b32_e32 v19, v21
	s_delay_alu instid0(VALU_DEP_1) | instskip(NEXT) | instid1(VALU_DEP_1)
	v_add_nc_u64_e32 v[18:19], v[16:17], v[18:19]
	v_add_nc_u64_e32 v[18:19], -1, v[18:19]
; %bb.942:                              ;   in Loop: Header=BB6_357 Depth=4
	s_or_b32 exec_lo, exec_lo, s74
	v_add_nc_u32_e32 v17, 0xffffff81, v66
	v_lshrrev_b32_e32 v19, 23, v16
	s_mov_b32 s13, exec_lo
	s_delay_alu instid0(VALU_DEP_2) | instskip(NEXT) | instid1(VALU_DEP_1)
	v_cndmask_b32_e64 v17, v17, 0xffffff82, vcc_lo
	v_add3_u32 v66, v68, v17, v19
	v_and_b32_e32 v17, 0x1fffff, v18
                                        ; implicit-def: $vgpr18
	s_delay_alu instid0(VALU_DEP_1) | instskip(NEXT) | instid1(VALU_DEP_1)
	v_dual_add_nc_u32 v19, 14, v66 :: v_dual_add_nc_u32 v20, v17, v16
                                        ; implicit-def: $vgpr16_vgpr17
	v_cmpx_ne_u32_e32 0, v19
	s_xor_b32 s13, exec_lo, s13
; %bb.943:                              ;   in Loop: Header=BB6_357 Depth=4
	s_delay_alu instid0(VALU_DEP_2) | instskip(SKIP_1) | instid1(VALU_DEP_1)
	v_cmp_lt_u64_e32 vcc_lo, 0xffffff, v[20:21]
	v_add_nc_u32_e32 v16, 15, v66
	v_cndmask_b32_e32 v18, v19, v16, vcc_lo
	v_cndmask_b32_e64 v16, 0, 1, vcc_lo
	s_delay_alu instid0(VALU_DEP_1)
	v_lshrrev_b64 v[16:17], v16, v[20:21]
; %bb.944:                              ;   in Loop: Header=BB6_357 Depth=4
	s_and_not1_saveexec_b32 s13, s13
; %bb.945:                              ;   in Loop: Header=BB6_357 Depth=4
	v_mov_b64_e32 v[16:17], v[20:21]
	v_bfe_u32 v18, v20, 23, 1
; %bb.946:                              ;   in Loop: Header=BB6_357 Depth=4
	s_or_b32 exec_lo, exec_lo, s13
	s_delay_alu instid0(VALU_DEP_2) | instskip(NEXT) | instid1(VALU_DEP_2)
	v_lshrrev_b64 v[16:17], 21, v[16:17]
	v_cmp_gt_i32_e32 vcc_lo, 32, v18
	v_min_i32_e32 v19, 31, v18
	v_cmp_eq_u32_e64 s13, 0, v18
	s_delay_alu instid0(VALU_DEP_2) | instskip(SKIP_1) | instid1(VALU_DEP_2)
	v_dual_cndmask_b32 v17, 0, v17, vcc_lo :: v_dual_lshlrev_b32 v19, 2, v19
	v_cndmask_b32_e32 v16, 3, v16, vcc_lo
	v_and_b32_e32 v19, 0xfc, v19
	s_delay_alu instid0(VALU_DEP_2) | instskip(NEXT) | instid1(VALU_DEP_2)
	v_cmp_eq_u64_e32 vcc_lo, 0, v[16:17]
	v_and_or_b32 v16, v16, 3, v19
	s_and_b32 s13, s13, vcc_lo
	s_delay_alu instid0(VALU_DEP_1) | instid1(SALU_CYCLE_1)
	v_cndmask_b32_e64 v16, v16, 0, s13
	s_delay_alu instid0(VALU_DEP_1)
	v_or_b32_e32 v66, v16, v67
.LBB6_947:                              ;   in Loop: Header=BB6_357 Depth=4
	s_or_b32 exec_lo, exec_lo, s73
                                        ; implicit-def: $vgpr67
.LBB6_948:                              ;   in Loop: Header=BB6_357 Depth=4
	s_and_not1_saveexec_b32 s13, s72
; %bb.949:                              ;   in Loop: Header=BB6_357 Depth=4
	v_or_b32_e32 v66, 0x7b, v67
; %bb.950:                              ;   in Loop: Header=BB6_357 Depth=4
	s_or_b32 exec_lo, exec_lo, s13
                                        ; implicit-def: $vgpr16
                                        ; implicit-def: $vgpr17
.LBB6_951:                              ;   in Loop: Header=BB6_357 Depth=4
	s_and_not1_saveexec_b32 s13, s63
	s_cbranch_execz .LBB6_957
; %bb.952:                              ;   in Loop: Header=BB6_357 Depth=4
	s_mov_b32 s63, exec_lo
                                        ; implicit-def: $vgpr66
	v_cmpx_ne_u64_e32 0, v[20:21]
	s_xor_b32 s63, exec_lo, s63
; %bb.953:                              ;   in Loop: Header=BB6_357 Depth=4
	v_or_b32_e32 v66, 0x7f, v17
                                        ; implicit-def: $vgpr16
; %bb.954:                              ;   in Loop: Header=BB6_357 Depth=4
	s_and_not1_saveexec_b32 s63, s63
; %bb.955:                              ;   in Loop: Header=BB6_357 Depth=4
	v_cmp_lt_i32_e32 vcc_lo, -1, v16
	v_mov_b32_e32 v16, 0x7c
	s_delay_alu instid0(VALU_DEP_1)
	v_cndmask_b32_e32 v66, 0xfc, v16, vcc_lo
; %bb.956:                              ;   in Loop: Header=BB6_357 Depth=4
	s_or_b32 exec_lo, exec_lo, s63
.LBB6_957:                              ;   in Loop: Header=BB6_357 Depth=4
	s_delay_alu instid0(SALU_CYCLE_1)
	s_or_b32 exec_lo, exec_lo, s13
	v_dual_mov_b32 v17, 0 :: v_dual_mov_b32 v18, 0
	s_mov_b32 s63, exec_lo
	v_cmpx_lt_u64_e64 s[22:23], v[50:51]
	s_cbranch_execz .LBB6_967
; %bb.958:                              ;   in Loop: Header=BB6_357 Depth=4
	v_lshrrev_b32_e32 v16, 24, v51
	v_bfrev_b32_e32 v18, 1
	s_mov_b32 s72, exec_lo
	s_delay_alu instid0(VALU_DEP_2)
	v_cmpx_ne_u32_e32 0x80, v16
	s_cbranch_execz .LBB6_966
; %bb.959:                              ;   in Loop: Header=BB6_357 Depth=4
	v_and_b32_e32 v18, 0x7c000000, v51
	v_bfe_u32 v19, v51, 24, 2
	s_delay_alu instid0(VALU_DEP_2) | instskip(SKIP_1) | instid1(SALU_CYCLE_1)
	v_cmp_ne_u32_e32 vcc_lo, 0x7c000000, v18
                                        ; implicit-def: $vgpr18
	s_and_saveexec_b32 s13, vcc_lo
	s_xor_b32 s13, exec_lo, s13
	s_cbranch_execz .LBB6_963
; %bb.960:                              ;   in Loop: Header=BB6_357 Depth=4
	v_bfe_u32 v18, v51, 26, 5
	s_mov_b32 s73, exec_lo
	s_delay_alu instid0(VALU_DEP_1)
	v_cmpx_eq_u32_e32 0, v18
; %bb.961:                              ;   in Loop: Header=BB6_357 Depth=4
	v_clz_i32_u32_e32 v18, v19
	s_delay_alu instid0(VALU_DEP_1) | instskip(NEXT) | instid1(VALU_DEP_1)
	v_min_u32_e32 v18, 32, v18
	v_subrev_nc_u32_e32 v19, 29, v18
	s_delay_alu instid0(VALU_DEP_1) | instskip(NEXT) | instid1(VALU_DEP_1)
	v_lshlrev_b64_e32 v[68:69], v19, v[16:17]
	v_dual_sub_nc_u32 v18, 30, v18 :: v_dual_bitop2_b32 v19, 3, v68 bitop3:0x40
; %bb.962:                              ;   in Loop: Header=BB6_357 Depth=4
	s_or_b32 exec_lo, exec_lo, s73
	v_and_b32_e32 v16, 0x80000000, v51
                                        ; implicit-def: $vgpr50_vgpr51
	s_delay_alu instid0(VALU_DEP_1) | instskip(NEXT) | instid1(VALU_DEP_1)
	v_lshl_add_u32 v16, v18, 23, v16
	v_lshl_or_b32 v16, v19, 21, v16
                                        ; implicit-def: $vgpr19
	s_delay_alu instid0(VALU_DEP_1)
	v_add_nc_u32_e32 v18, 0x38000000, v16
.LBB6_963:                              ;   in Loop: Header=BB6_357 Depth=4
	s_and_not1_saveexec_b32 s73, s13
; %bb.964:                              ;   in Loop: Header=BB6_357 Depth=4
	v_cmp_lt_i64_e64 s13, -1, v[50:51]
	v_mov_b32_e32 v16, 0x7f800000
	v_cmp_eq_u32_e32 vcc_lo, 0, v19
	s_delay_alu instid0(VALU_DEP_2) | instskip(NEXT) | instid1(VALU_DEP_1)
	v_cndmask_b32_e64 v16, 0xff800000, v16, s13
	v_cndmask_b32_e32 v18, 0x7f800001, v16, vcc_lo
; %bb.965:                              ;   in Loop: Header=BB6_357 Depth=4
	s_or_b32 exec_lo, exec_lo, s73
.LBB6_966:                              ;   in Loop: Header=BB6_357 Depth=4
	s_delay_alu instid0(SALU_CYCLE_1)
	s_or_b32 exec_lo, exec_lo, s72
.LBB6_967:                              ;   in Loop: Header=BB6_357 Depth=4
	s_delay_alu instid0(SALU_CYCLE_1) | instskip(NEXT) | instid1(SALU_CYCLE_1)
	s_or_b32 exec_lo, exec_lo, s63
	s_mov_b32 s63, exec_lo
	v_cmpx_lt_u64_e64 s[22:23], v[38:39]
	s_cbranch_execz .LBB6_977
; %bb.968:                              ;   in Loop: Header=BB6_357 Depth=4
	v_lshrrev_b32_e32 v16, 24, v39
	v_bfrev_b32_e32 v17, 1
	s_mov_b32 s72, exec_lo
	s_delay_alu instid0(VALU_DEP_2)
	v_cmpx_ne_u32_e32 0x80, v16
	s_cbranch_execz .LBB6_976
; %bb.969:                              ;   in Loop: Header=BB6_357 Depth=4
	v_and_b32_e32 v17, 0x7c000000, v39
	v_bfe_u32 v19, v39, 24, 2
	s_delay_alu instid0(VALU_DEP_2) | instskip(SKIP_1) | instid1(SALU_CYCLE_1)
	v_cmp_ne_u32_e32 vcc_lo, 0x7c000000, v17
                                        ; implicit-def: $vgpr17
	s_and_saveexec_b32 s13, vcc_lo
	s_xor_b32 s13, exec_lo, s13
	s_cbranch_execz .LBB6_973
; %bb.970:                              ;   in Loop: Header=BB6_357 Depth=4
	v_bfe_u32 v17, v39, 26, 5
	s_mov_b32 s73, exec_lo
	s_delay_alu instid0(VALU_DEP_1)
	v_cmpx_eq_u32_e32 0, v17
; %bb.971:                              ;   in Loop: Header=BB6_357 Depth=4
	v_clz_i32_u32_e32 v17, v19
	s_delay_alu instid0(VALU_DEP_1) | instskip(NEXT) | instid1(VALU_DEP_1)
	v_min_u32_e32 v19, 32, v17
	v_subrev_nc_u32_e32 v17, 29, v19
	s_delay_alu instid0(VALU_DEP_1) | instskip(NEXT) | instid1(VALU_DEP_1)
	v_lshlrev_b64_e32 v[16:17], v17, v[16:17]
	v_dual_sub_nc_u32 v17, 30, v19 :: v_dual_bitop2_b32 v19, 3, v16 bitop3:0x40
; %bb.972:                              ;   in Loop: Header=BB6_357 Depth=4
	s_or_b32 exec_lo, exec_lo, s73
	v_and_b32_e32 v16, 0x80000000, v39
                                        ; implicit-def: $vgpr38_vgpr39
	s_delay_alu instid0(VALU_DEP_1) | instskip(NEXT) | instid1(VALU_DEP_1)
	v_lshl_add_u32 v16, v17, 23, v16
	v_lshl_or_b32 v16, v19, 21, v16
                                        ; implicit-def: $vgpr19
	s_delay_alu instid0(VALU_DEP_1)
	v_add_nc_u32_e32 v17, 0x38000000, v16
.LBB6_973:                              ;   in Loop: Header=BB6_357 Depth=4
	s_and_not1_saveexec_b32 s73, s13
; %bb.974:                              ;   in Loop: Header=BB6_357 Depth=4
	v_cmp_lt_i64_e64 s13, -1, v[38:39]
	v_mov_b32_e32 v16, 0x7f800000
	v_cmp_eq_u32_e32 vcc_lo, 0, v19
	s_delay_alu instid0(VALU_DEP_2) | instskip(NEXT) | instid1(VALU_DEP_1)
	v_cndmask_b32_e64 v16, 0xff800000, v16, s13
	v_cndmask_b32_e32 v17, 0x7f800001, v16, vcc_lo
; %bb.975:                              ;   in Loop: Header=BB6_357 Depth=4
	s_or_b32 exec_lo, exec_lo, s73
.LBB6_976:                              ;   in Loop: Header=BB6_357 Depth=4
	s_delay_alu instid0(SALU_CYCLE_1)
	s_or_b32 exec_lo, exec_lo, s72
.LBB6_977:                              ;   in Loop: Header=BB6_357 Depth=4
	s_delay_alu instid0(SALU_CYCLE_1) | instskip(NEXT) | instid1(VALU_DEP_1)
	s_or_b32 exec_lo, exec_lo, s63
	v_dual_mul_f32 v16, v18, v17 :: v_dual_mov_b32 v19, v21
                                        ; implicit-def: $vgpr38
	s_mov_b32 s13, exec_lo
	s_delay_alu instid0(VALU_DEP_1) | instskip(SKIP_2) | instid1(VALU_DEP_3)
	v_and_b32_e32 v18, 0x7f800000, v16
	v_and_b32_e32 v20, 0x7fffff, v16
	v_lshrrev_b32_e32 v17, 24, v16
	v_cmpx_ne_u64_e32 0x7f800000, v[18:19]
	s_xor_b32 s63, exec_lo, s13
	s_cbranch_execz .LBB6_991
; %bb.978:                              ;   in Loop: Header=BB6_357 Depth=4
	v_and_b32_e32 v18, 0x7fffffff, v16
	v_mov_b32_e32 v19, v21
	v_and_b32_e32 v39, 0x80, v17
                                        ; implicit-def: $vgpr38
	s_mov_b32 s13, exec_lo
	s_delay_alu instid0(VALU_DEP_2)
	v_cmpx_gt_u64_e32 0x47600001, v[18:19]
	s_xor_b32 s72, exec_lo, s13
	s_cbranch_execz .LBB6_988
; %bb.979:                              ;   in Loop: Header=BB6_357 Depth=4
	v_mov_b32_e32 v38, 0
	s_mov_b32 s73, exec_lo
	v_cmpx_ne_u32_e32 0, v16
	s_cbranch_execz .LBB6_987
; %bb.980:                              ;   in Loop: Header=BB6_357 Depth=4
	v_bfe_u32 v38, v16, 23, 8
	v_or_b32_e32 v17, 0x800000, v20
	s_delay_alu instid0(VALU_DEP_2) | instskip(SKIP_2) | instid1(VALU_DEP_2)
	v_cmp_gt_u32_e64 s13, 0x72, v38
	v_sub_nc_u32_e32 v16, 0x71, v38
	v_cmp_eq_u32_e32 vcc_lo, 0, v38
	v_cndmask_b32_e64 v16, 0, v16, s13
	s_delay_alu instid0(VALU_DEP_1) | instskip(SKIP_1) | instid1(VALU_DEP_2)
	v_cndmask_b32_e64 v50, v16, 0x70, vcc_lo
	v_cndmask_b32_e32 v16, v17, v20, vcc_lo
	v_dual_mov_b32 v17, v21 :: v_dual_add_nc_u32 v18, 21, v50
	v_add_nc_u32_e32 v20, 20, v50
	s_delay_alu instid0(VALU_DEP_2) | instskip(NEXT) | instid1(VALU_DEP_2)
	v_lshlrev_b64_e64 v[18:19], v18, -1
	v_lshlrev_b64_e64 v[68:69], v20, 1
	s_delay_alu instid0(VALU_DEP_2) | instskip(SKIP_1) | instid1(VALU_DEP_4)
	v_bfi_b32 v18, v18, 0, v16
	v_lshrrev_b64 v[16:17], v50, v[16:17]
	v_bfi_b32 v19, v19, 0, 0
	s_delay_alu instid0(VALU_DEP_1) | instskip(NEXT) | instid1(VALU_DEP_3)
	v_cmp_eq_u64_e64 s13, v[18:19], v[68:69]
	v_mov_b64_e32 v[18:19], v[16:17]
	s_and_saveexec_b32 s74, s13
; %bb.981:                              ;   in Loop: Header=BB6_357 Depth=4
	v_bfe_u32 v18, v16, 21, 1
	v_mov_b32_e32 v19, v21
	s_delay_alu instid0(VALU_DEP_1) | instskip(NEXT) | instid1(VALU_DEP_1)
	v_add_nc_u64_e32 v[18:19], v[16:17], v[18:19]
	v_add_nc_u64_e32 v[18:19], -1, v[18:19]
; %bb.982:                              ;   in Loop: Header=BB6_357 Depth=4
	s_or_b32 exec_lo, exec_lo, s74
	v_add_nc_u32_e32 v17, 0xffffff81, v38
	v_lshrrev_b32_e32 v19, 23, v16
	s_mov_b32 s13, exec_lo
	s_delay_alu instid0(VALU_DEP_2) | instskip(NEXT) | instid1(VALU_DEP_1)
	v_cndmask_b32_e64 v17, v17, 0xffffff82, vcc_lo
	v_add3_u32 v38, v50, v17, v19
	v_and_b32_e32 v17, 0x1fffff, v18
                                        ; implicit-def: $vgpr18
	s_delay_alu instid0(VALU_DEP_1) | instskip(NEXT) | instid1(VALU_DEP_1)
	v_dual_add_nc_u32 v19, 14, v38 :: v_dual_add_nc_u32 v20, v17, v16
                                        ; implicit-def: $vgpr16_vgpr17
	v_cmpx_ne_u32_e32 0, v19
	s_xor_b32 s13, exec_lo, s13
; %bb.983:                              ;   in Loop: Header=BB6_357 Depth=4
	s_delay_alu instid0(VALU_DEP_2) | instskip(SKIP_1) | instid1(VALU_DEP_1)
	v_cmp_lt_u64_e32 vcc_lo, 0xffffff, v[20:21]
	v_add_nc_u32_e32 v16, 15, v38
	v_cndmask_b32_e32 v18, v19, v16, vcc_lo
	v_cndmask_b32_e64 v16, 0, 1, vcc_lo
	s_delay_alu instid0(VALU_DEP_1)
	v_lshrrev_b64 v[16:17], v16, v[20:21]
; %bb.984:                              ;   in Loop: Header=BB6_357 Depth=4
	s_and_not1_saveexec_b32 s13, s13
; %bb.985:                              ;   in Loop: Header=BB6_357 Depth=4
	v_mov_b64_e32 v[16:17], v[20:21]
	v_bfe_u32 v18, v20, 23, 1
; %bb.986:                              ;   in Loop: Header=BB6_357 Depth=4
	s_or_b32 exec_lo, exec_lo, s13
	s_delay_alu instid0(VALU_DEP_2) | instskip(NEXT) | instid1(VALU_DEP_2)
	v_lshrrev_b64 v[16:17], 21, v[16:17]
	v_cmp_gt_i32_e32 vcc_lo, 32, v18
	v_min_i32_e32 v19, 31, v18
	v_cmp_eq_u32_e64 s13, 0, v18
	s_delay_alu instid0(VALU_DEP_2) | instskip(SKIP_1) | instid1(VALU_DEP_2)
	v_dual_cndmask_b32 v17, 0, v17, vcc_lo :: v_dual_lshlrev_b32 v19, 2, v19
	v_cndmask_b32_e32 v16, 3, v16, vcc_lo
	v_and_b32_e32 v19, 0xfc, v19
	s_delay_alu instid0(VALU_DEP_2) | instskip(NEXT) | instid1(VALU_DEP_2)
	v_cmp_eq_u64_e32 vcc_lo, 0, v[16:17]
	v_and_or_b32 v16, v16, 3, v19
	s_and_b32 s13, s13, vcc_lo
	s_delay_alu instid0(VALU_DEP_1) | instid1(SALU_CYCLE_1)
	v_cndmask_b32_e64 v16, v16, 0, s13
	s_delay_alu instid0(VALU_DEP_1)
	v_or_b32_e32 v38, v16, v39
.LBB6_987:                              ;   in Loop: Header=BB6_357 Depth=4
	s_or_b32 exec_lo, exec_lo, s73
                                        ; implicit-def: $vgpr39
.LBB6_988:                              ;   in Loop: Header=BB6_357 Depth=4
	s_and_not1_saveexec_b32 s13, s72
; %bb.989:                              ;   in Loop: Header=BB6_357 Depth=4
	v_or_b32_e32 v38, 0x7b, v39
; %bb.990:                              ;   in Loop: Header=BB6_357 Depth=4
	s_or_b32 exec_lo, exec_lo, s13
                                        ; implicit-def: $vgpr16
                                        ; implicit-def: $vgpr17
.LBB6_991:                              ;   in Loop: Header=BB6_357 Depth=4
	s_and_not1_saveexec_b32 s13, s63
	s_cbranch_execz .LBB6_997
; %bb.992:                              ;   in Loop: Header=BB6_357 Depth=4
	s_mov_b32 s63, exec_lo
                                        ; implicit-def: $vgpr38
	v_cmpx_ne_u64_e32 0, v[20:21]
	s_xor_b32 s63, exec_lo, s63
; %bb.993:                              ;   in Loop: Header=BB6_357 Depth=4
	v_or_b32_e32 v38, 0x7f, v17
                                        ; implicit-def: $vgpr16
; %bb.994:                              ;   in Loop: Header=BB6_357 Depth=4
	s_and_not1_saveexec_b32 s63, s63
; %bb.995:                              ;   in Loop: Header=BB6_357 Depth=4
	v_cmp_lt_i32_e32 vcc_lo, -1, v16
	v_mov_b32_e32 v16, 0x7c
	s_delay_alu instid0(VALU_DEP_1)
	v_cndmask_b32_e32 v38, 0xfc, v16, vcc_lo
; %bb.996:                              ;   in Loop: Header=BB6_357 Depth=4
	s_or_b32 exec_lo, exec_lo, s63
.LBB6_997:                              ;   in Loop: Header=BB6_357 Depth=4
	s_delay_alu instid0(SALU_CYCLE_1) | instskip(SKIP_2) | instid1(VALU_DEP_2)
	s_or_b32 exec_lo, exec_lo, s13
	v_and_b32_e32 v17, 0xff, v32
	v_mov_b32_e32 v16, 0
	v_cmp_ne_u16_e32 vcc_lo, 0, v17
	v_mov_b32_e32 v17, 0
	s_and_saveexec_b32 s63, vcc_lo
	s_cbranch_execz .LBB6_1007
; %bb.998:                              ;   in Loop: Header=BB6_357 Depth=4
	v_bfe_i32 v19, v32, 0, 8
	v_bfrev_b32_e32 v17, 1
	s_mov_b32 s72, exec_lo
	s_delay_alu instid0(VALU_DEP_2)
	v_cmpx_ne_u16_e32 0xff80, v19
	s_cbranch_execz .LBB6_1006
; %bb.999:                              ;   in Loop: Header=BB6_357 Depth=4
	v_and_b32_e32 v17, 0x7c, v32
	v_and_b32_e32 v18, 3, v32
	s_delay_alu instid0(VALU_DEP_2) | instskip(SKIP_1) | instid1(SALU_CYCLE_1)
	v_cmp_ne_u32_e32 vcc_lo, 0x7c, v17
                                        ; implicit-def: $vgpr17
	s_and_saveexec_b32 s13, vcc_lo
	s_xor_b32 s13, exec_lo, s13
	s_cbranch_execz .LBB6_1003
; %bb.1000:                             ;   in Loop: Header=BB6_357 Depth=4
	v_bfe_u32 v17, v32, 2, 5
	s_mov_b32 s73, exec_lo
	s_delay_alu instid0(VALU_DEP_1)
	v_cmpx_eq_u32_e32 0, v17
; %bb.1001:                             ;   in Loop: Header=BB6_357 Depth=4
	v_clz_i32_u32_e32 v17, v18
	s_delay_alu instid0(VALU_DEP_1) | instskip(NEXT) | instid1(VALU_DEP_1)
	v_min_u32_e32 v17, 32, v17
	v_subrev_nc_u32_e32 v18, 29, v17
	s_delay_alu instid0(VALU_DEP_1) | instskip(NEXT) | instid1(VALU_DEP_1)
	v_lshlrev_b64_e32 v[18:19], v18, v[32:33]
	v_dual_sub_nc_u32 v17, 30, v17 :: v_dual_bitop2_b32 v18, 3, v18 bitop3:0x40
; %bb.1002:                             ;   in Loop: Header=BB6_357 Depth=4
	s_or_b32 exec_lo, exec_lo, s73
	v_lshlrev_b32_e32 v19, 24, v32
	s_delay_alu instid0(VALU_DEP_1) | instskip(NEXT) | instid1(VALU_DEP_1)
	v_and_b32_e32 v19, 0x80000000, v19
	v_lshl_add_u32 v17, v17, 23, v19
                                        ; implicit-def: $vgpr19
	s_delay_alu instid0(VALU_DEP_1) | instskip(NEXT) | instid1(VALU_DEP_1)
	v_lshl_or_b32 v17, v18, 21, v17
                                        ; implicit-def: $vgpr18
	v_add_nc_u32_e32 v17, 0x38000000, v17
.LBB6_1003:                             ;   in Loop: Header=BB6_357 Depth=4
	s_and_not1_saveexec_b32 s73, s13
; %bb.1004:                             ;   in Loop: Header=BB6_357 Depth=4
	v_cmp_lt_i16_e64 s13, -1, v19
	v_mov_b32_e32 v17, 0x7f800000
	v_cmp_eq_u32_e32 vcc_lo, 0, v18
	s_delay_alu instid0(VALU_DEP_2) | instskip(NEXT) | instid1(VALU_DEP_1)
	v_cndmask_b32_e64 v17, 0xff800000, v17, s13
	v_cndmask_b32_e32 v17, 0x7f800001, v17, vcc_lo
; %bb.1005:                             ;   in Loop: Header=BB6_357 Depth=4
	s_or_b32 exec_lo, exec_lo, s73
.LBB6_1006:                             ;   in Loop: Header=BB6_357 Depth=4
	s_delay_alu instid0(SALU_CYCLE_1)
	s_or_b32 exec_lo, exec_lo, s72
.LBB6_1007:                             ;   in Loop: Header=BB6_357 Depth=4
	s_delay_alu instid0(SALU_CYCLE_1) | instskip(SKIP_3) | instid1(VALU_DEP_1)
	s_or_b32 exec_lo, exec_lo, s63
	s_wait_loadcnt 0x2
	v_and_b32_e32 v18, 0xff, v24
	s_mov_b32 s63, exec_lo
	v_cmpx_ne_u16_e32 0, v18
	s_cbranch_execz .LBB6_1017
; %bb.1008:                             ;   in Loop: Header=BB6_357 Depth=4
	v_bfe_i32 v19, v24, 0, 8
	v_bfrev_b32_e32 v16, 1
	s_mov_b32 s72, exec_lo
	s_delay_alu instid0(VALU_DEP_2)
	v_cmpx_ne_u16_e32 0xff80, v19
	s_cbranch_execz .LBB6_1016
; %bb.1009:                             ;   in Loop: Header=BB6_357 Depth=4
	v_and_b32_e32 v16, 0x7c, v24
	v_and_b32_e32 v18, 3, v24
	s_delay_alu instid0(VALU_DEP_2) | instskip(SKIP_1) | instid1(SALU_CYCLE_1)
	v_cmp_ne_u32_e32 vcc_lo, 0x7c, v16
                                        ; implicit-def: $vgpr16
	s_and_saveexec_b32 s13, vcc_lo
	s_xor_b32 s13, exec_lo, s13
	s_cbranch_execz .LBB6_1013
; %bb.1010:                             ;   in Loop: Header=BB6_357 Depth=4
	v_bfe_u32 v16, v24, 2, 5
	s_mov_b32 s73, exec_lo
	s_delay_alu instid0(VALU_DEP_1)
	v_cmpx_eq_u32_e32 0, v16
; %bb.1011:                             ;   in Loop: Header=BB6_357 Depth=4
	v_clz_i32_u32_e32 v16, v18
	s_delay_alu instid0(VALU_DEP_1) | instskip(NEXT) | instid1(VALU_DEP_1)
	v_min_u32_e32 v16, 32, v16
	v_subrev_nc_u32_e32 v18, 29, v16
	s_delay_alu instid0(VALU_DEP_1) | instskip(NEXT) | instid1(VALU_DEP_1)
	v_lshlrev_b64_e32 v[18:19], v18, v[24:25]
	v_dual_sub_nc_u32 v16, 30, v16 :: v_dual_bitop2_b32 v18, 3, v18 bitop3:0x40
; %bb.1012:                             ;   in Loop: Header=BB6_357 Depth=4
	s_or_b32 exec_lo, exec_lo, s73
	v_lshlrev_b32_e32 v19, 24, v24
	s_delay_alu instid0(VALU_DEP_1) | instskip(NEXT) | instid1(VALU_DEP_1)
	v_and_b32_e32 v19, 0x80000000, v19
	v_lshl_add_u32 v16, v16, 23, v19
                                        ; implicit-def: $vgpr19
	s_delay_alu instid0(VALU_DEP_1) | instskip(NEXT) | instid1(VALU_DEP_1)
	v_lshl_or_b32 v16, v18, 21, v16
                                        ; implicit-def: $vgpr18
	v_add_nc_u32_e32 v16, 0x38000000, v16
.LBB6_1013:                             ;   in Loop: Header=BB6_357 Depth=4
	s_and_not1_saveexec_b32 s73, s13
; %bb.1014:                             ;   in Loop: Header=BB6_357 Depth=4
	v_cmp_lt_i16_e64 s13, -1, v19
	v_mov_b32_e32 v16, 0x7f800000
	v_cmp_eq_u32_e32 vcc_lo, 0, v18
	s_delay_alu instid0(VALU_DEP_2) | instskip(NEXT) | instid1(VALU_DEP_1)
	v_cndmask_b32_e64 v16, 0xff800000, v16, s13
	v_cndmask_b32_e32 v16, 0x7f800001, v16, vcc_lo
; %bb.1015:                             ;   in Loop: Header=BB6_357 Depth=4
	s_or_b32 exec_lo, exec_lo, s73
.LBB6_1016:                             ;   in Loop: Header=BB6_357 Depth=4
	s_delay_alu instid0(SALU_CYCLE_1)
	s_or_b32 exec_lo, exec_lo, s72
.LBB6_1017:                             ;   in Loop: Header=BB6_357 Depth=4
	s_delay_alu instid0(SALU_CYCLE_1) | instskip(NEXT) | instid1(VALU_DEP_1)
	s_or_b32 exec_lo, exec_lo, s63
	v_mul_f32_e32 v16, v17, v16
	v_mov_b32_e32 v19, v21
                                        ; implicit-def: $vgpr39
	s_mov_b32 s13, exec_lo
	s_delay_alu instid0(VALU_DEP_2) | instskip(SKIP_2) | instid1(VALU_DEP_3)
	v_and_b32_e32 v18, 0x7f800000, v16
	v_and_b32_e32 v20, 0x7fffff, v16
	v_lshrrev_b32_e32 v17, 24, v16
	v_cmpx_ne_u64_e32 0x7f800000, v[18:19]
	s_xor_b32 s63, exec_lo, s13
	s_cbranch_execz .LBB6_1031
; %bb.1018:                             ;   in Loop: Header=BB6_357 Depth=4
	v_and_b32_e32 v18, 0x7fffffff, v16
	v_mov_b32_e32 v19, v21
	v_and_b32_e32 v50, 0x80, v17
                                        ; implicit-def: $vgpr39
	s_mov_b32 s13, exec_lo
	s_delay_alu instid0(VALU_DEP_2)
	v_cmpx_gt_u64_e32 0x47600001, v[18:19]
	s_xor_b32 s72, exec_lo, s13
	s_cbranch_execz .LBB6_1028
; %bb.1019:                             ;   in Loop: Header=BB6_357 Depth=4
	v_mov_b32_e32 v39, 0
	s_mov_b32 s73, exec_lo
	v_cmpx_ne_u32_e32 0, v16
	s_cbranch_execz .LBB6_1027
; %bb.1020:                             ;   in Loop: Header=BB6_357 Depth=4
	v_bfe_u32 v39, v16, 23, 8
	v_or_b32_e32 v17, 0x800000, v20
	s_delay_alu instid0(VALU_DEP_2) | instskip(SKIP_2) | instid1(VALU_DEP_2)
	v_cmp_gt_u32_e64 s13, 0x72, v39
	v_sub_nc_u32_e32 v16, 0x71, v39
	v_cmp_eq_u32_e32 vcc_lo, 0, v39
	v_cndmask_b32_e64 v16, 0, v16, s13
	s_delay_alu instid0(VALU_DEP_1) | instskip(SKIP_1) | instid1(VALU_DEP_2)
	v_cndmask_b32_e64 v51, v16, 0x70, vcc_lo
	v_cndmask_b32_e32 v16, v17, v20, vcc_lo
	v_dual_mov_b32 v17, v21 :: v_dual_add_nc_u32 v18, 21, v51
	v_add_nc_u32_e32 v20, 20, v51
	s_delay_alu instid0(VALU_DEP_2) | instskip(NEXT) | instid1(VALU_DEP_2)
	v_lshlrev_b64_e64 v[18:19], v18, -1
	v_lshlrev_b64_e64 v[68:69], v20, 1
	s_delay_alu instid0(VALU_DEP_2) | instskip(SKIP_1) | instid1(VALU_DEP_4)
	v_bfi_b32 v18, v18, 0, v16
	v_lshrrev_b64 v[16:17], v51, v[16:17]
	v_bfi_b32 v19, v19, 0, 0
	s_delay_alu instid0(VALU_DEP_1) | instskip(NEXT) | instid1(VALU_DEP_3)
	v_cmp_eq_u64_e64 s13, v[18:19], v[68:69]
	v_mov_b64_e32 v[18:19], v[16:17]
	s_and_saveexec_b32 s74, s13
; %bb.1021:                             ;   in Loop: Header=BB6_357 Depth=4
	v_bfe_u32 v18, v16, 21, 1
	v_mov_b32_e32 v19, v21
	s_delay_alu instid0(VALU_DEP_1) | instskip(NEXT) | instid1(VALU_DEP_1)
	v_add_nc_u64_e32 v[18:19], v[16:17], v[18:19]
	v_add_nc_u64_e32 v[18:19], -1, v[18:19]
; %bb.1022:                             ;   in Loop: Header=BB6_357 Depth=4
	s_or_b32 exec_lo, exec_lo, s74
	v_add_nc_u32_e32 v17, 0xffffff81, v39
	v_lshrrev_b32_e32 v19, 23, v16
	s_mov_b32 s13, exec_lo
	s_delay_alu instid0(VALU_DEP_2) | instskip(NEXT) | instid1(VALU_DEP_1)
	v_cndmask_b32_e64 v17, v17, 0xffffff82, vcc_lo
	v_add3_u32 v39, v51, v17, v19
	v_and_b32_e32 v17, 0x1fffff, v18
                                        ; implicit-def: $vgpr18
	s_delay_alu instid0(VALU_DEP_1) | instskip(NEXT) | instid1(VALU_DEP_1)
	v_dual_add_nc_u32 v19, 14, v39 :: v_dual_add_nc_u32 v20, v17, v16
                                        ; implicit-def: $vgpr16_vgpr17
	v_cmpx_ne_u32_e32 0, v19
	s_xor_b32 s13, exec_lo, s13
; %bb.1023:                             ;   in Loop: Header=BB6_357 Depth=4
	s_delay_alu instid0(VALU_DEP_2) | instskip(SKIP_1) | instid1(VALU_DEP_1)
	v_cmp_lt_u64_e32 vcc_lo, 0xffffff, v[20:21]
	v_add_nc_u32_e32 v16, 15, v39
	v_cndmask_b32_e32 v18, v19, v16, vcc_lo
	v_cndmask_b32_e64 v16, 0, 1, vcc_lo
	s_delay_alu instid0(VALU_DEP_1)
	v_lshrrev_b64 v[16:17], v16, v[20:21]
; %bb.1024:                             ;   in Loop: Header=BB6_357 Depth=4
	s_and_not1_saveexec_b32 s13, s13
; %bb.1025:                             ;   in Loop: Header=BB6_357 Depth=4
	v_mov_b64_e32 v[16:17], v[20:21]
	v_bfe_u32 v18, v20, 23, 1
; %bb.1026:                             ;   in Loop: Header=BB6_357 Depth=4
	s_or_b32 exec_lo, exec_lo, s13
	s_delay_alu instid0(VALU_DEP_2) | instskip(NEXT) | instid1(VALU_DEP_2)
	v_lshrrev_b64 v[16:17], 21, v[16:17]
	v_cmp_gt_i32_e32 vcc_lo, 32, v18
	v_min_i32_e32 v19, 31, v18
	v_cmp_eq_u32_e64 s13, 0, v18
	s_delay_alu instid0(VALU_DEP_2) | instskip(SKIP_1) | instid1(VALU_DEP_2)
	v_dual_cndmask_b32 v17, 0, v17, vcc_lo :: v_dual_lshlrev_b32 v19, 2, v19
	v_cndmask_b32_e32 v16, 3, v16, vcc_lo
	v_and_b32_e32 v19, 0xfc, v19
	s_delay_alu instid0(VALU_DEP_2) | instskip(NEXT) | instid1(VALU_DEP_2)
	v_cmp_eq_u64_e32 vcc_lo, 0, v[16:17]
	v_and_or_b32 v16, v16, 3, v19
	s_and_b32 s13, s13, vcc_lo
	s_delay_alu instid0(VALU_DEP_1) | instid1(SALU_CYCLE_1)
	v_cndmask_b32_e64 v16, v16, 0, s13
	s_delay_alu instid0(VALU_DEP_1)
	v_or_b32_e32 v39, v16, v50
.LBB6_1027:                             ;   in Loop: Header=BB6_357 Depth=4
	s_or_b32 exec_lo, exec_lo, s73
                                        ; implicit-def: $vgpr50
.LBB6_1028:                             ;   in Loop: Header=BB6_357 Depth=4
	s_and_not1_saveexec_b32 s13, s72
; %bb.1029:                             ;   in Loop: Header=BB6_357 Depth=4
	v_or_b32_e32 v39, 0x7b, v50
; %bb.1030:                             ;   in Loop: Header=BB6_357 Depth=4
	s_or_b32 exec_lo, exec_lo, s13
                                        ; implicit-def: $vgpr16
                                        ; implicit-def: $vgpr17
.LBB6_1031:                             ;   in Loop: Header=BB6_357 Depth=4
	s_and_not1_saveexec_b32 s13, s63
	s_cbranch_execz .LBB6_1037
; %bb.1032:                             ;   in Loop: Header=BB6_357 Depth=4
	s_mov_b32 s63, exec_lo
                                        ; implicit-def: $vgpr39
	v_cmpx_ne_u64_e32 0, v[20:21]
	s_xor_b32 s63, exec_lo, s63
; %bb.1033:                             ;   in Loop: Header=BB6_357 Depth=4
	v_or_b32_e32 v39, 0x7f, v17
                                        ; implicit-def: $vgpr16
; %bb.1034:                             ;   in Loop: Header=BB6_357 Depth=4
	s_and_not1_saveexec_b32 s63, s63
; %bb.1035:                             ;   in Loop: Header=BB6_357 Depth=4
	v_cmp_lt_i32_e32 vcc_lo, -1, v16
	v_mov_b32_e32 v16, 0x7c
	s_delay_alu instid0(VALU_DEP_1)
	v_cndmask_b32_e32 v39, 0xfc, v16, vcc_lo
; %bb.1036:                             ;   in Loop: Header=BB6_357 Depth=4
	s_or_b32 exec_lo, exec_lo, s63
.LBB6_1037:                             ;   in Loop: Header=BB6_357 Depth=4
	s_delay_alu instid0(SALU_CYCLE_1) | instskip(SKIP_3) | instid1(VALU_DEP_2)
	s_or_b32 exec_lo, exec_lo, s13
	v_lshrrev_b16 v16, 8, v32
	v_dual_mov_b32 v18, 0 :: v_dual_mov_b32 v19, 0
	s_mov_b32 s63, exec_lo
	v_cmpx_ne_u16_e32 0, v16
	s_cbranch_execz .LBB6_1047
; %bb.1038:                             ;   in Loop: Header=BB6_357 Depth=4
	v_bfrev_b32_e32 v19, 1
	s_mov_b32 s72, exec_lo
	v_cmpx_ne_u16_e32 0x80, v16
	s_cbranch_execz .LBB6_1046
; %bb.1039:                             ;   in Loop: Header=BB6_357 Depth=4
	v_and_b32_e32 v20, 0xffff, v16
	s_delay_alu instid0(VALU_DEP_1) | instskip(SKIP_1) | instid1(VALU_DEP_2)
	v_and_b32_e32 v19, 0x7c, v20
	v_and_b32_e32 v17, 3, v20
	v_cmp_ne_u32_e32 vcc_lo, 0x7c, v19
                                        ; implicit-def: $vgpr19
	s_and_saveexec_b32 s13, vcc_lo
	s_delay_alu instid0(SALU_CYCLE_1)
	s_xor_b32 s13, exec_lo, s13
	s_cbranch_execz .LBB6_1043
; %bb.1040:                             ;   in Loop: Header=BB6_357 Depth=4
	v_bfe_u32 v19, v20, 2, 5
	s_mov_b32 s73, exec_lo
	s_delay_alu instid0(VALU_DEP_1)
	v_cmpx_eq_u32_e32 0, v19
	s_cbranch_execz .LBB6_1042
; %bb.1041:                             ;   in Loop: Header=BB6_357 Depth=4
	v_clz_i32_u32_e32 v17, v17
	s_delay_alu instid0(VALU_DEP_1) | instskip(SKIP_1) | instid1(VALU_DEP_2)
	v_min_u32_e32 v19, 32, v17
	v_mov_b32_e32 v17, v21
	v_subrev_nc_u32_e32 v20, 29, v19
	v_sub_nc_u32_e32 v19, 30, v19
	s_delay_alu instid0(VALU_DEP_2) | instskip(NEXT) | instid1(VALU_DEP_1)
	v_lshlrev_b64_e32 v[16:17], v20, v[16:17]
	v_and_b32_e32 v17, 3, v16
.LBB6_1042:                             ;   in Loop: Header=BB6_357 Depth=4
	s_or_b32 exec_lo, exec_lo, s73
	v_lshlrev_b32_e32 v16, 16, v32
	s_delay_alu instid0(VALU_DEP_1) | instskip(NEXT) | instid1(VALU_DEP_1)
	v_and_b32_e32 v16, 0x80000000, v16
	v_lshl_add_u32 v16, v19, 23, v16
	s_delay_alu instid0(VALU_DEP_1) | instskip(NEXT) | instid1(VALU_DEP_1)
	v_lshl_or_b32 v16, v17, 21, v16
                                        ; implicit-def: $vgpr17
	v_add_nc_u32_e32 v19, 0x38000000, v16
.LBB6_1043:                             ;   in Loop: Header=BB6_357 Depth=4
	s_and_not1_saveexec_b32 s73, s13
; %bb.1044:                             ;   in Loop: Header=BB6_357 Depth=4
	v_cmp_lt_i16_e64 s13, -1, v32
	v_mov_b32_e32 v16, 0x7f800000
	v_cmp_eq_u32_e32 vcc_lo, 0, v17
	s_delay_alu instid0(VALU_DEP_2) | instskip(NEXT) | instid1(VALU_DEP_1)
	v_cndmask_b32_e64 v16, 0xff800000, v16, s13
	v_cndmask_b32_e32 v19, 0x7f800001, v16, vcc_lo
; %bb.1045:                             ;   in Loop: Header=BB6_357 Depth=4
	s_or_b32 exec_lo, exec_lo, s73
.LBB6_1046:                             ;   in Loop: Header=BB6_357 Depth=4
	s_delay_alu instid0(SALU_CYCLE_1)
	s_or_b32 exec_lo, exec_lo, s72
.LBB6_1047:                             ;   in Loop: Header=BB6_357 Depth=4
	s_delay_alu instid0(SALU_CYCLE_1) | instskip(SKIP_2) | instid1(VALU_DEP_1)
	s_or_b32 exec_lo, exec_lo, s63
	v_lshrrev_b16 v16, 8, v24
	s_mov_b32 s63, exec_lo
	v_cmpx_ne_u16_e32 0, v16
	s_cbranch_execz .LBB6_1057
; %bb.1048:                             ;   in Loop: Header=BB6_357 Depth=4
	v_bfrev_b32_e32 v18, 1
	s_mov_b32 s72, exec_lo
	v_cmpx_ne_u16_e32 0x80, v16
	s_cbranch_execz .LBB6_1056
; %bb.1049:                             ;   in Loop: Header=BB6_357 Depth=4
	v_and_b32_e32 v20, 0xffff, v16
	s_delay_alu instid0(VALU_DEP_1) | instskip(SKIP_1) | instid1(VALU_DEP_2)
	v_and_b32_e32 v18, 0x7c, v20
	v_and_b32_e32 v17, 3, v20
	v_cmp_ne_u32_e32 vcc_lo, 0x7c, v18
                                        ; implicit-def: $vgpr18
	s_and_saveexec_b32 s13, vcc_lo
	s_delay_alu instid0(SALU_CYCLE_1)
	s_xor_b32 s13, exec_lo, s13
	s_cbranch_execz .LBB6_1053
; %bb.1050:                             ;   in Loop: Header=BB6_357 Depth=4
	v_bfe_u32 v18, v20, 2, 5
	s_mov_b32 s73, exec_lo
	s_delay_alu instid0(VALU_DEP_1)
	v_cmpx_eq_u32_e32 0, v18
	s_cbranch_execz .LBB6_1052
; %bb.1051:                             ;   in Loop: Header=BB6_357 Depth=4
	v_clz_i32_u32_e32 v17, v17
	s_delay_alu instid0(VALU_DEP_1) | instskip(SKIP_1) | instid1(VALU_DEP_2)
	v_min_u32_e32 v18, 32, v17
	v_mov_b32_e32 v17, v21
	v_subrev_nc_u32_e32 v20, 29, v18
	v_sub_nc_u32_e32 v18, 30, v18
	s_delay_alu instid0(VALU_DEP_2) | instskip(NEXT) | instid1(VALU_DEP_1)
	v_lshlrev_b64_e32 v[16:17], v20, v[16:17]
	v_and_b32_e32 v17, 3, v16
.LBB6_1052:                             ;   in Loop: Header=BB6_357 Depth=4
	s_or_b32 exec_lo, exec_lo, s73
	v_lshlrev_b32_e32 v16, 16, v24
	s_delay_alu instid0(VALU_DEP_1) | instskip(NEXT) | instid1(VALU_DEP_1)
	v_and_b32_e32 v16, 0x80000000, v16
	v_lshl_add_u32 v16, v18, 23, v16
	s_delay_alu instid0(VALU_DEP_1) | instskip(NEXT) | instid1(VALU_DEP_1)
	v_lshl_or_b32 v16, v17, 21, v16
                                        ; implicit-def: $vgpr17
	v_add_nc_u32_e32 v18, 0x38000000, v16
.LBB6_1053:                             ;   in Loop: Header=BB6_357 Depth=4
	s_and_not1_saveexec_b32 s73, s13
; %bb.1054:                             ;   in Loop: Header=BB6_357 Depth=4
	v_cmp_lt_i16_e64 s13, -1, v24
	v_mov_b32_e32 v16, 0x7f800000
	v_cmp_eq_u32_e32 vcc_lo, 0, v17
	s_delay_alu instid0(VALU_DEP_2) | instskip(NEXT) | instid1(VALU_DEP_1)
	v_cndmask_b32_e64 v16, 0xff800000, v16, s13
	v_cndmask_b32_e32 v18, 0x7f800001, v16, vcc_lo
; %bb.1055:                             ;   in Loop: Header=BB6_357 Depth=4
	s_or_b32 exec_lo, exec_lo, s73
.LBB6_1056:                             ;   in Loop: Header=BB6_357 Depth=4
	s_delay_alu instid0(SALU_CYCLE_1)
	s_or_b32 exec_lo, exec_lo, s72
.LBB6_1057:                             ;   in Loop: Header=BB6_357 Depth=4
	s_delay_alu instid0(SALU_CYCLE_1) | instskip(NEXT) | instid1(VALU_DEP_1)
	s_or_b32 exec_lo, exec_lo, s63
	v_dual_mul_f32 v16, v19, v18 :: v_dual_mov_b32 v19, v21
                                        ; implicit-def: $vgpr50
	s_mov_b32 s13, exec_lo
	s_delay_alu instid0(VALU_DEP_1) | instskip(SKIP_2) | instid1(VALU_DEP_3)
	v_and_b32_e32 v18, 0x7f800000, v16
	v_and_b32_e32 v20, 0x7fffff, v16
	v_lshrrev_b32_e32 v17, 24, v16
	v_cmpx_ne_u64_e32 0x7f800000, v[18:19]
	s_xor_b32 s63, exec_lo, s13
	s_cbranch_execz .LBB6_1071
; %bb.1058:                             ;   in Loop: Header=BB6_357 Depth=4
	v_and_b32_e32 v18, 0x7fffffff, v16
	v_mov_b32_e32 v19, v21
	v_and_b32_e32 v51, 0x80, v17
                                        ; implicit-def: $vgpr50
	s_mov_b32 s13, exec_lo
	s_delay_alu instid0(VALU_DEP_2)
	v_cmpx_gt_u64_e32 0x47600001, v[18:19]
	s_xor_b32 s72, exec_lo, s13
	s_cbranch_execz .LBB6_1068
; %bb.1059:                             ;   in Loop: Header=BB6_357 Depth=4
	v_mov_b32_e32 v50, 0
	s_mov_b32 s73, exec_lo
	v_cmpx_ne_u32_e32 0, v16
	s_cbranch_execz .LBB6_1067
; %bb.1060:                             ;   in Loop: Header=BB6_357 Depth=4
	v_bfe_u32 v50, v16, 23, 8
	v_or_b32_e32 v17, 0x800000, v20
	s_delay_alu instid0(VALU_DEP_2) | instskip(SKIP_2) | instid1(VALU_DEP_2)
	v_cmp_gt_u32_e64 s13, 0x72, v50
	v_sub_nc_u32_e32 v16, 0x71, v50
	v_cmp_eq_u32_e32 vcc_lo, 0, v50
	v_cndmask_b32_e64 v16, 0, v16, s13
	s_delay_alu instid0(VALU_DEP_1) | instskip(SKIP_1) | instid1(VALU_DEP_2)
	v_cndmask_b32_e64 v67, v16, 0x70, vcc_lo
	v_cndmask_b32_e32 v16, v17, v20, vcc_lo
	v_dual_mov_b32 v17, v21 :: v_dual_add_nc_u32 v18, 21, v67
	v_add_nc_u32_e32 v20, 20, v67
	s_delay_alu instid0(VALU_DEP_2) | instskip(NEXT) | instid1(VALU_DEP_2)
	v_lshlrev_b64_e64 v[18:19], v18, -1
	v_lshlrev_b64_e64 v[68:69], v20, 1
	s_delay_alu instid0(VALU_DEP_2) | instskip(SKIP_1) | instid1(VALU_DEP_4)
	v_bfi_b32 v18, v18, 0, v16
	v_lshrrev_b64 v[16:17], v67, v[16:17]
	v_bfi_b32 v19, v19, 0, 0
	s_delay_alu instid0(VALU_DEP_1) | instskip(NEXT) | instid1(VALU_DEP_3)
	v_cmp_eq_u64_e64 s13, v[18:19], v[68:69]
	v_mov_b64_e32 v[18:19], v[16:17]
	s_and_saveexec_b32 s74, s13
; %bb.1061:                             ;   in Loop: Header=BB6_357 Depth=4
	v_bfe_u32 v18, v16, 21, 1
	v_mov_b32_e32 v19, v21
	s_delay_alu instid0(VALU_DEP_1) | instskip(NEXT) | instid1(VALU_DEP_1)
	v_add_nc_u64_e32 v[18:19], v[16:17], v[18:19]
	v_add_nc_u64_e32 v[18:19], -1, v[18:19]
; %bb.1062:                             ;   in Loop: Header=BB6_357 Depth=4
	s_or_b32 exec_lo, exec_lo, s74
	v_add_nc_u32_e32 v17, 0xffffff81, v50
	v_lshrrev_b32_e32 v19, 23, v16
	s_mov_b32 s13, exec_lo
	s_delay_alu instid0(VALU_DEP_2) | instskip(NEXT) | instid1(VALU_DEP_1)
	v_cndmask_b32_e64 v17, v17, 0xffffff82, vcc_lo
	v_add3_u32 v50, v67, v17, v19
	v_and_b32_e32 v17, 0x1fffff, v18
                                        ; implicit-def: $vgpr18
	s_delay_alu instid0(VALU_DEP_1) | instskip(NEXT) | instid1(VALU_DEP_1)
	v_dual_add_nc_u32 v19, 14, v50 :: v_dual_add_nc_u32 v20, v17, v16
                                        ; implicit-def: $vgpr16_vgpr17
	v_cmpx_ne_u32_e32 0, v19
	s_xor_b32 s13, exec_lo, s13
; %bb.1063:                             ;   in Loop: Header=BB6_357 Depth=4
	s_delay_alu instid0(VALU_DEP_2) | instskip(SKIP_1) | instid1(VALU_DEP_1)
	v_cmp_lt_u64_e32 vcc_lo, 0xffffff, v[20:21]
	v_add_nc_u32_e32 v16, 15, v50
	v_cndmask_b32_e32 v18, v19, v16, vcc_lo
	v_cndmask_b32_e64 v16, 0, 1, vcc_lo
	s_delay_alu instid0(VALU_DEP_1)
	v_lshrrev_b64 v[16:17], v16, v[20:21]
; %bb.1064:                             ;   in Loop: Header=BB6_357 Depth=4
	s_and_not1_saveexec_b32 s13, s13
; %bb.1065:                             ;   in Loop: Header=BB6_357 Depth=4
	v_mov_b64_e32 v[16:17], v[20:21]
	v_bfe_u32 v18, v20, 23, 1
; %bb.1066:                             ;   in Loop: Header=BB6_357 Depth=4
	s_or_b32 exec_lo, exec_lo, s13
	s_delay_alu instid0(VALU_DEP_2) | instskip(NEXT) | instid1(VALU_DEP_2)
	v_lshrrev_b64 v[16:17], 21, v[16:17]
	v_cmp_gt_i32_e32 vcc_lo, 32, v18
	v_min_i32_e32 v19, 31, v18
	v_cmp_eq_u32_e64 s13, 0, v18
	s_delay_alu instid0(VALU_DEP_2) | instskip(SKIP_1) | instid1(VALU_DEP_2)
	v_dual_cndmask_b32 v17, 0, v17, vcc_lo :: v_dual_lshlrev_b32 v19, 2, v19
	v_cndmask_b32_e32 v16, 3, v16, vcc_lo
	v_and_b32_e32 v19, 0xfc, v19
	s_delay_alu instid0(VALU_DEP_2) | instskip(NEXT) | instid1(VALU_DEP_2)
	v_cmp_eq_u64_e32 vcc_lo, 0, v[16:17]
	v_and_or_b32 v16, v16, 3, v19
	s_and_b32 s13, s13, vcc_lo
	s_delay_alu instid0(VALU_DEP_1) | instid1(SALU_CYCLE_1)
	v_cndmask_b32_e64 v16, v16, 0, s13
	s_delay_alu instid0(VALU_DEP_1)
	v_or_b32_e32 v50, v16, v51
.LBB6_1067:                             ;   in Loop: Header=BB6_357 Depth=4
	s_or_b32 exec_lo, exec_lo, s73
                                        ; implicit-def: $vgpr51
.LBB6_1068:                             ;   in Loop: Header=BB6_357 Depth=4
	s_and_not1_saveexec_b32 s13, s72
; %bb.1069:                             ;   in Loop: Header=BB6_357 Depth=4
	v_or_b32_e32 v50, 0x7b, v51
; %bb.1070:                             ;   in Loop: Header=BB6_357 Depth=4
	s_or_b32 exec_lo, exec_lo, s13
                                        ; implicit-def: $vgpr16
                                        ; implicit-def: $vgpr17
.LBB6_1071:                             ;   in Loop: Header=BB6_357 Depth=4
	s_and_not1_saveexec_b32 s13, s63
	s_cbranch_execz .LBB6_1077
; %bb.1072:                             ;   in Loop: Header=BB6_357 Depth=4
	s_mov_b32 s63, exec_lo
                                        ; implicit-def: $vgpr50
	v_cmpx_ne_u64_e32 0, v[20:21]
	s_xor_b32 s63, exec_lo, s63
; %bb.1073:                             ;   in Loop: Header=BB6_357 Depth=4
	v_or_b32_e32 v50, 0x7f, v17
                                        ; implicit-def: $vgpr16
; %bb.1074:                             ;   in Loop: Header=BB6_357 Depth=4
	s_and_not1_saveexec_b32 s63, s63
; %bb.1075:                             ;   in Loop: Header=BB6_357 Depth=4
	v_cmp_lt_i32_e32 vcc_lo, -1, v16
	v_mov_b32_e32 v16, 0x7c
	s_delay_alu instid0(VALU_DEP_1)
	v_cndmask_b32_e32 v50, 0xfc, v16, vcc_lo
; %bb.1076:                             ;   in Loop: Header=BB6_357 Depth=4
	s_or_b32 exec_lo, exec_lo, s63
.LBB6_1077:                             ;   in Loop: Header=BB6_357 Depth=4
	s_delay_alu instid0(SALU_CYCLE_1) | instskip(SKIP_3) | instid1(VALU_DEP_2)
	s_or_b32 exec_lo, exec_lo, s13
	v_dual_mov_b32 v17, 0 :: v_dual_lshrrev_b32 v16, 16, v32
	v_mov_b32_e32 v18, 0
	s_mov_b32 s63, exec_lo
	v_and_b32_e32 v19, 0xff, v16
	s_delay_alu instid0(VALU_DEP_1)
	v_cmpx_ne_u16_e32 0, v19
	s_cbranch_execz .LBB6_1087
; %bb.1078:                             ;   in Loop: Header=BB6_357 Depth=4
	v_bfrev_b32_e32 v18, 1
	s_mov_b32 s72, exec_lo
	v_cmpx_ne_u16_e32 0x80, v19
	s_cbranch_execz .LBB6_1086
; %bb.1079:                             ;   in Loop: Header=BB6_357 Depth=4
	v_and_b32_e32 v18, 0x7c0000, v32
	v_bfe_u32 v19, v32, 16, 2
	s_delay_alu instid0(VALU_DEP_2) | instskip(SKIP_1) | instid1(SALU_CYCLE_1)
	v_cmp_ne_u32_e32 vcc_lo, 0x7c0000, v18
                                        ; implicit-def: $vgpr18
	s_and_saveexec_b32 s13, vcc_lo
	s_xor_b32 s13, exec_lo, s13
	s_cbranch_execz .LBB6_1083
; %bb.1080:                             ;   in Loop: Header=BB6_357 Depth=4
	v_bfe_u32 v18, v32, 18, 5
	s_mov_b32 s73, exec_lo
	s_delay_alu instid0(VALU_DEP_1)
	v_cmpx_eq_u32_e32 0, v18
; %bb.1081:                             ;   in Loop: Header=BB6_357 Depth=4
	v_clz_i32_u32_e32 v18, v19
	s_delay_alu instid0(VALU_DEP_1) | instskip(NEXT) | instid1(VALU_DEP_1)
	v_min_u32_e32 v18, 32, v18
	v_subrev_nc_u32_e32 v19, 29, v18
	s_delay_alu instid0(VALU_DEP_1) | instskip(NEXT) | instid1(VALU_DEP_1)
	v_lshlrev_b64_e32 v[68:69], v19, v[16:17]
	v_dual_sub_nc_u32 v18, 30, v18 :: v_dual_bitop2_b32 v19, 3, v68 bitop3:0x40
; %bb.1082:                             ;   in Loop: Header=BB6_357 Depth=4
	s_or_b32 exec_lo, exec_lo, s73
	v_lshlrev_b32_e32 v16, 24, v16
	s_delay_alu instid0(VALU_DEP_1) | instskip(NEXT) | instid1(VALU_DEP_1)
	v_and_b32_e32 v16, 0x80000000, v16
	v_lshl_add_u32 v16, v18, 23, v16
	s_delay_alu instid0(VALU_DEP_1) | instskip(NEXT) | instid1(VALU_DEP_1)
	v_lshl_or_b32 v16, v19, 21, v16
                                        ; implicit-def: $vgpr19
	v_add_nc_u32_e32 v18, 0x38000000, v16
                                        ; implicit-def: $vgpr16
.LBB6_1083:                             ;   in Loop: Header=BB6_357 Depth=4
	s_and_not1_saveexec_b32 s73, s13
; %bb.1084:                             ;   in Loop: Header=BB6_357 Depth=4
	v_bfe_i32 v16, v16, 0, 8
	v_cmp_eq_u32_e32 vcc_lo, 0, v19
	s_delay_alu instid0(VALU_DEP_2) | instskip(SKIP_1) | instid1(VALU_DEP_1)
	v_cmp_lt_i16_e64 s13, -1, v16
	v_mov_b32_e32 v16, 0x7f800000
	v_cndmask_b32_e64 v16, 0xff800000, v16, s13
	s_delay_alu instid0(VALU_DEP_1)
	v_cndmask_b32_e32 v18, 0x7f800001, v16, vcc_lo
; %bb.1085:                             ;   in Loop: Header=BB6_357 Depth=4
	s_or_b32 exec_lo, exec_lo, s73
.LBB6_1086:                             ;   in Loop: Header=BB6_357 Depth=4
	s_delay_alu instid0(SALU_CYCLE_1)
	s_or_b32 exec_lo, exec_lo, s72
.LBB6_1087:                             ;   in Loop: Header=BB6_357 Depth=4
	s_delay_alu instid0(SALU_CYCLE_1) | instskip(SKIP_2) | instid1(VALU_DEP_1)
	s_or_b32 exec_lo, exec_lo, s63
	v_lshrrev_b32_e32 v16, 16, v24
	s_mov_b32 s63, exec_lo
	v_and_b32_e32 v19, 0xff, v16
	s_delay_alu instid0(VALU_DEP_1)
	v_cmpx_ne_u16_e32 0, v19
	s_cbranch_execz .LBB6_1097
; %bb.1088:                             ;   in Loop: Header=BB6_357 Depth=4
	v_bfrev_b32_e32 v17, 1
	s_mov_b32 s72, exec_lo
	v_cmpx_ne_u16_e32 0x80, v19
	s_cbranch_execz .LBB6_1096
; %bb.1089:                             ;   in Loop: Header=BB6_357 Depth=4
	v_and_b32_e32 v17, 0x7c0000, v24
	v_bfe_u32 v19, v24, 16, 2
	s_delay_alu instid0(VALU_DEP_2) | instskip(SKIP_1) | instid1(SALU_CYCLE_1)
	v_cmp_ne_u32_e32 vcc_lo, 0x7c0000, v17
                                        ; implicit-def: $vgpr17
	s_and_saveexec_b32 s13, vcc_lo
	s_xor_b32 s13, exec_lo, s13
	s_cbranch_execz .LBB6_1093
; %bb.1090:                             ;   in Loop: Header=BB6_357 Depth=4
	v_bfe_u32 v17, v24, 18, 5
	s_mov_b32 s73, exec_lo
	s_delay_alu instid0(VALU_DEP_1)
	v_cmpx_eq_u32_e32 0, v17
; %bb.1091:                             ;   in Loop: Header=BB6_357 Depth=4
	v_clz_i32_u32_e32 v17, v19
	s_delay_alu instid0(VALU_DEP_1) | instskip(NEXT) | instid1(VALU_DEP_1)
	v_min_u32_e32 v17, 32, v17
	v_subrev_nc_u32_e32 v19, 29, v17
	s_delay_alu instid0(VALU_DEP_1) | instskip(NEXT) | instid1(VALU_DEP_1)
	v_lshlrev_b64_e32 v[68:69], v19, v[16:17]
	v_dual_sub_nc_u32 v17, 30, v17 :: v_dual_bitop2_b32 v19, 3, v68 bitop3:0x40
; %bb.1092:                             ;   in Loop: Header=BB6_357 Depth=4
	s_or_b32 exec_lo, exec_lo, s73
	v_lshlrev_b32_e32 v16, 24, v16
	s_delay_alu instid0(VALU_DEP_1) | instskip(NEXT) | instid1(VALU_DEP_1)
	v_and_b32_e32 v16, 0x80000000, v16
	v_lshl_add_u32 v16, v17, 23, v16
	s_delay_alu instid0(VALU_DEP_1) | instskip(NEXT) | instid1(VALU_DEP_1)
	v_lshl_or_b32 v16, v19, 21, v16
                                        ; implicit-def: $vgpr19
	v_add_nc_u32_e32 v17, 0x38000000, v16
                                        ; implicit-def: $vgpr16
.LBB6_1093:                             ;   in Loop: Header=BB6_357 Depth=4
	s_and_not1_saveexec_b32 s73, s13
; %bb.1094:                             ;   in Loop: Header=BB6_357 Depth=4
	v_bfe_i32 v16, v16, 0, 8
	v_cmp_eq_u32_e32 vcc_lo, 0, v19
	s_delay_alu instid0(VALU_DEP_2) | instskip(SKIP_1) | instid1(VALU_DEP_1)
	v_cmp_lt_i16_e64 s13, -1, v16
	v_mov_b32_e32 v16, 0x7f800000
	v_cndmask_b32_e64 v16, 0xff800000, v16, s13
	s_delay_alu instid0(VALU_DEP_1)
	v_cndmask_b32_e32 v17, 0x7f800001, v16, vcc_lo
; %bb.1095:                             ;   in Loop: Header=BB6_357 Depth=4
	s_or_b32 exec_lo, exec_lo, s73
.LBB6_1096:                             ;   in Loop: Header=BB6_357 Depth=4
	s_delay_alu instid0(SALU_CYCLE_1)
	s_or_b32 exec_lo, exec_lo, s72
.LBB6_1097:                             ;   in Loop: Header=BB6_357 Depth=4
	s_delay_alu instid0(SALU_CYCLE_1) | instskip(NEXT) | instid1(VALU_DEP_1)
	s_or_b32 exec_lo, exec_lo, s63
	v_dual_mul_f32 v16, v18, v17 :: v_dual_mov_b32 v19, v21
                                        ; implicit-def: $vgpr51
	s_mov_b32 s13, exec_lo
	s_delay_alu instid0(VALU_DEP_1) | instskip(SKIP_2) | instid1(VALU_DEP_3)
	v_and_b32_e32 v18, 0x7f800000, v16
	v_and_b32_e32 v20, 0x7fffff, v16
	v_lshrrev_b32_e32 v17, 24, v16
	v_cmpx_ne_u64_e32 0x7f800000, v[18:19]
	s_xor_b32 s63, exec_lo, s13
	s_cbranch_execz .LBB6_1111
; %bb.1098:                             ;   in Loop: Header=BB6_357 Depth=4
	v_and_b32_e32 v18, 0x7fffffff, v16
	v_mov_b32_e32 v19, v21
	v_and_b32_e32 v67, 0x80, v17
                                        ; implicit-def: $vgpr51
	s_mov_b32 s13, exec_lo
	s_delay_alu instid0(VALU_DEP_2)
	v_cmpx_gt_u64_e32 0x47600001, v[18:19]
	s_xor_b32 s72, exec_lo, s13
	s_cbranch_execz .LBB6_1108
; %bb.1099:                             ;   in Loop: Header=BB6_357 Depth=4
	v_mov_b32_e32 v51, 0
	s_mov_b32 s73, exec_lo
	v_cmpx_ne_u32_e32 0, v16
	s_cbranch_execz .LBB6_1107
; %bb.1100:                             ;   in Loop: Header=BB6_357 Depth=4
	v_bfe_u32 v51, v16, 23, 8
	v_or_b32_e32 v17, 0x800000, v20
	s_delay_alu instid0(VALU_DEP_2) | instskip(SKIP_2) | instid1(VALU_DEP_2)
	v_cmp_gt_u32_e64 s13, 0x72, v51
	v_sub_nc_u32_e32 v16, 0x71, v51
	v_cmp_eq_u32_e32 vcc_lo, 0, v51
	v_cndmask_b32_e64 v16, 0, v16, s13
	s_delay_alu instid0(VALU_DEP_1) | instskip(SKIP_1) | instid1(VALU_DEP_2)
	v_cndmask_b32_e64 v68, v16, 0x70, vcc_lo
	v_cndmask_b32_e32 v16, v17, v20, vcc_lo
	v_dual_mov_b32 v17, v21 :: v_dual_add_nc_u32 v18, 21, v68
	v_add_nc_u32_e32 v20, 20, v68
	s_delay_alu instid0(VALU_DEP_2) | instskip(NEXT) | instid1(VALU_DEP_2)
	v_lshlrev_b64_e64 v[18:19], v18, -1
	v_lshlrev_b64_e64 v[70:71], v20, 1
	s_delay_alu instid0(VALU_DEP_2) | instskip(SKIP_1) | instid1(VALU_DEP_4)
	v_bfi_b32 v18, v18, 0, v16
	v_lshrrev_b64 v[16:17], v68, v[16:17]
	v_bfi_b32 v19, v19, 0, 0
	s_delay_alu instid0(VALU_DEP_1) | instskip(NEXT) | instid1(VALU_DEP_3)
	v_cmp_eq_u64_e64 s13, v[18:19], v[70:71]
	v_mov_b64_e32 v[18:19], v[16:17]
	s_and_saveexec_b32 s74, s13
; %bb.1101:                             ;   in Loop: Header=BB6_357 Depth=4
	v_bfe_u32 v18, v16, 21, 1
	v_mov_b32_e32 v19, v21
	s_delay_alu instid0(VALU_DEP_1) | instskip(NEXT) | instid1(VALU_DEP_1)
	v_add_nc_u64_e32 v[18:19], v[16:17], v[18:19]
	v_add_nc_u64_e32 v[18:19], -1, v[18:19]
; %bb.1102:                             ;   in Loop: Header=BB6_357 Depth=4
	s_or_b32 exec_lo, exec_lo, s74
	v_add_nc_u32_e32 v17, 0xffffff81, v51
	v_lshrrev_b32_e32 v19, 23, v16
	s_mov_b32 s13, exec_lo
	s_delay_alu instid0(VALU_DEP_2) | instskip(NEXT) | instid1(VALU_DEP_1)
	v_cndmask_b32_e64 v17, v17, 0xffffff82, vcc_lo
	v_add3_u32 v51, v68, v17, v19
	v_and_b32_e32 v17, 0x1fffff, v18
                                        ; implicit-def: $vgpr18
	s_delay_alu instid0(VALU_DEP_1) | instskip(NEXT) | instid1(VALU_DEP_1)
	v_dual_add_nc_u32 v19, 14, v51 :: v_dual_add_nc_u32 v20, v17, v16
                                        ; implicit-def: $vgpr16_vgpr17
	v_cmpx_ne_u32_e32 0, v19
	s_xor_b32 s13, exec_lo, s13
; %bb.1103:                             ;   in Loop: Header=BB6_357 Depth=4
	s_delay_alu instid0(VALU_DEP_2) | instskip(SKIP_1) | instid1(VALU_DEP_1)
	v_cmp_lt_u64_e32 vcc_lo, 0xffffff, v[20:21]
	v_add_nc_u32_e32 v16, 15, v51
	v_cndmask_b32_e32 v18, v19, v16, vcc_lo
	v_cndmask_b32_e64 v16, 0, 1, vcc_lo
	s_delay_alu instid0(VALU_DEP_1)
	v_lshrrev_b64 v[16:17], v16, v[20:21]
; %bb.1104:                             ;   in Loop: Header=BB6_357 Depth=4
	s_and_not1_saveexec_b32 s13, s13
; %bb.1105:                             ;   in Loop: Header=BB6_357 Depth=4
	v_mov_b64_e32 v[16:17], v[20:21]
	v_bfe_u32 v18, v20, 23, 1
; %bb.1106:                             ;   in Loop: Header=BB6_357 Depth=4
	s_or_b32 exec_lo, exec_lo, s13
	s_delay_alu instid0(VALU_DEP_2) | instskip(NEXT) | instid1(VALU_DEP_2)
	v_lshrrev_b64 v[16:17], 21, v[16:17]
	v_cmp_gt_i32_e32 vcc_lo, 32, v18
	v_min_i32_e32 v19, 31, v18
	v_cmp_eq_u32_e64 s13, 0, v18
	s_delay_alu instid0(VALU_DEP_2) | instskip(SKIP_1) | instid1(VALU_DEP_2)
	v_dual_cndmask_b32 v17, 0, v17, vcc_lo :: v_dual_lshlrev_b32 v19, 2, v19
	v_cndmask_b32_e32 v16, 3, v16, vcc_lo
	v_and_b32_e32 v19, 0xfc, v19
	s_delay_alu instid0(VALU_DEP_2) | instskip(NEXT) | instid1(VALU_DEP_2)
	v_cmp_eq_u64_e32 vcc_lo, 0, v[16:17]
	v_and_or_b32 v16, v16, 3, v19
	s_and_b32 s13, s13, vcc_lo
	s_delay_alu instid0(VALU_DEP_1) | instid1(SALU_CYCLE_1)
	v_cndmask_b32_e64 v16, v16, 0, s13
	s_delay_alu instid0(VALU_DEP_1)
	v_or_b32_e32 v51, v16, v67
.LBB6_1107:                             ;   in Loop: Header=BB6_357 Depth=4
	s_or_b32 exec_lo, exec_lo, s73
                                        ; implicit-def: $vgpr67
.LBB6_1108:                             ;   in Loop: Header=BB6_357 Depth=4
	s_and_not1_saveexec_b32 s13, s72
; %bb.1109:                             ;   in Loop: Header=BB6_357 Depth=4
	v_or_b32_e32 v51, 0x7b, v67
; %bb.1110:                             ;   in Loop: Header=BB6_357 Depth=4
	s_or_b32 exec_lo, exec_lo, s13
                                        ; implicit-def: $vgpr16
                                        ; implicit-def: $vgpr17
.LBB6_1111:                             ;   in Loop: Header=BB6_357 Depth=4
	s_and_not1_saveexec_b32 s13, s63
	s_cbranch_execz .LBB6_1117
; %bb.1112:                             ;   in Loop: Header=BB6_357 Depth=4
	s_mov_b32 s63, exec_lo
                                        ; implicit-def: $vgpr51
	v_cmpx_ne_u64_e32 0, v[20:21]
	s_xor_b32 s63, exec_lo, s63
; %bb.1113:                             ;   in Loop: Header=BB6_357 Depth=4
	v_or_b32_e32 v51, 0x7f, v17
                                        ; implicit-def: $vgpr16
; %bb.1114:                             ;   in Loop: Header=BB6_357 Depth=4
	s_and_not1_saveexec_b32 s63, s63
; %bb.1115:                             ;   in Loop: Header=BB6_357 Depth=4
	v_cmp_lt_i32_e32 vcc_lo, -1, v16
	v_mov_b32_e32 v16, 0x7c
	s_delay_alu instid0(VALU_DEP_1)
	v_cndmask_b32_e32 v51, 0xfc, v16, vcc_lo
; %bb.1116:                             ;   in Loop: Header=BB6_357 Depth=4
	s_or_b32 exec_lo, exec_lo, s63
.LBB6_1117:                             ;   in Loop: Header=BB6_357 Depth=4
	s_delay_alu instid0(SALU_CYCLE_1)
	s_or_b32 exec_lo, exec_lo, s13
	v_dual_mov_b32 v17, 0 :: v_dual_mov_b32 v18, 0
	s_mov_b32 s63, exec_lo
	v_cmpx_lt_u32_e32 0xffffff, v32
	s_cbranch_execz .LBB6_1127
; %bb.1118:                             ;   in Loop: Header=BB6_357 Depth=4
	v_lshrrev_b32_e32 v16, 24, v32
	v_bfrev_b32_e32 v18, 1
	s_mov_b32 s72, exec_lo
	s_delay_alu instid0(VALU_DEP_2)
	v_cmpx_ne_u32_e32 0x80, v16
	s_cbranch_execz .LBB6_1126
; %bb.1119:                             ;   in Loop: Header=BB6_357 Depth=4
	v_and_b32_e32 v18, 0x7c000000, v32
	v_bfe_u32 v19, v32, 24, 2
	s_delay_alu instid0(VALU_DEP_2) | instskip(SKIP_1) | instid1(SALU_CYCLE_1)
	v_cmp_ne_u32_e32 vcc_lo, 0x7c000000, v18
                                        ; implicit-def: $vgpr18
	s_and_saveexec_b32 s13, vcc_lo
	s_xor_b32 s13, exec_lo, s13
	s_cbranch_execz .LBB6_1123
; %bb.1120:                             ;   in Loop: Header=BB6_357 Depth=4
	v_bfe_u32 v18, v32, 26, 5
	s_mov_b32 s73, exec_lo
	s_delay_alu instid0(VALU_DEP_1)
	v_cmpx_eq_u32_e32 0, v18
; %bb.1121:                             ;   in Loop: Header=BB6_357 Depth=4
	v_clz_i32_u32_e32 v18, v19
	s_delay_alu instid0(VALU_DEP_1) | instskip(NEXT) | instid1(VALU_DEP_1)
	v_min_u32_e32 v18, 32, v18
	v_subrev_nc_u32_e32 v19, 29, v18
	s_delay_alu instid0(VALU_DEP_1) | instskip(NEXT) | instid1(VALU_DEP_1)
	v_lshlrev_b64_e32 v[68:69], v19, v[16:17]
	v_dual_sub_nc_u32 v18, 30, v18 :: v_dual_bitop2_b32 v19, 3, v68 bitop3:0x40
; %bb.1122:                             ;   in Loop: Header=BB6_357 Depth=4
	s_or_b32 exec_lo, exec_lo, s73
	v_and_b32_e32 v16, 0x80000000, v32
	s_delay_alu instid0(VALU_DEP_1) | instskip(NEXT) | instid1(VALU_DEP_1)
	v_lshl_add_u32 v16, v18, 23, v16
	v_lshl_or_b32 v16, v19, 21, v16
                                        ; implicit-def: $vgpr19
	s_delay_alu instid0(VALU_DEP_1)
	v_add_nc_u32_e32 v18, 0x38000000, v16
.LBB6_1123:                             ;   in Loop: Header=BB6_357 Depth=4
	s_and_not1_saveexec_b32 s73, s13
; %bb.1124:                             ;   in Loop: Header=BB6_357 Depth=4
	v_cmp_lt_i32_e64 s13, -1, v32
	v_mov_b32_e32 v16, 0x7f800000
	v_cmp_eq_u32_e32 vcc_lo, 0, v19
	s_delay_alu instid0(VALU_DEP_2) | instskip(NEXT) | instid1(VALU_DEP_1)
	v_cndmask_b32_e64 v16, 0xff800000, v16, s13
	v_cndmask_b32_e32 v18, 0x7f800001, v16, vcc_lo
; %bb.1125:                             ;   in Loop: Header=BB6_357 Depth=4
	s_or_b32 exec_lo, exec_lo, s73
.LBB6_1126:                             ;   in Loop: Header=BB6_357 Depth=4
	s_delay_alu instid0(SALU_CYCLE_1)
	s_or_b32 exec_lo, exec_lo, s72
.LBB6_1127:                             ;   in Loop: Header=BB6_357 Depth=4
	s_delay_alu instid0(SALU_CYCLE_1) | instskip(NEXT) | instid1(SALU_CYCLE_1)
	s_or_b32 exec_lo, exec_lo, s63
	s_mov_b32 s63, exec_lo
	v_cmpx_lt_u32_e32 0xffffff, v24
	s_cbranch_execz .LBB6_1137
; %bb.1128:                             ;   in Loop: Header=BB6_357 Depth=4
	v_lshrrev_b32_e32 v16, 24, v24
	v_bfrev_b32_e32 v17, 1
	s_mov_b32 s72, exec_lo
	s_delay_alu instid0(VALU_DEP_2)
	v_cmpx_ne_u32_e32 0x80, v16
	s_cbranch_execz .LBB6_1136
; %bb.1129:                             ;   in Loop: Header=BB6_357 Depth=4
	v_and_b32_e32 v17, 0x7c000000, v24
	v_bfe_u32 v19, v24, 24, 2
	s_delay_alu instid0(VALU_DEP_2) | instskip(SKIP_1) | instid1(SALU_CYCLE_1)
	v_cmp_ne_u32_e32 vcc_lo, 0x7c000000, v17
                                        ; implicit-def: $vgpr17
	s_and_saveexec_b32 s13, vcc_lo
	s_xor_b32 s13, exec_lo, s13
	s_cbranch_execz .LBB6_1133
; %bb.1130:                             ;   in Loop: Header=BB6_357 Depth=4
	v_bfe_u32 v17, v24, 26, 5
	s_mov_b32 s73, exec_lo
	s_delay_alu instid0(VALU_DEP_1)
	v_cmpx_eq_u32_e32 0, v17
; %bb.1131:                             ;   in Loop: Header=BB6_357 Depth=4
	v_clz_i32_u32_e32 v17, v19
	s_delay_alu instid0(VALU_DEP_1) | instskip(NEXT) | instid1(VALU_DEP_1)
	v_min_u32_e32 v19, 32, v17
	v_subrev_nc_u32_e32 v17, 29, v19
	s_delay_alu instid0(VALU_DEP_1) | instskip(NEXT) | instid1(VALU_DEP_1)
	v_lshlrev_b64_e32 v[16:17], v17, v[16:17]
	v_dual_sub_nc_u32 v17, 30, v19 :: v_dual_bitop2_b32 v19, 3, v16 bitop3:0x40
; %bb.1132:                             ;   in Loop: Header=BB6_357 Depth=4
	s_or_b32 exec_lo, exec_lo, s73
	v_and_b32_e32 v16, 0x80000000, v24
	s_delay_alu instid0(VALU_DEP_1) | instskip(NEXT) | instid1(VALU_DEP_1)
	v_lshl_add_u32 v16, v17, 23, v16
	v_lshl_or_b32 v16, v19, 21, v16
                                        ; implicit-def: $vgpr19
	s_delay_alu instid0(VALU_DEP_1)
	v_add_nc_u32_e32 v17, 0x38000000, v16
.LBB6_1133:                             ;   in Loop: Header=BB6_357 Depth=4
	s_and_not1_saveexec_b32 s73, s13
; %bb.1134:                             ;   in Loop: Header=BB6_357 Depth=4
	v_cmp_lt_i32_e64 s13, -1, v24
	v_mov_b32_e32 v16, 0x7f800000
	v_cmp_eq_u32_e32 vcc_lo, 0, v19
	s_delay_alu instid0(VALU_DEP_2) | instskip(NEXT) | instid1(VALU_DEP_1)
	v_cndmask_b32_e64 v16, 0xff800000, v16, s13
	v_cndmask_b32_e32 v17, 0x7f800001, v16, vcc_lo
; %bb.1135:                             ;   in Loop: Header=BB6_357 Depth=4
	s_or_b32 exec_lo, exec_lo, s73
.LBB6_1136:                             ;   in Loop: Header=BB6_357 Depth=4
	s_delay_alu instid0(SALU_CYCLE_1)
	s_or_b32 exec_lo, exec_lo, s72
.LBB6_1137:                             ;   in Loop: Header=BB6_357 Depth=4
	s_delay_alu instid0(SALU_CYCLE_1) | instskip(NEXT) | instid1(VALU_DEP_1)
	s_or_b32 exec_lo, exec_lo, s63
	v_dual_mul_f32 v16, v18, v17 :: v_dual_mov_b32 v19, v21
                                        ; implicit-def: $vgpr67
	s_mov_b32 s13, exec_lo
	s_delay_alu instid0(VALU_DEP_1) | instskip(SKIP_2) | instid1(VALU_DEP_3)
	v_and_b32_e32 v18, 0x7f800000, v16
	v_and_b32_e32 v20, 0x7fffff, v16
	v_lshrrev_b32_e32 v17, 24, v16
	v_cmpx_ne_u64_e32 0x7f800000, v[18:19]
	s_xor_b32 s63, exec_lo, s13
	s_cbranch_execz .LBB6_1151
; %bb.1138:                             ;   in Loop: Header=BB6_357 Depth=4
	v_and_b32_e32 v18, 0x7fffffff, v16
	v_mov_b32_e32 v19, v21
	v_and_b32_e32 v68, 0x80, v17
                                        ; implicit-def: $vgpr67
	s_mov_b32 s13, exec_lo
	s_delay_alu instid0(VALU_DEP_2)
	v_cmpx_gt_u64_e32 0x47600001, v[18:19]
	s_xor_b32 s72, exec_lo, s13
	s_cbranch_execz .LBB6_1148
; %bb.1139:                             ;   in Loop: Header=BB6_357 Depth=4
	v_mov_b32_e32 v67, 0
	s_mov_b32 s73, exec_lo
	v_cmpx_ne_u32_e32 0, v16
	s_cbranch_execz .LBB6_1147
; %bb.1140:                             ;   in Loop: Header=BB6_357 Depth=4
	v_bfe_u32 v67, v16, 23, 8
	v_or_b32_e32 v17, 0x800000, v20
	s_delay_alu instid0(VALU_DEP_2) | instskip(SKIP_2) | instid1(VALU_DEP_2)
	v_cmp_gt_u32_e64 s13, 0x72, v67
	v_sub_nc_u32_e32 v16, 0x71, v67
	v_cmp_eq_u32_e32 vcc_lo, 0, v67
	v_cndmask_b32_e64 v16, 0, v16, s13
	s_delay_alu instid0(VALU_DEP_1) | instskip(SKIP_1) | instid1(VALU_DEP_2)
	v_cndmask_b32_e64 v69, v16, 0x70, vcc_lo
	v_cndmask_b32_e32 v16, v17, v20, vcc_lo
	v_dual_mov_b32 v17, v21 :: v_dual_add_nc_u32 v18, 21, v69
	v_add_nc_u32_e32 v20, 20, v69
	s_delay_alu instid0(VALU_DEP_2) | instskip(NEXT) | instid1(VALU_DEP_2)
	v_lshlrev_b64_e64 v[18:19], v18, -1
	v_lshlrev_b64_e64 v[70:71], v20, 1
	s_delay_alu instid0(VALU_DEP_2) | instskip(SKIP_1) | instid1(VALU_DEP_4)
	v_bfi_b32 v18, v18, 0, v16
	v_lshrrev_b64 v[16:17], v69, v[16:17]
	v_bfi_b32 v19, v19, 0, 0
	s_delay_alu instid0(VALU_DEP_1) | instskip(NEXT) | instid1(VALU_DEP_3)
	v_cmp_eq_u64_e64 s13, v[18:19], v[70:71]
	v_mov_b64_e32 v[18:19], v[16:17]
	s_and_saveexec_b32 s74, s13
; %bb.1141:                             ;   in Loop: Header=BB6_357 Depth=4
	v_bfe_u32 v18, v16, 21, 1
	v_mov_b32_e32 v19, v21
	s_delay_alu instid0(VALU_DEP_1) | instskip(NEXT) | instid1(VALU_DEP_1)
	v_add_nc_u64_e32 v[18:19], v[16:17], v[18:19]
	v_add_nc_u64_e32 v[18:19], -1, v[18:19]
; %bb.1142:                             ;   in Loop: Header=BB6_357 Depth=4
	s_or_b32 exec_lo, exec_lo, s74
	v_add_nc_u32_e32 v17, 0xffffff81, v67
	v_lshrrev_b32_e32 v19, 23, v16
	s_mov_b32 s13, exec_lo
	s_delay_alu instid0(VALU_DEP_2) | instskip(NEXT) | instid1(VALU_DEP_1)
	v_cndmask_b32_e64 v17, v17, 0xffffff82, vcc_lo
	v_add3_u32 v67, v69, v17, v19
	v_and_b32_e32 v17, 0x1fffff, v18
                                        ; implicit-def: $vgpr18
	s_delay_alu instid0(VALU_DEP_1) | instskip(NEXT) | instid1(VALU_DEP_1)
	v_dual_add_nc_u32 v19, 14, v67 :: v_dual_add_nc_u32 v20, v17, v16
                                        ; implicit-def: $vgpr16_vgpr17
	v_cmpx_ne_u32_e32 0, v19
	s_xor_b32 s13, exec_lo, s13
; %bb.1143:                             ;   in Loop: Header=BB6_357 Depth=4
	s_delay_alu instid0(VALU_DEP_2) | instskip(SKIP_1) | instid1(VALU_DEP_1)
	v_cmp_lt_u64_e32 vcc_lo, 0xffffff, v[20:21]
	v_add_nc_u32_e32 v16, 15, v67
	v_cndmask_b32_e32 v18, v19, v16, vcc_lo
	v_cndmask_b32_e64 v16, 0, 1, vcc_lo
	s_delay_alu instid0(VALU_DEP_1)
	v_lshrrev_b64 v[16:17], v16, v[20:21]
; %bb.1144:                             ;   in Loop: Header=BB6_357 Depth=4
	s_and_not1_saveexec_b32 s13, s13
; %bb.1145:                             ;   in Loop: Header=BB6_357 Depth=4
	v_mov_b64_e32 v[16:17], v[20:21]
	v_bfe_u32 v18, v20, 23, 1
; %bb.1146:                             ;   in Loop: Header=BB6_357 Depth=4
	s_or_b32 exec_lo, exec_lo, s13
	s_delay_alu instid0(VALU_DEP_2) | instskip(NEXT) | instid1(VALU_DEP_2)
	v_lshrrev_b64 v[16:17], 21, v[16:17]
	v_cmp_gt_i32_e32 vcc_lo, 32, v18
	v_min_i32_e32 v19, 31, v18
	v_cmp_eq_u32_e64 s13, 0, v18
	s_delay_alu instid0(VALU_DEP_2) | instskip(SKIP_1) | instid1(VALU_DEP_2)
	v_dual_cndmask_b32 v17, 0, v17, vcc_lo :: v_dual_lshlrev_b32 v19, 2, v19
	v_cndmask_b32_e32 v16, 3, v16, vcc_lo
	v_and_b32_e32 v19, 0xfc, v19
	s_delay_alu instid0(VALU_DEP_2) | instskip(NEXT) | instid1(VALU_DEP_2)
	v_cmp_eq_u64_e32 vcc_lo, 0, v[16:17]
	v_and_or_b32 v16, v16, 3, v19
	s_and_b32 s13, s13, vcc_lo
	s_delay_alu instid0(VALU_DEP_1) | instid1(SALU_CYCLE_1)
	v_cndmask_b32_e64 v16, v16, 0, s13
	s_delay_alu instid0(VALU_DEP_1)
	v_or_b32_e32 v67, v16, v68
.LBB6_1147:                             ;   in Loop: Header=BB6_357 Depth=4
	s_or_b32 exec_lo, exec_lo, s73
                                        ; implicit-def: $vgpr68
.LBB6_1148:                             ;   in Loop: Header=BB6_357 Depth=4
	s_and_not1_saveexec_b32 s13, s72
; %bb.1149:                             ;   in Loop: Header=BB6_357 Depth=4
	v_or_b32_e32 v67, 0x7b, v68
; %bb.1150:                             ;   in Loop: Header=BB6_357 Depth=4
	s_or_b32 exec_lo, exec_lo, s13
                                        ; implicit-def: $vgpr16
                                        ; implicit-def: $vgpr17
.LBB6_1151:                             ;   in Loop: Header=BB6_357 Depth=4
	s_and_not1_saveexec_b32 s13, s63
	s_cbranch_execz .LBB6_1157
; %bb.1152:                             ;   in Loop: Header=BB6_357 Depth=4
	s_mov_b32 s63, exec_lo
                                        ; implicit-def: $vgpr67
	v_cmpx_ne_u64_e32 0, v[20:21]
	s_xor_b32 s63, exec_lo, s63
; %bb.1153:                             ;   in Loop: Header=BB6_357 Depth=4
	v_or_b32_e32 v67, 0x7f, v17
                                        ; implicit-def: $vgpr16
; %bb.1154:                             ;   in Loop: Header=BB6_357 Depth=4
	s_and_not1_saveexec_b32 s63, s63
; %bb.1155:                             ;   in Loop: Header=BB6_357 Depth=4
	v_cmp_lt_i32_e32 vcc_lo, -1, v16
	v_mov_b32_e32 v16, 0x7c
	s_delay_alu instid0(VALU_DEP_1)
	v_cndmask_b32_e32 v67, 0xfc, v16, vcc_lo
; %bb.1156:                             ;   in Loop: Header=BB6_357 Depth=4
	s_or_b32 exec_lo, exec_lo, s63
.LBB6_1157:                             ;   in Loop: Header=BB6_357 Depth=4
	s_delay_alu instid0(SALU_CYCLE_1) | instskip(SKIP_4) | instid1(VALU_DEP_3)
	s_or_b32 exec_lo, exec_lo, s13
	v_and_b32_e32 v18, 0xff, v33
	v_dual_mov_b32 v20, v33 :: v_dual_mov_b32 v17, 0
	v_mov_b32_e32 v16, 0
	s_mov_b32 s63, exec_lo
	v_cmpx_ne_u16_e32 0, v18
	s_cbranch_execz .LBB6_1167
; %bb.1158:                             ;   in Loop: Header=BB6_357 Depth=4
	v_bfrev_b32_e32 v16, 1
	s_mov_b32 s72, exec_lo
	v_cmpx_ne_u16_e32 0x80, v18
	s_cbranch_execz .LBB6_1166
; %bb.1159:                             ;   in Loop: Header=BB6_357 Depth=4
	v_and_b32_e32 v16, 0x7c, v33
	v_and_b32_e32 v18, 3, v33
	s_delay_alu instid0(VALU_DEP_2) | instskip(SKIP_1) | instid1(SALU_CYCLE_1)
	v_cmp_ne_u32_e32 vcc_lo, 0x7c, v16
                                        ; implicit-def: $vgpr16
	s_and_saveexec_b32 s13, vcc_lo
	s_xor_b32 s13, exec_lo, s13
	s_cbranch_execz .LBB6_1163
; %bb.1160:                             ;   in Loop: Header=BB6_357 Depth=4
	v_bfe_u32 v16, v33, 2, 5
	s_mov_b32 s73, exec_lo
	s_delay_alu instid0(VALU_DEP_1)
	v_cmpx_eq_u32_e32 0, v16
; %bb.1161:                             ;   in Loop: Header=BB6_357 Depth=4
	v_clz_i32_u32_e32 v16, v18
	s_delay_alu instid0(VALU_DEP_1) | instskip(NEXT) | instid1(VALU_DEP_1)
	v_min_u32_e32 v16, 32, v16
	v_subrev_nc_u32_e32 v18, 29, v16
	s_delay_alu instid0(VALU_DEP_1) | instskip(NEXT) | instid1(VALU_DEP_1)
	v_lshlrev_b64_e32 v[18:19], v18, v[20:21]
	v_dual_sub_nc_u32 v16, 30, v16 :: v_dual_bitop2_b32 v18, 3, v18 bitop3:0x40
; %bb.1162:                             ;   in Loop: Header=BB6_357 Depth=4
	s_or_b32 exec_lo, exec_lo, s73
	v_lshlrev_b32_e32 v19, 24, v33
	s_delay_alu instid0(VALU_DEP_1) | instskip(NEXT) | instid1(VALU_DEP_1)
	v_and_b32_e32 v19, 0x80000000, v19
	v_lshl_add_u32 v16, v16, 23, v19
	s_delay_alu instid0(VALU_DEP_1) | instskip(NEXT) | instid1(VALU_DEP_1)
	v_lshl_or_b32 v16, v18, 21, v16
                                        ; implicit-def: $vgpr18
	v_add_nc_u32_e32 v16, 0x38000000, v16
.LBB6_1163:                             ;   in Loop: Header=BB6_357 Depth=4
	s_and_not1_saveexec_b32 s73, s13
; %bb.1164:                             ;   in Loop: Header=BB6_357 Depth=4
	v_bfe_i32 v16, v33, 0, 8
	v_cmp_eq_u32_e32 vcc_lo, 0, v18
	s_delay_alu instid0(VALU_DEP_2) | instskip(SKIP_1) | instid1(VALU_DEP_1)
	v_cmp_lt_i16_e64 s13, -1, v16
	v_mov_b32_e32 v16, 0x7f800000
	v_cndmask_b32_e64 v16, 0xff800000, v16, s13
	s_delay_alu instid0(VALU_DEP_1)
	v_cndmask_b32_e32 v16, 0x7f800001, v16, vcc_lo
; %bb.1165:                             ;   in Loop: Header=BB6_357 Depth=4
	s_or_b32 exec_lo, exec_lo, s73
.LBB6_1166:                             ;   in Loop: Header=BB6_357 Depth=4
	s_delay_alu instid0(SALU_CYCLE_1)
	s_or_b32 exec_lo, exec_lo, s72
.LBB6_1167:                             ;   in Loop: Header=BB6_357 Depth=4
	s_delay_alu instid0(SALU_CYCLE_1) | instskip(SKIP_2) | instid1(VALU_DEP_1)
	s_or_b32 exec_lo, exec_lo, s63
	v_and_b32_e32 v18, 0xff, v25
	s_mov_b32 s63, exec_lo
	v_cmpx_ne_u16_e32 0, v18
	s_cbranch_execz .LBB6_1177
; %bb.1168:                             ;   in Loop: Header=BB6_357 Depth=4
	v_bfrev_b32_e32 v17, 1
	s_mov_b32 s72, exec_lo
	v_cmpx_ne_u16_e32 0x80, v18
	s_cbranch_execz .LBB6_1176
; %bb.1169:                             ;   in Loop: Header=BB6_357 Depth=4
	v_and_b32_e32 v17, 0x7c, v25
	v_and_b32_e32 v18, 3, v25
	s_delay_alu instid0(VALU_DEP_2) | instskip(SKIP_1) | instid1(SALU_CYCLE_1)
	v_cmp_ne_u32_e32 vcc_lo, 0x7c, v17
                                        ; implicit-def: $vgpr17
	s_and_saveexec_b32 s13, vcc_lo
	s_xor_b32 s13, exec_lo, s13
	s_cbranch_execz .LBB6_1173
; %bb.1170:                             ;   in Loop: Header=BB6_357 Depth=4
	v_bfe_u32 v17, v25, 2, 5
	s_mov_b32 s73, exec_lo
	s_delay_alu instid0(VALU_DEP_1)
	v_cmpx_eq_u32_e32 0, v17
; %bb.1171:                             ;   in Loop: Header=BB6_357 Depth=4
	v_clz_i32_u32_e32 v17, v18
	v_dual_mov_b32 v18, v25 :: v_dual_mov_b32 v19, v21
	s_delay_alu instid0(VALU_DEP_2) | instskip(NEXT) | instid1(VALU_DEP_1)
	v_min_u32_e32 v17, 32, v17
	v_subrev_nc_u32_e32 v68, 29, v17
	s_delay_alu instid0(VALU_DEP_1) | instskip(NEXT) | instid1(VALU_DEP_1)
	v_lshlrev_b64_e32 v[18:19], v68, v[18:19]
	v_dual_sub_nc_u32 v17, 30, v17 :: v_dual_bitop2_b32 v18, 3, v18 bitop3:0x40
; %bb.1172:                             ;   in Loop: Header=BB6_357 Depth=4
	s_or_b32 exec_lo, exec_lo, s73
	v_lshlrev_b32_e32 v19, 24, v25
	s_delay_alu instid0(VALU_DEP_1) | instskip(NEXT) | instid1(VALU_DEP_1)
	v_and_b32_e32 v19, 0x80000000, v19
	v_lshl_add_u32 v17, v17, 23, v19
	s_delay_alu instid0(VALU_DEP_1) | instskip(NEXT) | instid1(VALU_DEP_1)
	v_lshl_or_b32 v17, v18, 21, v17
                                        ; implicit-def: $vgpr18
	v_add_nc_u32_e32 v17, 0x38000000, v17
.LBB6_1173:                             ;   in Loop: Header=BB6_357 Depth=4
	s_and_not1_saveexec_b32 s73, s13
; %bb.1174:                             ;   in Loop: Header=BB6_357 Depth=4
	v_bfe_i32 v17, v25, 0, 8
	v_cmp_eq_u32_e32 vcc_lo, 0, v18
	s_delay_alu instid0(VALU_DEP_2) | instskip(SKIP_1) | instid1(VALU_DEP_1)
	v_cmp_lt_i16_e64 s13, -1, v17
	v_mov_b32_e32 v17, 0x7f800000
	v_cndmask_b32_e64 v17, 0xff800000, v17, s13
	s_delay_alu instid0(VALU_DEP_1)
	v_cndmask_b32_e32 v17, 0x7f800001, v17, vcc_lo
; %bb.1175:                             ;   in Loop: Header=BB6_357 Depth=4
	s_or_b32 exec_lo, exec_lo, s73
.LBB6_1176:                             ;   in Loop: Header=BB6_357 Depth=4
	s_delay_alu instid0(SALU_CYCLE_1)
	s_or_b32 exec_lo, exec_lo, s72
.LBB6_1177:                             ;   in Loop: Header=BB6_357 Depth=4
	s_delay_alu instid0(SALU_CYCLE_1) | instskip(NEXT) | instid1(VALU_DEP_1)
	s_or_b32 exec_lo, exec_lo, s63
	v_dual_mul_f32 v18, v16, v17 :: v_dual_mov_b32 v69, v21
	s_delay_alu instid0(VALU_DEP_1) | instskip(SKIP_2) | instid1(VALU_DEP_2)
	v_dual_mov_b32 v17, v21 :: v_dual_lshrrev_b32 v19, 24, v18
	v_and_b32_e32 v68, 0x7f800000, v18
	v_and_b32_e32 v16, 0x7fffff, v18
	v_cmp_ne_u64_e32 vcc_lo, 0x7f800000, v[68:69]
                                        ; implicit-def: $vgpr68
	s_and_saveexec_b32 s13, vcc_lo
	s_delay_alu instid0(SALU_CYCLE_1)
	s_xor_b32 s63, exec_lo, s13
	s_cbranch_execz .LBB6_1191
; %bb.1178:                             ;   in Loop: Header=BB6_357 Depth=4
	v_and_b32_e32 v68, 0x7fffffff, v18
	v_mov_b32_e32 v69, v21
	s_delay_alu instid0(VALU_DEP_1) | instskip(SKIP_2) | instid1(SALU_CYCLE_1)
	v_cmp_gt_u64_e32 vcc_lo, 0x47600001, v[68:69]
	v_and_b32_e32 v69, 0x80, v19
                                        ; implicit-def: $vgpr68
	s_and_saveexec_b32 s13, vcc_lo
	s_xor_b32 s72, exec_lo, s13
	s_cbranch_execz .LBB6_1188
; %bb.1179:                             ;   in Loop: Header=BB6_357 Depth=4
	v_mov_b32_e32 v68, 0
	s_mov_b32 s73, exec_lo
	v_cmpx_ne_u32_e32 0, v18
	s_cbranch_execz .LBB6_1187
; %bb.1180:                             ;   in Loop: Header=BB6_357 Depth=4
	v_bfe_u32 v68, v18, 23, 8
	v_or_b32_e32 v19, 0x800000, v16
	s_delay_alu instid0(VALU_DEP_2) | instskip(SKIP_2) | instid1(VALU_DEP_2)
	v_cmp_gt_u32_e64 s13, 0x72, v68
	v_sub_nc_u32_e32 v18, 0x71, v68
	v_cmp_eq_u32_e32 vcc_lo, 0, v68
	v_dual_cndmask_b32 v18, 0, v18, s13 :: v_dual_cndmask_b32 v16, v19, v16, vcc_lo
	s_delay_alu instid0(VALU_DEP_1) | instskip(NEXT) | instid1(VALU_DEP_1)
	v_cndmask_b32_e64 v70, v18, 0x70, vcc_lo
	v_dual_add_nc_u32 v18, 21, v70 :: v_dual_add_nc_u32 v71, 20, v70
	s_delay_alu instid0(VALU_DEP_1) | instskip(NEXT) | instid1(VALU_DEP_2)
	v_lshlrev_b64_e64 v[18:19], v18, -1
	v_lshlrev_b64_e64 v[80:81], v71, 1
	s_delay_alu instid0(VALU_DEP_2) | instskip(SKIP_1) | instid1(VALU_DEP_4)
	v_bfi_b32 v18, v18, 0, v16
	v_lshrrev_b64 v[16:17], v70, v[16:17]
	v_bfi_b32 v19, v19, 0, 0
	s_delay_alu instid0(VALU_DEP_1) | instskip(NEXT) | instid1(VALU_DEP_3)
	v_cmp_eq_u64_e64 s13, v[18:19], v[80:81]
	v_mov_b64_e32 v[18:19], v[16:17]
	s_and_saveexec_b32 s74, s13
; %bb.1181:                             ;   in Loop: Header=BB6_357 Depth=4
	v_bfe_u32 v18, v16, 21, 1
	v_mov_b32_e32 v19, v21
	s_delay_alu instid0(VALU_DEP_1) | instskip(NEXT) | instid1(VALU_DEP_1)
	v_add_nc_u64_e32 v[18:19], v[16:17], v[18:19]
	v_add_nc_u64_e32 v[18:19], -1, v[18:19]
; %bb.1182:                             ;   in Loop: Header=BB6_357 Depth=4
	s_or_b32 exec_lo, exec_lo, s74
	v_add_nc_u32_e32 v17, 0xffffff81, v68
	v_lshrrev_b32_e32 v19, 23, v16
	s_mov_b32 s13, exec_lo
	s_delay_alu instid0(VALU_DEP_2) | instskip(NEXT) | instid1(VALU_DEP_1)
	v_cndmask_b32_e64 v17, v17, 0xffffff82, vcc_lo
	v_add3_u32 v68, v70, v17, v19
	v_and_b32_e32 v17, 0x1fffff, v18
                                        ; implicit-def: $vgpr18
	s_delay_alu instid0(VALU_DEP_2) | instskip(NEXT) | instid1(VALU_DEP_2)
	v_add_nc_u32_e32 v19, 14, v68
	v_add_nc_u32_e32 v16, v17, v16
	v_mov_b32_e32 v17, v21
	s_delay_alu instid0(VALU_DEP_3)
	v_cmpx_ne_u32_e32 0, v19
	s_xor_b32 s13, exec_lo, s13
; %bb.1183:                             ;   in Loop: Header=BB6_357 Depth=4
	s_delay_alu instid0(VALU_DEP_2) | instskip(SKIP_1) | instid1(VALU_DEP_1)
	v_cmp_lt_u64_e32 vcc_lo, 0xffffff, v[16:17]
	v_add_nc_u32_e32 v18, 15, v68
	v_cndmask_b32_e32 v18, v19, v18, vcc_lo
	v_cndmask_b32_e64 v19, 0, 1, vcc_lo
	s_delay_alu instid0(VALU_DEP_1)
	v_lshrrev_b64 v[16:17], v19, v[16:17]
; %bb.1184:                             ;   in Loop: Header=BB6_357 Depth=4
	s_and_not1_saveexec_b32 s13, s13
; %bb.1185:                             ;   in Loop: Header=BB6_357 Depth=4
	s_delay_alu instid0(VALU_DEP_1)
	v_bfe_u32 v18, v16, 23, 1
; %bb.1186:                             ;   in Loop: Header=BB6_357 Depth=4
	s_or_b32 exec_lo, exec_lo, s13
	s_delay_alu instid0(VALU_DEP_2) | instskip(NEXT) | instid1(VALU_DEP_2)
	v_lshrrev_b64 v[16:17], 21, v[16:17]
	v_cmp_gt_i32_e32 vcc_lo, 32, v18
	v_min_i32_e32 v19, 31, v18
	v_cmp_eq_u32_e64 s13, 0, v18
	s_delay_alu instid0(VALU_DEP_2) | instskip(SKIP_1) | instid1(VALU_DEP_2)
	v_dual_cndmask_b32 v17, 0, v17, vcc_lo :: v_dual_lshlrev_b32 v19, 2, v19
	v_cndmask_b32_e32 v16, 3, v16, vcc_lo
	v_and_b32_e32 v19, 0xfc, v19
	s_delay_alu instid0(VALU_DEP_2) | instskip(NEXT) | instid1(VALU_DEP_2)
	v_cmp_eq_u64_e32 vcc_lo, 0, v[16:17]
	v_and_or_b32 v16, v16, 3, v19
	s_and_b32 s13, s13, vcc_lo
	s_delay_alu instid0(VALU_DEP_1) | instid1(SALU_CYCLE_1)
	v_cndmask_b32_e64 v16, v16, 0, s13
	s_delay_alu instid0(VALU_DEP_1)
	v_or_b32_e32 v68, v16, v69
.LBB6_1187:                             ;   in Loop: Header=BB6_357 Depth=4
	s_or_b32 exec_lo, exec_lo, s73
                                        ; implicit-def: $vgpr69
.LBB6_1188:                             ;   in Loop: Header=BB6_357 Depth=4
	s_and_not1_saveexec_b32 s13, s72
; %bb.1189:                             ;   in Loop: Header=BB6_357 Depth=4
	v_or_b32_e32 v68, 0x7b, v69
; %bb.1190:                             ;   in Loop: Header=BB6_357 Depth=4
	s_or_b32 exec_lo, exec_lo, s13
                                        ; implicit-def: $vgpr18
                                        ; implicit-def: $vgpr16_vgpr17
                                        ; implicit-def: $vgpr19
.LBB6_1191:                             ;   in Loop: Header=BB6_357 Depth=4
	s_and_not1_saveexec_b32 s13, s63
	s_cbranch_execz .LBB6_1197
; %bb.1192:                             ;   in Loop: Header=BB6_357 Depth=4
	s_mov_b32 s63, exec_lo
                                        ; implicit-def: $vgpr68
	v_cmpx_ne_u64_e32 0, v[16:17]
	s_xor_b32 s63, exec_lo, s63
; %bb.1193:                             ;   in Loop: Header=BB6_357 Depth=4
	v_or_b32_e32 v68, 0x7f, v19
                                        ; implicit-def: $vgpr18
; %bb.1194:                             ;   in Loop: Header=BB6_357 Depth=4
	s_and_not1_saveexec_b32 s63, s63
; %bb.1195:                             ;   in Loop: Header=BB6_357 Depth=4
	v_cmp_lt_i32_e32 vcc_lo, -1, v18
	v_mov_b32_e32 v16, 0x7c
	s_delay_alu instid0(VALU_DEP_1)
	v_cndmask_b32_e32 v68, 0xfc, v16, vcc_lo
; %bb.1196:                             ;   in Loop: Header=BB6_357 Depth=4
	s_or_b32 exec_lo, exec_lo, s63
.LBB6_1197:                             ;   in Loop: Header=BB6_357 Depth=4
	s_delay_alu instid0(SALU_CYCLE_1) | instskip(SKIP_3) | instid1(VALU_DEP_2)
	s_or_b32 exec_lo, exec_lo, s13
	v_lshrrev_b16 v16, 8, v20
	v_dual_mov_b32 v18, 0 :: v_dual_mov_b32 v19, 0
	s_mov_b32 s63, exec_lo
	v_cmpx_ne_u16_e32 0, v16
	s_cbranch_execz .LBB6_1207
; %bb.1198:                             ;   in Loop: Header=BB6_357 Depth=4
	v_bfrev_b32_e32 v19, 1
	s_mov_b32 s72, exec_lo
	v_cmpx_ne_u16_e32 0x80, v16
	s_cbranch_execz .LBB6_1206
; %bb.1199:                             ;   in Loop: Header=BB6_357 Depth=4
	v_and_b32_e32 v69, 0xffff, v16
	s_delay_alu instid0(VALU_DEP_1) | instskip(SKIP_1) | instid1(VALU_DEP_2)
	v_and_b32_e32 v19, 0x7c, v69
	v_and_b32_e32 v17, 3, v69
	v_cmp_ne_u32_e32 vcc_lo, 0x7c, v19
                                        ; implicit-def: $vgpr19
	s_and_saveexec_b32 s13, vcc_lo
	s_delay_alu instid0(SALU_CYCLE_1)
	s_xor_b32 s13, exec_lo, s13
	s_cbranch_execz .LBB6_1203
; %bb.1200:                             ;   in Loop: Header=BB6_357 Depth=4
	v_bfe_u32 v19, v69, 2, 5
	s_mov_b32 s73, exec_lo
	s_delay_alu instid0(VALU_DEP_1)
	v_cmpx_eq_u32_e32 0, v19
	s_cbranch_execz .LBB6_1202
; %bb.1201:                             ;   in Loop: Header=BB6_357 Depth=4
	v_clz_i32_u32_e32 v17, v17
	s_delay_alu instid0(VALU_DEP_1) | instskip(SKIP_1) | instid1(VALU_DEP_2)
	v_min_u32_e32 v19, 32, v17
	v_mov_b32_e32 v17, v21
	v_subrev_nc_u32_e32 v69, 29, v19
	v_sub_nc_u32_e32 v19, 30, v19
	s_delay_alu instid0(VALU_DEP_2) | instskip(NEXT) | instid1(VALU_DEP_1)
	v_lshlrev_b64_e32 v[16:17], v69, v[16:17]
	v_and_b32_e32 v17, 3, v16
.LBB6_1202:                             ;   in Loop: Header=BB6_357 Depth=4
	s_or_b32 exec_lo, exec_lo, s73
	v_lshlrev_b32_e32 v16, 16, v20
	s_delay_alu instid0(VALU_DEP_1) | instskip(NEXT) | instid1(VALU_DEP_1)
	v_and_b32_e32 v16, 0x80000000, v16
	v_lshl_add_u32 v16, v19, 23, v16
	s_delay_alu instid0(VALU_DEP_1) | instskip(NEXT) | instid1(VALU_DEP_1)
	v_lshl_or_b32 v16, v17, 21, v16
                                        ; implicit-def: $vgpr17
	v_add_nc_u32_e32 v19, 0x38000000, v16
.LBB6_1203:                             ;   in Loop: Header=BB6_357 Depth=4
	s_and_not1_saveexec_b32 s73, s13
; %bb.1204:                             ;   in Loop: Header=BB6_357 Depth=4
	v_cmp_lt_i16_e64 s13, -1, v20
	v_mov_b32_e32 v16, 0x7f800000
	v_cmp_eq_u32_e32 vcc_lo, 0, v17
	s_delay_alu instid0(VALU_DEP_2) | instskip(NEXT) | instid1(VALU_DEP_1)
	v_cndmask_b32_e64 v16, 0xff800000, v16, s13
	v_cndmask_b32_e32 v19, 0x7f800001, v16, vcc_lo
; %bb.1205:                             ;   in Loop: Header=BB6_357 Depth=4
	s_or_b32 exec_lo, exec_lo, s73
.LBB6_1206:                             ;   in Loop: Header=BB6_357 Depth=4
	s_delay_alu instid0(SALU_CYCLE_1)
	s_or_b32 exec_lo, exec_lo, s72
.LBB6_1207:                             ;   in Loop: Header=BB6_357 Depth=4
	s_delay_alu instid0(SALU_CYCLE_1) | instskip(SKIP_2) | instid1(VALU_DEP_1)
	s_or_b32 exec_lo, exec_lo, s63
	v_lshrrev_b16 v16, 8, v25
	s_mov_b32 s63, exec_lo
	v_cmpx_ne_u16_e32 0, v16
	s_cbranch_execz .LBB6_1217
; %bb.1208:                             ;   in Loop: Header=BB6_357 Depth=4
	v_bfrev_b32_e32 v18, 1
	s_mov_b32 s72, exec_lo
	v_cmpx_ne_u16_e32 0x80, v16
	s_cbranch_execz .LBB6_1216
; %bb.1209:                             ;   in Loop: Header=BB6_357 Depth=4
	v_and_b32_e32 v20, 0xffff, v16
	s_delay_alu instid0(VALU_DEP_1) | instskip(SKIP_1) | instid1(VALU_DEP_2)
	v_and_b32_e32 v18, 0x7c, v20
	v_and_b32_e32 v17, 3, v20
	v_cmp_ne_u32_e32 vcc_lo, 0x7c, v18
                                        ; implicit-def: $vgpr18
	s_and_saveexec_b32 s13, vcc_lo
	s_delay_alu instid0(SALU_CYCLE_1)
	s_xor_b32 s13, exec_lo, s13
	s_cbranch_execz .LBB6_1213
; %bb.1210:                             ;   in Loop: Header=BB6_357 Depth=4
	v_bfe_u32 v18, v20, 2, 5
	s_mov_b32 s73, exec_lo
	s_delay_alu instid0(VALU_DEP_1)
	v_cmpx_eq_u32_e32 0, v18
	s_cbranch_execz .LBB6_1212
; %bb.1211:                             ;   in Loop: Header=BB6_357 Depth=4
	v_clz_i32_u32_e32 v17, v17
	s_delay_alu instid0(VALU_DEP_1) | instskip(SKIP_1) | instid1(VALU_DEP_2)
	v_min_u32_e32 v18, 32, v17
	v_mov_b32_e32 v17, v21
	v_subrev_nc_u32_e32 v20, 29, v18
	v_sub_nc_u32_e32 v18, 30, v18
	s_delay_alu instid0(VALU_DEP_2) | instskip(NEXT) | instid1(VALU_DEP_1)
	v_lshlrev_b64_e32 v[16:17], v20, v[16:17]
	v_and_b32_e32 v17, 3, v16
.LBB6_1212:                             ;   in Loop: Header=BB6_357 Depth=4
	s_or_b32 exec_lo, exec_lo, s73
	v_lshlrev_b32_e32 v16, 16, v25
	s_delay_alu instid0(VALU_DEP_1) | instskip(NEXT) | instid1(VALU_DEP_1)
	v_and_b32_e32 v16, 0x80000000, v16
	v_lshl_add_u32 v16, v18, 23, v16
	s_delay_alu instid0(VALU_DEP_1) | instskip(NEXT) | instid1(VALU_DEP_1)
	v_lshl_or_b32 v16, v17, 21, v16
                                        ; implicit-def: $vgpr17
	v_add_nc_u32_e32 v18, 0x38000000, v16
.LBB6_1213:                             ;   in Loop: Header=BB6_357 Depth=4
	s_and_not1_saveexec_b32 s73, s13
; %bb.1214:                             ;   in Loop: Header=BB6_357 Depth=4
	v_cmp_lt_i16_e64 s13, -1, v25
	v_mov_b32_e32 v16, 0x7f800000
	v_cmp_eq_u32_e32 vcc_lo, 0, v17
	s_delay_alu instid0(VALU_DEP_2) | instskip(NEXT) | instid1(VALU_DEP_1)
	v_cndmask_b32_e64 v16, 0xff800000, v16, s13
	v_cndmask_b32_e32 v18, 0x7f800001, v16, vcc_lo
; %bb.1215:                             ;   in Loop: Header=BB6_357 Depth=4
	s_or_b32 exec_lo, exec_lo, s73
.LBB6_1216:                             ;   in Loop: Header=BB6_357 Depth=4
	s_delay_alu instid0(SALU_CYCLE_1)
	s_or_b32 exec_lo, exec_lo, s72
.LBB6_1217:                             ;   in Loop: Header=BB6_357 Depth=4
	s_delay_alu instid0(SALU_CYCLE_1) | instskip(NEXT) | instid1(VALU_DEP_1)
	s_or_b32 exec_lo, exec_lo, s63
	v_dual_mul_f32 v16, v19, v18 :: v_dual_mov_b32 v19, v21
                                        ; implicit-def: $vgpr69
	s_mov_b32 s13, exec_lo
	s_delay_alu instid0(VALU_DEP_1) | instskip(SKIP_2) | instid1(VALU_DEP_3)
	v_and_b32_e32 v18, 0x7f800000, v16
	v_and_b32_e32 v20, 0x7fffff, v16
	v_lshrrev_b32_e32 v17, 24, v16
	v_cmpx_ne_u64_e32 0x7f800000, v[18:19]
	s_xor_b32 s63, exec_lo, s13
	s_cbranch_execz .LBB6_1231
; %bb.1218:                             ;   in Loop: Header=BB6_357 Depth=4
	v_and_b32_e32 v18, 0x7fffffff, v16
	v_mov_b32_e32 v19, v21
	v_and_b32_e32 v70, 0x80, v17
                                        ; implicit-def: $vgpr69
	s_mov_b32 s13, exec_lo
	s_delay_alu instid0(VALU_DEP_2)
	v_cmpx_gt_u64_e32 0x47600001, v[18:19]
	s_xor_b32 s72, exec_lo, s13
	s_cbranch_execz .LBB6_1228
; %bb.1219:                             ;   in Loop: Header=BB6_357 Depth=4
	v_mov_b32_e32 v69, 0
	s_mov_b32 s73, exec_lo
	v_cmpx_ne_u32_e32 0, v16
	s_cbranch_execz .LBB6_1227
; %bb.1220:                             ;   in Loop: Header=BB6_357 Depth=4
	v_bfe_u32 v69, v16, 23, 8
	v_or_b32_e32 v17, 0x800000, v20
	s_delay_alu instid0(VALU_DEP_2) | instskip(SKIP_2) | instid1(VALU_DEP_2)
	v_cmp_gt_u32_e64 s13, 0x72, v69
	v_sub_nc_u32_e32 v16, 0x71, v69
	v_cmp_eq_u32_e32 vcc_lo, 0, v69
	v_cndmask_b32_e64 v16, 0, v16, s13
	s_delay_alu instid0(VALU_DEP_1) | instskip(SKIP_1) | instid1(VALU_DEP_2)
	v_cndmask_b32_e64 v71, v16, 0x70, vcc_lo
	v_cndmask_b32_e32 v16, v17, v20, vcc_lo
	v_dual_mov_b32 v17, v21 :: v_dual_add_nc_u32 v18, 21, v71
	v_add_nc_u32_e32 v20, 20, v71
	s_delay_alu instid0(VALU_DEP_2) | instskip(NEXT) | instid1(VALU_DEP_2)
	v_lshlrev_b64_e64 v[18:19], v18, -1
	v_lshlrev_b64_e64 v[80:81], v20, 1
	s_delay_alu instid0(VALU_DEP_2) | instskip(SKIP_1) | instid1(VALU_DEP_4)
	v_bfi_b32 v18, v18, 0, v16
	v_lshrrev_b64 v[16:17], v71, v[16:17]
	v_bfi_b32 v19, v19, 0, 0
	s_delay_alu instid0(VALU_DEP_1) | instskip(NEXT) | instid1(VALU_DEP_3)
	v_cmp_eq_u64_e64 s13, v[18:19], v[80:81]
	v_mov_b64_e32 v[18:19], v[16:17]
	s_and_saveexec_b32 s74, s13
; %bb.1221:                             ;   in Loop: Header=BB6_357 Depth=4
	v_bfe_u32 v18, v16, 21, 1
	v_mov_b32_e32 v19, v21
	s_delay_alu instid0(VALU_DEP_1) | instskip(NEXT) | instid1(VALU_DEP_1)
	v_add_nc_u64_e32 v[18:19], v[16:17], v[18:19]
	v_add_nc_u64_e32 v[18:19], -1, v[18:19]
; %bb.1222:                             ;   in Loop: Header=BB6_357 Depth=4
	s_or_b32 exec_lo, exec_lo, s74
	v_add_nc_u32_e32 v17, 0xffffff81, v69
	v_lshrrev_b32_e32 v19, 23, v16
	s_mov_b32 s13, exec_lo
	s_delay_alu instid0(VALU_DEP_2) | instskip(NEXT) | instid1(VALU_DEP_1)
	v_cndmask_b32_e64 v17, v17, 0xffffff82, vcc_lo
	v_add3_u32 v69, v71, v17, v19
	v_and_b32_e32 v17, 0x1fffff, v18
                                        ; implicit-def: $vgpr18
	s_delay_alu instid0(VALU_DEP_1) | instskip(NEXT) | instid1(VALU_DEP_1)
	v_dual_add_nc_u32 v19, 14, v69 :: v_dual_add_nc_u32 v20, v17, v16
                                        ; implicit-def: $vgpr16_vgpr17
	v_cmpx_ne_u32_e32 0, v19
	s_xor_b32 s13, exec_lo, s13
; %bb.1223:                             ;   in Loop: Header=BB6_357 Depth=4
	s_delay_alu instid0(VALU_DEP_2) | instskip(SKIP_1) | instid1(VALU_DEP_1)
	v_cmp_lt_u64_e32 vcc_lo, 0xffffff, v[20:21]
	v_add_nc_u32_e32 v16, 15, v69
	v_cndmask_b32_e32 v18, v19, v16, vcc_lo
	v_cndmask_b32_e64 v16, 0, 1, vcc_lo
	s_delay_alu instid0(VALU_DEP_1)
	v_lshrrev_b64 v[16:17], v16, v[20:21]
; %bb.1224:                             ;   in Loop: Header=BB6_357 Depth=4
	s_and_not1_saveexec_b32 s13, s13
; %bb.1225:                             ;   in Loop: Header=BB6_357 Depth=4
	v_mov_b64_e32 v[16:17], v[20:21]
	v_bfe_u32 v18, v20, 23, 1
; %bb.1226:                             ;   in Loop: Header=BB6_357 Depth=4
	s_or_b32 exec_lo, exec_lo, s13
	s_delay_alu instid0(VALU_DEP_2) | instskip(NEXT) | instid1(VALU_DEP_2)
	v_lshrrev_b64 v[16:17], 21, v[16:17]
	v_cmp_gt_i32_e32 vcc_lo, 32, v18
	v_min_i32_e32 v19, 31, v18
	v_cmp_eq_u32_e64 s13, 0, v18
	s_delay_alu instid0(VALU_DEP_2) | instskip(SKIP_1) | instid1(VALU_DEP_2)
	v_dual_cndmask_b32 v17, 0, v17, vcc_lo :: v_dual_lshlrev_b32 v19, 2, v19
	v_cndmask_b32_e32 v16, 3, v16, vcc_lo
	v_and_b32_e32 v19, 0xfc, v19
	s_delay_alu instid0(VALU_DEP_2) | instskip(NEXT) | instid1(VALU_DEP_2)
	v_cmp_eq_u64_e32 vcc_lo, 0, v[16:17]
	v_and_or_b32 v16, v16, 3, v19
	s_and_b32 s13, s13, vcc_lo
	s_delay_alu instid0(VALU_DEP_1) | instid1(SALU_CYCLE_1)
	v_cndmask_b32_e64 v16, v16, 0, s13
	s_delay_alu instid0(VALU_DEP_1)
	v_or_b32_e32 v69, v16, v70
.LBB6_1227:                             ;   in Loop: Header=BB6_357 Depth=4
	s_or_b32 exec_lo, exec_lo, s73
                                        ; implicit-def: $vgpr70
.LBB6_1228:                             ;   in Loop: Header=BB6_357 Depth=4
	s_and_not1_saveexec_b32 s13, s72
; %bb.1229:                             ;   in Loop: Header=BB6_357 Depth=4
	v_or_b32_e32 v69, 0x7b, v70
; %bb.1230:                             ;   in Loop: Header=BB6_357 Depth=4
	s_or_b32 exec_lo, exec_lo, s13
                                        ; implicit-def: $vgpr16
                                        ; implicit-def: $vgpr17
.LBB6_1231:                             ;   in Loop: Header=BB6_357 Depth=4
	s_and_not1_saveexec_b32 s13, s63
	s_cbranch_execz .LBB6_1237
; %bb.1232:                             ;   in Loop: Header=BB6_357 Depth=4
	s_mov_b32 s63, exec_lo
                                        ; implicit-def: $vgpr69
	v_cmpx_ne_u64_e32 0, v[20:21]
	s_xor_b32 s63, exec_lo, s63
; %bb.1233:                             ;   in Loop: Header=BB6_357 Depth=4
	v_or_b32_e32 v69, 0x7f, v17
                                        ; implicit-def: $vgpr16
; %bb.1234:                             ;   in Loop: Header=BB6_357 Depth=4
	s_and_not1_saveexec_b32 s63, s63
; %bb.1235:                             ;   in Loop: Header=BB6_357 Depth=4
	v_cmp_lt_i32_e32 vcc_lo, -1, v16
	v_mov_b32_e32 v16, 0x7c
	s_delay_alu instid0(VALU_DEP_1)
	v_cndmask_b32_e32 v69, 0xfc, v16, vcc_lo
; %bb.1236:                             ;   in Loop: Header=BB6_357 Depth=4
	s_or_b32 exec_lo, exec_lo, s63
.LBB6_1237:                             ;   in Loop: Header=BB6_357 Depth=4
	s_delay_alu instid0(SALU_CYCLE_1) | instskip(SKIP_3) | instid1(VALU_DEP_2)
	s_or_b32 exec_lo, exec_lo, s13
	v_dual_mov_b32 v17, 0 :: v_dual_lshrrev_b32 v16, 16, v33
	v_mov_b32_e32 v18, 0
	s_mov_b32 s63, exec_lo
	v_and_b32_e32 v19, 0xff, v16
	s_delay_alu instid0(VALU_DEP_1)
	v_cmpx_ne_u16_e32 0, v19
	s_cbranch_execz .LBB6_1247
; %bb.1238:                             ;   in Loop: Header=BB6_357 Depth=4
	v_bfrev_b32_e32 v18, 1
	s_mov_b32 s72, exec_lo
	v_cmpx_ne_u16_e32 0x80, v19
	s_cbranch_execz .LBB6_1246
; %bb.1239:                             ;   in Loop: Header=BB6_357 Depth=4
	v_and_b32_e32 v18, 0x7c0000, v33
	v_bfe_u32 v19, v33, 16, 2
	s_delay_alu instid0(VALU_DEP_2) | instskip(SKIP_1) | instid1(SALU_CYCLE_1)
	v_cmp_ne_u32_e32 vcc_lo, 0x7c0000, v18
                                        ; implicit-def: $vgpr18
	s_and_saveexec_b32 s13, vcc_lo
	s_xor_b32 s13, exec_lo, s13
	s_cbranch_execz .LBB6_1243
; %bb.1240:                             ;   in Loop: Header=BB6_357 Depth=4
	v_bfe_u32 v18, v33, 18, 5
	s_mov_b32 s73, exec_lo
	s_delay_alu instid0(VALU_DEP_1)
	v_cmpx_eq_u32_e32 0, v18
; %bb.1241:                             ;   in Loop: Header=BB6_357 Depth=4
	v_clz_i32_u32_e32 v18, v19
	s_delay_alu instid0(VALU_DEP_1) | instskip(NEXT) | instid1(VALU_DEP_1)
	v_min_u32_e32 v18, 32, v18
	v_subrev_nc_u32_e32 v19, 29, v18
	v_sub_nc_u32_e32 v18, 30, v18
	s_delay_alu instid0(VALU_DEP_2) | instskip(NEXT) | instid1(VALU_DEP_1)
	v_lshlrev_b64_e32 v[70:71], v19, v[16:17]
	v_and_b32_e32 v19, 3, v70
; %bb.1242:                             ;   in Loop: Header=BB6_357 Depth=4
	s_or_b32 exec_lo, exec_lo, s73
	v_lshlrev_b32_e32 v16, 24, v16
	s_delay_alu instid0(VALU_DEP_1) | instskip(NEXT) | instid1(VALU_DEP_1)
	v_and_b32_e32 v16, 0x80000000, v16
	v_lshl_add_u32 v16, v18, 23, v16
	s_delay_alu instid0(VALU_DEP_1) | instskip(NEXT) | instid1(VALU_DEP_1)
	v_lshl_or_b32 v16, v19, 21, v16
                                        ; implicit-def: $vgpr19
	v_add_nc_u32_e32 v18, 0x38000000, v16
                                        ; implicit-def: $vgpr16
.LBB6_1243:                             ;   in Loop: Header=BB6_357 Depth=4
	s_and_not1_saveexec_b32 s73, s13
; %bb.1244:                             ;   in Loop: Header=BB6_357 Depth=4
	v_bfe_i32 v16, v16, 0, 8
	v_cmp_eq_u32_e32 vcc_lo, 0, v19
	s_delay_alu instid0(VALU_DEP_2) | instskip(SKIP_1) | instid1(VALU_DEP_1)
	v_cmp_lt_i16_e64 s13, -1, v16
	v_mov_b32_e32 v16, 0x7f800000
	v_cndmask_b32_e64 v16, 0xff800000, v16, s13
	s_delay_alu instid0(VALU_DEP_1)
	v_cndmask_b32_e32 v18, 0x7f800001, v16, vcc_lo
; %bb.1245:                             ;   in Loop: Header=BB6_357 Depth=4
	s_or_b32 exec_lo, exec_lo, s73
.LBB6_1246:                             ;   in Loop: Header=BB6_357 Depth=4
	s_delay_alu instid0(SALU_CYCLE_1)
	s_or_b32 exec_lo, exec_lo, s72
.LBB6_1247:                             ;   in Loop: Header=BB6_357 Depth=4
	s_delay_alu instid0(SALU_CYCLE_1) | instskip(SKIP_2) | instid1(VALU_DEP_1)
	s_or_b32 exec_lo, exec_lo, s63
	v_lshrrev_b32_e32 v16, 16, v25
	s_mov_b32 s63, exec_lo
	v_and_b32_e32 v19, 0xff, v16
	s_delay_alu instid0(VALU_DEP_1)
	v_cmpx_ne_u16_e32 0, v19
	s_cbranch_execz .LBB6_1257
; %bb.1248:                             ;   in Loop: Header=BB6_357 Depth=4
	v_bfrev_b32_e32 v17, 1
	s_mov_b32 s72, exec_lo
	v_cmpx_ne_u16_e32 0x80, v19
	s_cbranch_execz .LBB6_1256
; %bb.1249:                             ;   in Loop: Header=BB6_357 Depth=4
	v_and_b32_e32 v17, 0x7c0000, v25
	v_bfe_u32 v19, v25, 16, 2
	s_delay_alu instid0(VALU_DEP_2) | instskip(SKIP_1) | instid1(SALU_CYCLE_1)
	v_cmp_ne_u32_e32 vcc_lo, 0x7c0000, v17
                                        ; implicit-def: $vgpr17
	s_and_saveexec_b32 s13, vcc_lo
	s_xor_b32 s13, exec_lo, s13
	s_cbranch_execz .LBB6_1253
; %bb.1250:                             ;   in Loop: Header=BB6_357 Depth=4
	v_bfe_u32 v17, v25, 18, 5
	s_mov_b32 s73, exec_lo
	s_delay_alu instid0(VALU_DEP_1)
	v_cmpx_eq_u32_e32 0, v17
; %bb.1251:                             ;   in Loop: Header=BB6_357 Depth=4
	v_clz_i32_u32_e32 v17, v19
	s_delay_alu instid0(VALU_DEP_1) | instskip(NEXT) | instid1(VALU_DEP_1)
	v_min_u32_e32 v17, 32, v17
	v_subrev_nc_u32_e32 v19, 29, v17
	s_delay_alu instid0(VALU_DEP_1) | instskip(NEXT) | instid1(VALU_DEP_1)
	v_lshlrev_b64_e32 v[70:71], v19, v[16:17]
	v_dual_sub_nc_u32 v17, 30, v17 :: v_dual_bitop2_b32 v19, 3, v70 bitop3:0x40
; %bb.1252:                             ;   in Loop: Header=BB6_357 Depth=4
	s_or_b32 exec_lo, exec_lo, s73
	v_lshlrev_b32_e32 v16, 24, v16
	s_delay_alu instid0(VALU_DEP_1) | instskip(NEXT) | instid1(VALU_DEP_1)
	v_and_b32_e32 v16, 0x80000000, v16
	v_lshl_add_u32 v16, v17, 23, v16
	s_delay_alu instid0(VALU_DEP_1) | instskip(NEXT) | instid1(VALU_DEP_1)
	v_lshl_or_b32 v16, v19, 21, v16
                                        ; implicit-def: $vgpr19
	v_add_nc_u32_e32 v17, 0x38000000, v16
                                        ; implicit-def: $vgpr16
.LBB6_1253:                             ;   in Loop: Header=BB6_357 Depth=4
	s_and_not1_saveexec_b32 s73, s13
; %bb.1254:                             ;   in Loop: Header=BB6_357 Depth=4
	v_bfe_i32 v16, v16, 0, 8
	v_cmp_eq_u32_e32 vcc_lo, 0, v19
	s_delay_alu instid0(VALU_DEP_2) | instskip(SKIP_1) | instid1(VALU_DEP_1)
	v_cmp_lt_i16_e64 s13, -1, v16
	v_mov_b32_e32 v16, 0x7f800000
	v_cndmask_b32_e64 v16, 0xff800000, v16, s13
	s_delay_alu instid0(VALU_DEP_1)
	v_cndmask_b32_e32 v17, 0x7f800001, v16, vcc_lo
; %bb.1255:                             ;   in Loop: Header=BB6_357 Depth=4
	s_or_b32 exec_lo, exec_lo, s73
.LBB6_1256:                             ;   in Loop: Header=BB6_357 Depth=4
	s_delay_alu instid0(SALU_CYCLE_1)
	s_or_b32 exec_lo, exec_lo, s72
.LBB6_1257:                             ;   in Loop: Header=BB6_357 Depth=4
	s_delay_alu instid0(SALU_CYCLE_1) | instskip(NEXT) | instid1(VALU_DEP_1)
	s_or_b32 exec_lo, exec_lo, s63
	v_dual_mul_f32 v16, v18, v17 :: v_dual_mov_b32 v19, v21
                                        ; implicit-def: $vgpr70
	s_mov_b32 s13, exec_lo
	s_delay_alu instid0(VALU_DEP_1) | instskip(SKIP_2) | instid1(VALU_DEP_3)
	v_and_b32_e32 v18, 0x7f800000, v16
	v_and_b32_e32 v20, 0x7fffff, v16
	v_lshrrev_b32_e32 v17, 24, v16
	v_cmpx_ne_u64_e32 0x7f800000, v[18:19]
	s_xor_b32 s63, exec_lo, s13
	s_cbranch_execz .LBB6_1271
; %bb.1258:                             ;   in Loop: Header=BB6_357 Depth=4
	v_and_b32_e32 v18, 0x7fffffff, v16
	v_mov_b32_e32 v19, v21
	v_and_b32_e32 v71, 0x80, v17
                                        ; implicit-def: $vgpr70
	s_mov_b32 s13, exec_lo
	s_delay_alu instid0(VALU_DEP_2)
	v_cmpx_gt_u64_e32 0x47600001, v[18:19]
	s_xor_b32 s72, exec_lo, s13
	s_cbranch_execz .LBB6_1268
; %bb.1259:                             ;   in Loop: Header=BB6_357 Depth=4
	v_mov_b32_e32 v70, 0
	s_mov_b32 s73, exec_lo
	v_cmpx_ne_u32_e32 0, v16
	s_cbranch_execz .LBB6_1267
; %bb.1260:                             ;   in Loop: Header=BB6_357 Depth=4
	v_bfe_u32 v70, v16, 23, 8
	v_or_b32_e32 v17, 0x800000, v20
	s_delay_alu instid0(VALU_DEP_2) | instskip(SKIP_2) | instid1(VALU_DEP_2)
	v_cmp_gt_u32_e64 s13, 0x72, v70
	v_sub_nc_u32_e32 v16, 0x71, v70
	v_cmp_eq_u32_e32 vcc_lo, 0, v70
	v_cndmask_b32_e64 v16, 0, v16, s13
	s_delay_alu instid0(VALU_DEP_1) | instskip(SKIP_1) | instid1(VALU_DEP_2)
	v_cndmask_b32_e64 v80, v16, 0x70, vcc_lo
	v_cndmask_b32_e32 v16, v17, v20, vcc_lo
	v_dual_mov_b32 v17, v21 :: v_dual_add_nc_u32 v18, 21, v80
	v_add_nc_u32_e32 v20, 20, v80
	s_delay_alu instid0(VALU_DEP_2) | instskip(NEXT) | instid1(VALU_DEP_2)
	v_lshlrev_b64_e64 v[18:19], v18, -1
	v_lshlrev_b64_e64 v[82:83], v20, 1
	s_delay_alu instid0(VALU_DEP_2) | instskip(SKIP_1) | instid1(VALU_DEP_4)
	v_bfi_b32 v18, v18, 0, v16
	v_lshrrev_b64 v[16:17], v80, v[16:17]
	v_bfi_b32 v19, v19, 0, 0
	s_delay_alu instid0(VALU_DEP_1) | instskip(NEXT) | instid1(VALU_DEP_3)
	v_cmp_eq_u64_e64 s13, v[18:19], v[82:83]
	v_mov_b64_e32 v[18:19], v[16:17]
	s_and_saveexec_b32 s74, s13
; %bb.1261:                             ;   in Loop: Header=BB6_357 Depth=4
	v_bfe_u32 v18, v16, 21, 1
	v_mov_b32_e32 v19, v21
	s_delay_alu instid0(VALU_DEP_1) | instskip(NEXT) | instid1(VALU_DEP_1)
	v_add_nc_u64_e32 v[18:19], v[16:17], v[18:19]
	v_add_nc_u64_e32 v[18:19], -1, v[18:19]
; %bb.1262:                             ;   in Loop: Header=BB6_357 Depth=4
	s_or_b32 exec_lo, exec_lo, s74
	v_add_nc_u32_e32 v17, 0xffffff81, v70
	v_lshrrev_b32_e32 v19, 23, v16
	s_mov_b32 s13, exec_lo
	s_delay_alu instid0(VALU_DEP_2) | instskip(NEXT) | instid1(VALU_DEP_1)
	v_cndmask_b32_e64 v17, v17, 0xffffff82, vcc_lo
	v_add3_u32 v70, v80, v17, v19
	v_and_b32_e32 v17, 0x1fffff, v18
                                        ; implicit-def: $vgpr18
	s_delay_alu instid0(VALU_DEP_1) | instskip(NEXT) | instid1(VALU_DEP_1)
	v_dual_add_nc_u32 v19, 14, v70 :: v_dual_add_nc_u32 v20, v17, v16
                                        ; implicit-def: $vgpr16_vgpr17
	v_cmpx_ne_u32_e32 0, v19
	s_xor_b32 s13, exec_lo, s13
; %bb.1263:                             ;   in Loop: Header=BB6_357 Depth=4
	s_delay_alu instid0(VALU_DEP_2) | instskip(SKIP_1) | instid1(VALU_DEP_1)
	v_cmp_lt_u64_e32 vcc_lo, 0xffffff, v[20:21]
	v_add_nc_u32_e32 v16, 15, v70
	v_cndmask_b32_e32 v18, v19, v16, vcc_lo
	v_cndmask_b32_e64 v16, 0, 1, vcc_lo
	s_delay_alu instid0(VALU_DEP_1)
	v_lshrrev_b64 v[16:17], v16, v[20:21]
; %bb.1264:                             ;   in Loop: Header=BB6_357 Depth=4
	s_and_not1_saveexec_b32 s13, s13
; %bb.1265:                             ;   in Loop: Header=BB6_357 Depth=4
	v_mov_b64_e32 v[16:17], v[20:21]
	v_bfe_u32 v18, v20, 23, 1
; %bb.1266:                             ;   in Loop: Header=BB6_357 Depth=4
	s_or_b32 exec_lo, exec_lo, s13
	s_delay_alu instid0(VALU_DEP_2) | instskip(NEXT) | instid1(VALU_DEP_2)
	v_lshrrev_b64 v[16:17], 21, v[16:17]
	v_cmp_gt_i32_e32 vcc_lo, 32, v18
	v_min_i32_e32 v19, 31, v18
	v_cmp_eq_u32_e64 s13, 0, v18
	s_delay_alu instid0(VALU_DEP_2) | instskip(SKIP_1) | instid1(VALU_DEP_2)
	v_dual_cndmask_b32 v17, 0, v17, vcc_lo :: v_dual_lshlrev_b32 v19, 2, v19
	v_cndmask_b32_e32 v16, 3, v16, vcc_lo
	v_and_b32_e32 v19, 0xfc, v19
	s_delay_alu instid0(VALU_DEP_2) | instskip(NEXT) | instid1(VALU_DEP_2)
	v_cmp_eq_u64_e32 vcc_lo, 0, v[16:17]
	v_and_or_b32 v16, v16, 3, v19
	s_and_b32 s13, s13, vcc_lo
	s_delay_alu instid0(VALU_DEP_1) | instid1(SALU_CYCLE_1)
	v_cndmask_b32_e64 v16, v16, 0, s13
	s_delay_alu instid0(VALU_DEP_1)
	v_or_b32_e32 v70, v16, v71
.LBB6_1267:                             ;   in Loop: Header=BB6_357 Depth=4
	s_or_b32 exec_lo, exec_lo, s73
                                        ; implicit-def: $vgpr71
.LBB6_1268:                             ;   in Loop: Header=BB6_357 Depth=4
	s_and_not1_saveexec_b32 s13, s72
; %bb.1269:                             ;   in Loop: Header=BB6_357 Depth=4
	v_or_b32_e32 v70, 0x7b, v71
; %bb.1270:                             ;   in Loop: Header=BB6_357 Depth=4
	s_or_b32 exec_lo, exec_lo, s13
                                        ; implicit-def: $vgpr16
                                        ; implicit-def: $vgpr17
.LBB6_1271:                             ;   in Loop: Header=BB6_357 Depth=4
	s_and_not1_saveexec_b32 s13, s63
	s_cbranch_execz .LBB6_1277
; %bb.1272:                             ;   in Loop: Header=BB6_357 Depth=4
	s_mov_b32 s63, exec_lo
                                        ; implicit-def: $vgpr70
	v_cmpx_ne_u64_e32 0, v[20:21]
	s_xor_b32 s63, exec_lo, s63
; %bb.1273:                             ;   in Loop: Header=BB6_357 Depth=4
	v_or_b32_e32 v70, 0x7f, v17
                                        ; implicit-def: $vgpr16
; %bb.1274:                             ;   in Loop: Header=BB6_357 Depth=4
	s_and_not1_saveexec_b32 s63, s63
; %bb.1275:                             ;   in Loop: Header=BB6_357 Depth=4
	v_cmp_lt_i32_e32 vcc_lo, -1, v16
	v_mov_b32_e32 v16, 0x7c
	s_delay_alu instid0(VALU_DEP_1)
	v_cndmask_b32_e32 v70, 0xfc, v16, vcc_lo
; %bb.1276:                             ;   in Loop: Header=BB6_357 Depth=4
	s_or_b32 exec_lo, exec_lo, s63
.LBB6_1277:                             ;   in Loop: Header=BB6_357 Depth=4
	s_delay_alu instid0(SALU_CYCLE_1)
	s_or_b32 exec_lo, exec_lo, s13
	v_dual_mov_b32 v17, 0 :: v_dual_mov_b32 v18, 0
	s_mov_b32 s63, exec_lo
	v_cmpx_lt_u64_e64 s[22:23], v[32:33]
	s_cbranch_execz .LBB6_1287
; %bb.1278:                             ;   in Loop: Header=BB6_357 Depth=4
	v_lshrrev_b32_e32 v16, 24, v33
	v_bfrev_b32_e32 v18, 1
	s_mov_b32 s72, exec_lo
	s_delay_alu instid0(VALU_DEP_2)
	v_cmpx_ne_u32_e32 0x80, v16
	s_cbranch_execz .LBB6_1286
; %bb.1279:                             ;   in Loop: Header=BB6_357 Depth=4
	v_and_b32_e32 v18, 0x7c000000, v33
	v_bfe_u32 v19, v33, 24, 2
	s_delay_alu instid0(VALU_DEP_2) | instskip(SKIP_1) | instid1(SALU_CYCLE_1)
	v_cmp_ne_u32_e32 vcc_lo, 0x7c000000, v18
                                        ; implicit-def: $vgpr18
	s_and_saveexec_b32 s13, vcc_lo
	s_xor_b32 s13, exec_lo, s13
	s_cbranch_execz .LBB6_1283
; %bb.1280:                             ;   in Loop: Header=BB6_357 Depth=4
	v_bfe_u32 v18, v33, 26, 5
	s_mov_b32 s73, exec_lo
	s_delay_alu instid0(VALU_DEP_1)
	v_cmpx_eq_u32_e32 0, v18
; %bb.1281:                             ;   in Loop: Header=BB6_357 Depth=4
	v_clz_i32_u32_e32 v18, v19
	s_delay_alu instid0(VALU_DEP_1) | instskip(NEXT) | instid1(VALU_DEP_1)
	v_min_u32_e32 v18, 32, v18
	v_subrev_nc_u32_e32 v19, 29, v18
	s_delay_alu instid0(VALU_DEP_1) | instskip(NEXT) | instid1(VALU_DEP_1)
	v_lshlrev_b64_e32 v[80:81], v19, v[16:17]
	v_dual_sub_nc_u32 v18, 30, v18 :: v_dual_bitop2_b32 v19, 3, v80 bitop3:0x40
; %bb.1282:                             ;   in Loop: Header=BB6_357 Depth=4
	s_or_b32 exec_lo, exec_lo, s73
	v_and_b32_e32 v16, 0x80000000, v33
	s_delay_alu instid0(VALU_DEP_1) | instskip(NEXT) | instid1(VALU_DEP_1)
	v_lshl_add_u32 v16, v18, 23, v16
	v_lshl_or_b32 v16, v19, 21, v16
                                        ; implicit-def: $vgpr19
	s_delay_alu instid0(VALU_DEP_1)
	v_add_nc_u32_e32 v18, 0x38000000, v16
.LBB6_1283:                             ;   in Loop: Header=BB6_357 Depth=4
	s_and_not1_saveexec_b32 s73, s13
; %bb.1284:                             ;   in Loop: Header=BB6_357 Depth=4
	v_cmp_lt_i64_e64 s13, -1, v[32:33]
	v_mov_b32_e32 v16, 0x7f800000
	v_cmp_eq_u32_e32 vcc_lo, 0, v19
	s_delay_alu instid0(VALU_DEP_2) | instskip(NEXT) | instid1(VALU_DEP_1)
	v_cndmask_b32_e64 v16, 0xff800000, v16, s13
	v_cndmask_b32_e32 v18, 0x7f800001, v16, vcc_lo
; %bb.1285:                             ;   in Loop: Header=BB6_357 Depth=4
	s_or_b32 exec_lo, exec_lo, s73
.LBB6_1286:                             ;   in Loop: Header=BB6_357 Depth=4
	s_delay_alu instid0(SALU_CYCLE_1)
	s_or_b32 exec_lo, exec_lo, s72
.LBB6_1287:                             ;   in Loop: Header=BB6_357 Depth=4
	s_delay_alu instid0(SALU_CYCLE_1) | instskip(NEXT) | instid1(SALU_CYCLE_1)
	s_or_b32 exec_lo, exec_lo, s63
	s_mov_b32 s63, exec_lo
	v_cmpx_lt_u64_e64 s[22:23], v[24:25]
	s_cbranch_execz .LBB6_1297
; %bb.1288:                             ;   in Loop: Header=BB6_357 Depth=4
	v_lshrrev_b32_e32 v16, 24, v25
	v_bfrev_b32_e32 v17, 1
	s_mov_b32 s72, exec_lo
	s_delay_alu instid0(VALU_DEP_2)
	v_cmpx_ne_u32_e32 0x80, v16
	s_cbranch_execz .LBB6_1296
; %bb.1289:                             ;   in Loop: Header=BB6_357 Depth=4
	v_and_b32_e32 v17, 0x7c000000, v25
	v_bfe_u32 v19, v25, 24, 2
	s_delay_alu instid0(VALU_DEP_2) | instskip(SKIP_1) | instid1(SALU_CYCLE_1)
	v_cmp_ne_u32_e32 vcc_lo, 0x7c000000, v17
                                        ; implicit-def: $vgpr17
	s_and_saveexec_b32 s13, vcc_lo
	s_xor_b32 s13, exec_lo, s13
	s_cbranch_execz .LBB6_1293
; %bb.1290:                             ;   in Loop: Header=BB6_357 Depth=4
	v_bfe_u32 v17, v25, 26, 5
	s_mov_b32 s73, exec_lo
	s_delay_alu instid0(VALU_DEP_1)
	v_cmpx_eq_u32_e32 0, v17
; %bb.1291:                             ;   in Loop: Header=BB6_357 Depth=4
	v_clz_i32_u32_e32 v17, v19
	s_delay_alu instid0(VALU_DEP_1) | instskip(NEXT) | instid1(VALU_DEP_1)
	v_min_u32_e32 v19, 32, v17
	v_subrev_nc_u32_e32 v17, 29, v19
	s_delay_alu instid0(VALU_DEP_1) | instskip(NEXT) | instid1(VALU_DEP_1)
	v_lshlrev_b64_e32 v[16:17], v17, v[16:17]
	v_dual_sub_nc_u32 v17, 30, v19 :: v_dual_bitop2_b32 v19, 3, v16 bitop3:0x40
; %bb.1292:                             ;   in Loop: Header=BB6_357 Depth=4
	s_or_b32 exec_lo, exec_lo, s73
	v_and_b32_e32 v16, 0x80000000, v25
	s_delay_alu instid0(VALU_DEP_1) | instskip(NEXT) | instid1(VALU_DEP_1)
	v_lshl_add_u32 v16, v17, 23, v16
	v_lshl_or_b32 v16, v19, 21, v16
                                        ; implicit-def: $vgpr19
	s_delay_alu instid0(VALU_DEP_1)
	v_add_nc_u32_e32 v17, 0x38000000, v16
.LBB6_1293:                             ;   in Loop: Header=BB6_357 Depth=4
	s_and_not1_saveexec_b32 s73, s13
; %bb.1294:                             ;   in Loop: Header=BB6_357 Depth=4
	v_cmp_lt_i64_e64 s13, -1, v[24:25]
	v_mov_b32_e32 v16, 0x7f800000
	v_cmp_eq_u32_e32 vcc_lo, 0, v19
	s_delay_alu instid0(VALU_DEP_2) | instskip(NEXT) | instid1(VALU_DEP_1)
	v_cndmask_b32_e64 v16, 0xff800000, v16, s13
	v_cndmask_b32_e32 v17, 0x7f800001, v16, vcc_lo
; %bb.1295:                             ;   in Loop: Header=BB6_357 Depth=4
	s_or_b32 exec_lo, exec_lo, s73
.LBB6_1296:                             ;   in Loop: Header=BB6_357 Depth=4
	s_delay_alu instid0(SALU_CYCLE_1)
	s_or_b32 exec_lo, exec_lo, s72
.LBB6_1297:                             ;   in Loop: Header=BB6_357 Depth=4
	s_delay_alu instid0(SALU_CYCLE_1) | instskip(NEXT) | instid1(VALU_DEP_1)
	s_or_b32 exec_lo, exec_lo, s63
	v_dual_mul_f32 v16, v18, v17 :: v_dual_mov_b32 v19, v21
                                        ; implicit-def: $vgpr24
	s_mov_b32 s13, exec_lo
	s_delay_alu instid0(VALU_DEP_1) | instskip(SKIP_2) | instid1(VALU_DEP_3)
	v_and_b32_e32 v18, 0x7f800000, v16
	v_and_b32_e32 v20, 0x7fffff, v16
	v_lshrrev_b32_e32 v17, 24, v16
	v_cmpx_ne_u64_e32 0x7f800000, v[18:19]
	s_xor_b32 s63, exec_lo, s13
	s_cbranch_execz .LBB6_1311
; %bb.1298:                             ;   in Loop: Header=BB6_357 Depth=4
	v_and_b32_e32 v18, 0x7fffffff, v16
	v_mov_b32_e32 v19, v21
	v_and_b32_e32 v25, 0x80, v17
                                        ; implicit-def: $vgpr24
	s_mov_b32 s13, exec_lo
	s_delay_alu instid0(VALU_DEP_2)
	v_cmpx_gt_u64_e32 0x47600001, v[18:19]
	s_xor_b32 s72, exec_lo, s13
	s_cbranch_execz .LBB6_1308
; %bb.1299:                             ;   in Loop: Header=BB6_357 Depth=4
	v_mov_b32_e32 v24, 0
	s_mov_b32 s73, exec_lo
	v_cmpx_ne_u32_e32 0, v16
	s_cbranch_execz .LBB6_1307
; %bb.1300:                             ;   in Loop: Header=BB6_357 Depth=4
	v_bfe_u32 v24, v16, 23, 8
	v_or_b32_e32 v17, 0x800000, v20
	s_delay_alu instid0(VALU_DEP_2) | instskip(SKIP_2) | instid1(VALU_DEP_2)
	v_cmp_gt_u32_e64 s13, 0x72, v24
	v_sub_nc_u32_e32 v16, 0x71, v24
	v_cmp_eq_u32_e32 vcc_lo, 0, v24
	v_cndmask_b32_e64 v16, 0, v16, s13
	s_delay_alu instid0(VALU_DEP_1) | instskip(SKIP_1) | instid1(VALU_DEP_2)
	v_cndmask_b32_e64 v32, v16, 0x70, vcc_lo
	v_cndmask_b32_e32 v16, v17, v20, vcc_lo
	v_dual_mov_b32 v17, v21 :: v_dual_add_nc_u32 v18, 21, v32
	v_add_nc_u32_e32 v20, 20, v32
	s_delay_alu instid0(VALU_DEP_2) | instskip(NEXT) | instid1(VALU_DEP_2)
	v_lshlrev_b64_e64 v[18:19], v18, -1
	v_lshlrev_b64_e64 v[80:81], v20, 1
	s_delay_alu instid0(VALU_DEP_2) | instskip(SKIP_1) | instid1(VALU_DEP_4)
	v_bfi_b32 v18, v18, 0, v16
	v_lshrrev_b64 v[16:17], v32, v[16:17]
	v_bfi_b32 v19, v19, 0, 0
	s_delay_alu instid0(VALU_DEP_1) | instskip(NEXT) | instid1(VALU_DEP_3)
	v_cmp_eq_u64_e64 s13, v[18:19], v[80:81]
	v_mov_b64_e32 v[18:19], v[16:17]
	s_and_saveexec_b32 s74, s13
; %bb.1301:                             ;   in Loop: Header=BB6_357 Depth=4
	v_bfe_u32 v18, v16, 21, 1
	v_mov_b32_e32 v19, v21
	s_delay_alu instid0(VALU_DEP_1) | instskip(NEXT) | instid1(VALU_DEP_1)
	v_add_nc_u64_e32 v[18:19], v[16:17], v[18:19]
	v_add_nc_u64_e32 v[18:19], -1, v[18:19]
; %bb.1302:                             ;   in Loop: Header=BB6_357 Depth=4
	s_or_b32 exec_lo, exec_lo, s74
	v_add_nc_u32_e32 v17, 0xffffff81, v24
	v_lshrrev_b32_e32 v19, 23, v16
	s_mov_b32 s13, exec_lo
	s_delay_alu instid0(VALU_DEP_2) | instskip(NEXT) | instid1(VALU_DEP_1)
	v_cndmask_b32_e64 v17, v17, 0xffffff82, vcc_lo
	v_add3_u32 v24, v32, v17, v19
	v_and_b32_e32 v17, 0x1fffff, v18
                                        ; implicit-def: $vgpr18
	s_delay_alu instid0(VALU_DEP_2) | instskip(NEXT) | instid1(VALU_DEP_2)
	v_add_nc_u32_e32 v19, 14, v24
	v_add_nc_u32_e32 v20, v17, v16
                                        ; implicit-def: $vgpr16_vgpr17
	s_delay_alu instid0(VALU_DEP_2)
	v_cmpx_ne_u32_e32 0, v19
	s_xor_b32 s13, exec_lo, s13
; %bb.1303:                             ;   in Loop: Header=BB6_357 Depth=4
	s_delay_alu instid0(VALU_DEP_2) | instskip(SKIP_1) | instid1(VALU_DEP_1)
	v_cmp_lt_u64_e32 vcc_lo, 0xffffff, v[20:21]
	v_add_nc_u32_e32 v16, 15, v24
	v_cndmask_b32_e32 v18, v19, v16, vcc_lo
	v_cndmask_b32_e64 v16, 0, 1, vcc_lo
	s_delay_alu instid0(VALU_DEP_1)
	v_lshrrev_b64 v[16:17], v16, v[20:21]
; %bb.1304:                             ;   in Loop: Header=BB6_357 Depth=4
	s_and_not1_saveexec_b32 s13, s13
; %bb.1305:                             ;   in Loop: Header=BB6_357 Depth=4
	v_mov_b64_e32 v[16:17], v[20:21]
	v_bfe_u32 v18, v20, 23, 1
; %bb.1306:                             ;   in Loop: Header=BB6_357 Depth=4
	s_or_b32 exec_lo, exec_lo, s13
	s_delay_alu instid0(VALU_DEP_2) | instskip(NEXT) | instid1(VALU_DEP_2)
	v_lshrrev_b64 v[16:17], 21, v[16:17]
	v_cmp_gt_i32_e32 vcc_lo, 32, v18
	v_min_i32_e32 v19, 31, v18
	v_cmp_eq_u32_e64 s13, 0, v18
	s_delay_alu instid0(VALU_DEP_2) | instskip(SKIP_1) | instid1(VALU_DEP_2)
	v_dual_cndmask_b32 v17, 0, v17, vcc_lo :: v_dual_lshlrev_b32 v19, 2, v19
	v_cndmask_b32_e32 v16, 3, v16, vcc_lo
	v_and_b32_e32 v19, 0xfc, v19
	s_delay_alu instid0(VALU_DEP_2) | instskip(NEXT) | instid1(VALU_DEP_2)
	v_cmp_eq_u64_e32 vcc_lo, 0, v[16:17]
	v_and_or_b32 v16, v16, 3, v19
	s_and_b32 s13, s13, vcc_lo
	s_delay_alu instid0(VALU_DEP_1) | instid1(SALU_CYCLE_1)
	v_cndmask_b32_e64 v16, v16, 0, s13
	s_delay_alu instid0(VALU_DEP_1)
	v_or_b32_e32 v24, v16, v25
.LBB6_1307:                             ;   in Loop: Header=BB6_357 Depth=4
	s_or_b32 exec_lo, exec_lo, s73
                                        ; implicit-def: $vgpr25
.LBB6_1308:                             ;   in Loop: Header=BB6_357 Depth=4
	s_and_not1_saveexec_b32 s13, s72
; %bb.1309:                             ;   in Loop: Header=BB6_357 Depth=4
	v_or_b32_e32 v24, 0x7b, v25
; %bb.1310:                             ;   in Loop: Header=BB6_357 Depth=4
	s_or_b32 exec_lo, exec_lo, s13
                                        ; implicit-def: $vgpr16
                                        ; implicit-def: $vgpr17
.LBB6_1311:                             ;   in Loop: Header=BB6_357 Depth=4
	s_and_not1_saveexec_b32 s13, s63
	s_cbranch_execz .LBB6_1317
; %bb.1312:                             ;   in Loop: Header=BB6_357 Depth=4
	s_mov_b32 s63, exec_lo
                                        ; implicit-def: $vgpr24
	v_cmpx_ne_u64_e32 0, v[20:21]
	s_xor_b32 s63, exec_lo, s63
; %bb.1313:                             ;   in Loop: Header=BB6_357 Depth=4
	v_or_b32_e32 v24, 0x7f, v17
                                        ; implicit-def: $vgpr16
; %bb.1314:                             ;   in Loop: Header=BB6_357 Depth=4
	s_and_not1_saveexec_b32 s63, s63
; %bb.1315:                             ;   in Loop: Header=BB6_357 Depth=4
	v_cmp_lt_i32_e32 vcc_lo, -1, v16
	v_mov_b32_e32 v16, 0x7c
	s_delay_alu instid0(VALU_DEP_1)
	v_cndmask_b32_e32 v24, 0xfc, v16, vcc_lo
; %bb.1316:                             ;   in Loop: Header=BB6_357 Depth=4
	s_or_b32 exec_lo, exec_lo, s63
.LBB6_1317:                             ;   in Loop: Header=BB6_357 Depth=4
	s_delay_alu instid0(SALU_CYCLE_1) | instskip(SKIP_2) | instid1(VALU_DEP_2)
	s_or_b32 exec_lo, exec_lo, s13
	v_and_b32_e32 v17, 0xff, v34
	v_mov_b32_e32 v16, 0
	v_cmp_ne_u16_e32 vcc_lo, 0, v17
	v_mov_b32_e32 v17, 0
	s_and_saveexec_b32 s63, vcc_lo
	s_cbranch_execz .LBB6_1327
; %bb.1318:                             ;   in Loop: Header=BB6_357 Depth=4
	v_bfe_i32 v19, v34, 0, 8
	v_bfrev_b32_e32 v17, 1
	s_mov_b32 s72, exec_lo
	s_delay_alu instid0(VALU_DEP_2)
	v_cmpx_ne_u16_e32 0xff80, v19
	s_cbranch_execz .LBB6_1326
; %bb.1319:                             ;   in Loop: Header=BB6_357 Depth=4
	v_and_b32_e32 v17, 0x7c, v34
	v_and_b32_e32 v18, 3, v34
	s_delay_alu instid0(VALU_DEP_2) | instskip(SKIP_1) | instid1(SALU_CYCLE_1)
	v_cmp_ne_u32_e32 vcc_lo, 0x7c, v17
                                        ; implicit-def: $vgpr17
	s_and_saveexec_b32 s13, vcc_lo
	s_xor_b32 s13, exec_lo, s13
	s_cbranch_execz .LBB6_1323
; %bb.1320:                             ;   in Loop: Header=BB6_357 Depth=4
	v_bfe_u32 v17, v34, 2, 5
	s_mov_b32 s73, exec_lo
	s_delay_alu instid0(VALU_DEP_1)
	v_cmpx_eq_u32_e32 0, v17
; %bb.1321:                             ;   in Loop: Header=BB6_357 Depth=4
	v_clz_i32_u32_e32 v17, v18
	s_delay_alu instid0(VALU_DEP_1) | instskip(NEXT) | instid1(VALU_DEP_1)
	v_min_u32_e32 v17, 32, v17
	v_subrev_nc_u32_e32 v18, 29, v17
	s_delay_alu instid0(VALU_DEP_1) | instskip(NEXT) | instid1(VALU_DEP_1)
	v_lshlrev_b64_e32 v[18:19], v18, v[34:35]
	v_dual_sub_nc_u32 v17, 30, v17 :: v_dual_bitop2_b32 v18, 3, v18 bitop3:0x40
; %bb.1322:                             ;   in Loop: Header=BB6_357 Depth=4
	s_or_b32 exec_lo, exec_lo, s73
	v_lshlrev_b32_e32 v19, 24, v34
	s_delay_alu instid0(VALU_DEP_1) | instskip(NEXT) | instid1(VALU_DEP_1)
	v_and_b32_e32 v19, 0x80000000, v19
	v_lshl_add_u32 v17, v17, 23, v19
                                        ; implicit-def: $vgpr19
	s_delay_alu instid0(VALU_DEP_1) | instskip(NEXT) | instid1(VALU_DEP_1)
	v_lshl_or_b32 v17, v18, 21, v17
                                        ; implicit-def: $vgpr18
	v_add_nc_u32_e32 v17, 0x38000000, v17
.LBB6_1323:                             ;   in Loop: Header=BB6_357 Depth=4
	s_and_not1_saveexec_b32 s73, s13
; %bb.1324:                             ;   in Loop: Header=BB6_357 Depth=4
	v_cmp_lt_i16_e64 s13, -1, v19
	v_mov_b32_e32 v17, 0x7f800000
	v_cmp_eq_u32_e32 vcc_lo, 0, v18
	s_delay_alu instid0(VALU_DEP_2) | instskip(NEXT) | instid1(VALU_DEP_1)
	v_cndmask_b32_e64 v17, 0xff800000, v17, s13
	v_cndmask_b32_e32 v17, 0x7f800001, v17, vcc_lo
; %bb.1325:                             ;   in Loop: Header=BB6_357 Depth=4
	s_or_b32 exec_lo, exec_lo, s73
.LBB6_1326:                             ;   in Loop: Header=BB6_357 Depth=4
	s_delay_alu instid0(SALU_CYCLE_1)
	s_or_b32 exec_lo, exec_lo, s72
.LBB6_1327:                             ;   in Loop: Header=BB6_357 Depth=4
	s_delay_alu instid0(SALU_CYCLE_1) | instskip(SKIP_2) | instid1(VALU_DEP_1)
	s_or_b32 exec_lo, exec_lo, s63
	v_and_b32_e32 v18, 0xff, v26
	s_mov_b32 s63, exec_lo
	v_cmpx_ne_u16_e32 0, v18
	s_cbranch_execz .LBB6_1337
; %bb.1328:                             ;   in Loop: Header=BB6_357 Depth=4
	v_bfe_i32 v19, v26, 0, 8
	v_bfrev_b32_e32 v16, 1
	s_mov_b32 s72, exec_lo
	s_delay_alu instid0(VALU_DEP_2)
	v_cmpx_ne_u16_e32 0xff80, v19
	s_cbranch_execz .LBB6_1336
; %bb.1329:                             ;   in Loop: Header=BB6_357 Depth=4
	v_and_b32_e32 v16, 0x7c, v26
	v_and_b32_e32 v18, 3, v26
	s_delay_alu instid0(VALU_DEP_2) | instskip(SKIP_1) | instid1(SALU_CYCLE_1)
	v_cmp_ne_u32_e32 vcc_lo, 0x7c, v16
                                        ; implicit-def: $vgpr16
	s_and_saveexec_b32 s13, vcc_lo
	s_xor_b32 s13, exec_lo, s13
	s_cbranch_execz .LBB6_1333
; %bb.1330:                             ;   in Loop: Header=BB6_357 Depth=4
	v_bfe_u32 v16, v26, 2, 5
	s_mov_b32 s73, exec_lo
	s_delay_alu instid0(VALU_DEP_1)
	v_cmpx_eq_u32_e32 0, v16
; %bb.1331:                             ;   in Loop: Header=BB6_357 Depth=4
	v_clz_i32_u32_e32 v16, v18
	s_delay_alu instid0(VALU_DEP_1) | instskip(NEXT) | instid1(VALU_DEP_1)
	v_min_u32_e32 v16, 32, v16
	v_subrev_nc_u32_e32 v18, 29, v16
	s_delay_alu instid0(VALU_DEP_1) | instskip(NEXT) | instid1(VALU_DEP_1)
	v_lshlrev_b64_e32 v[18:19], v18, v[26:27]
	v_dual_sub_nc_u32 v16, 30, v16 :: v_dual_bitop2_b32 v18, 3, v18 bitop3:0x40
; %bb.1332:                             ;   in Loop: Header=BB6_357 Depth=4
	s_or_b32 exec_lo, exec_lo, s73
	v_lshlrev_b32_e32 v19, 24, v26
	s_delay_alu instid0(VALU_DEP_1) | instskip(NEXT) | instid1(VALU_DEP_1)
	v_and_b32_e32 v19, 0x80000000, v19
	v_lshl_add_u32 v16, v16, 23, v19
                                        ; implicit-def: $vgpr19
	s_delay_alu instid0(VALU_DEP_1) | instskip(NEXT) | instid1(VALU_DEP_1)
	v_lshl_or_b32 v16, v18, 21, v16
                                        ; implicit-def: $vgpr18
	v_add_nc_u32_e32 v16, 0x38000000, v16
.LBB6_1333:                             ;   in Loop: Header=BB6_357 Depth=4
	s_and_not1_saveexec_b32 s73, s13
; %bb.1334:                             ;   in Loop: Header=BB6_357 Depth=4
	v_cmp_lt_i16_e64 s13, -1, v19
	v_mov_b32_e32 v16, 0x7f800000
	v_cmp_eq_u32_e32 vcc_lo, 0, v18
	s_delay_alu instid0(VALU_DEP_2) | instskip(NEXT) | instid1(VALU_DEP_1)
	v_cndmask_b32_e64 v16, 0xff800000, v16, s13
	v_cndmask_b32_e32 v16, 0x7f800001, v16, vcc_lo
; %bb.1335:                             ;   in Loop: Header=BB6_357 Depth=4
	s_or_b32 exec_lo, exec_lo, s73
.LBB6_1336:                             ;   in Loop: Header=BB6_357 Depth=4
	s_delay_alu instid0(SALU_CYCLE_1)
	s_or_b32 exec_lo, exec_lo, s72
.LBB6_1337:                             ;   in Loop: Header=BB6_357 Depth=4
	s_delay_alu instid0(SALU_CYCLE_1) | instskip(NEXT) | instid1(VALU_DEP_1)
	s_or_b32 exec_lo, exec_lo, s63
	v_mul_f32_e32 v16, v17, v16
	v_mov_b32_e32 v19, v21
                                        ; implicit-def: $vgpr25
	s_mov_b32 s13, exec_lo
	s_delay_alu instid0(VALU_DEP_2) | instskip(SKIP_2) | instid1(VALU_DEP_3)
	v_and_b32_e32 v18, 0x7f800000, v16
	v_and_b32_e32 v20, 0x7fffff, v16
	v_lshrrev_b32_e32 v17, 24, v16
	v_cmpx_ne_u64_e32 0x7f800000, v[18:19]
	s_xor_b32 s63, exec_lo, s13
	s_cbranch_execz .LBB6_1351
; %bb.1338:                             ;   in Loop: Header=BB6_357 Depth=4
	v_and_b32_e32 v18, 0x7fffffff, v16
	v_mov_b32_e32 v19, v21
	v_and_b32_e32 v32, 0x80, v17
                                        ; implicit-def: $vgpr25
	s_mov_b32 s13, exec_lo
	s_delay_alu instid0(VALU_DEP_2)
	v_cmpx_gt_u64_e32 0x47600001, v[18:19]
	s_xor_b32 s72, exec_lo, s13
	s_cbranch_execz .LBB6_1348
; %bb.1339:                             ;   in Loop: Header=BB6_357 Depth=4
	v_mov_b32_e32 v25, 0
	s_mov_b32 s73, exec_lo
	v_cmpx_ne_u32_e32 0, v16
	s_cbranch_execz .LBB6_1347
; %bb.1340:                             ;   in Loop: Header=BB6_357 Depth=4
	v_bfe_u32 v25, v16, 23, 8
	v_or_b32_e32 v17, 0x800000, v20
	s_delay_alu instid0(VALU_DEP_2) | instskip(SKIP_2) | instid1(VALU_DEP_2)
	v_cmp_gt_u32_e64 s13, 0x72, v25
	v_sub_nc_u32_e32 v16, 0x71, v25
	v_cmp_eq_u32_e32 vcc_lo, 0, v25
	v_cndmask_b32_e64 v16, 0, v16, s13
	s_delay_alu instid0(VALU_DEP_1) | instskip(SKIP_1) | instid1(VALU_DEP_2)
	v_cndmask_b32_e64 v33, v16, 0x70, vcc_lo
	v_cndmask_b32_e32 v16, v17, v20, vcc_lo
	v_dual_mov_b32 v17, v21 :: v_dual_add_nc_u32 v18, 21, v33
	v_add_nc_u32_e32 v20, 20, v33
	s_delay_alu instid0(VALU_DEP_2) | instskip(NEXT) | instid1(VALU_DEP_2)
	v_lshlrev_b64_e64 v[18:19], v18, -1
	v_lshlrev_b64_e64 v[80:81], v20, 1
	s_delay_alu instid0(VALU_DEP_2) | instskip(SKIP_1) | instid1(VALU_DEP_4)
	v_bfi_b32 v18, v18, 0, v16
	v_lshrrev_b64 v[16:17], v33, v[16:17]
	v_bfi_b32 v19, v19, 0, 0
	s_delay_alu instid0(VALU_DEP_1) | instskip(NEXT) | instid1(VALU_DEP_3)
	v_cmp_eq_u64_e64 s13, v[18:19], v[80:81]
	v_mov_b64_e32 v[18:19], v[16:17]
	s_and_saveexec_b32 s74, s13
; %bb.1341:                             ;   in Loop: Header=BB6_357 Depth=4
	v_bfe_u32 v18, v16, 21, 1
	v_mov_b32_e32 v19, v21
	s_delay_alu instid0(VALU_DEP_1) | instskip(NEXT) | instid1(VALU_DEP_1)
	v_add_nc_u64_e32 v[18:19], v[16:17], v[18:19]
	v_add_nc_u64_e32 v[18:19], -1, v[18:19]
; %bb.1342:                             ;   in Loop: Header=BB6_357 Depth=4
	s_or_b32 exec_lo, exec_lo, s74
	v_add_nc_u32_e32 v17, 0xffffff81, v25
	v_lshrrev_b32_e32 v19, 23, v16
	s_mov_b32 s13, exec_lo
	s_delay_alu instid0(VALU_DEP_2) | instskip(NEXT) | instid1(VALU_DEP_1)
	v_cndmask_b32_e64 v17, v17, 0xffffff82, vcc_lo
	v_add3_u32 v25, v33, v17, v19
	v_and_b32_e32 v17, 0x1fffff, v18
                                        ; implicit-def: $vgpr18
	s_delay_alu instid0(VALU_DEP_1) | instskip(NEXT) | instid1(VALU_DEP_1)
	v_dual_add_nc_u32 v19, 14, v25 :: v_dual_add_nc_u32 v20, v17, v16
                                        ; implicit-def: $vgpr16_vgpr17
	v_cmpx_ne_u32_e32 0, v19
	s_xor_b32 s13, exec_lo, s13
; %bb.1343:                             ;   in Loop: Header=BB6_357 Depth=4
	s_delay_alu instid0(VALU_DEP_2) | instskip(SKIP_1) | instid1(VALU_DEP_1)
	v_cmp_lt_u64_e32 vcc_lo, 0xffffff, v[20:21]
	v_add_nc_u32_e32 v16, 15, v25
	v_cndmask_b32_e32 v18, v19, v16, vcc_lo
	v_cndmask_b32_e64 v16, 0, 1, vcc_lo
	s_delay_alu instid0(VALU_DEP_1)
	v_lshrrev_b64 v[16:17], v16, v[20:21]
; %bb.1344:                             ;   in Loop: Header=BB6_357 Depth=4
	s_and_not1_saveexec_b32 s13, s13
; %bb.1345:                             ;   in Loop: Header=BB6_357 Depth=4
	v_mov_b64_e32 v[16:17], v[20:21]
	v_bfe_u32 v18, v20, 23, 1
; %bb.1346:                             ;   in Loop: Header=BB6_357 Depth=4
	s_or_b32 exec_lo, exec_lo, s13
	s_delay_alu instid0(VALU_DEP_2) | instskip(NEXT) | instid1(VALU_DEP_2)
	v_lshrrev_b64 v[16:17], 21, v[16:17]
	v_cmp_gt_i32_e32 vcc_lo, 32, v18
	v_min_i32_e32 v19, 31, v18
	v_cmp_eq_u32_e64 s13, 0, v18
	s_delay_alu instid0(VALU_DEP_2) | instskip(SKIP_1) | instid1(VALU_DEP_2)
	v_dual_cndmask_b32 v17, 0, v17, vcc_lo :: v_dual_lshlrev_b32 v19, 2, v19
	v_cndmask_b32_e32 v16, 3, v16, vcc_lo
	v_and_b32_e32 v19, 0xfc, v19
	s_delay_alu instid0(VALU_DEP_2) | instskip(NEXT) | instid1(VALU_DEP_2)
	v_cmp_eq_u64_e32 vcc_lo, 0, v[16:17]
	v_and_or_b32 v16, v16, 3, v19
	s_and_b32 s13, s13, vcc_lo
	s_delay_alu instid0(VALU_DEP_1) | instid1(SALU_CYCLE_1)
	v_cndmask_b32_e64 v16, v16, 0, s13
	s_delay_alu instid0(VALU_DEP_1)
	v_or_b32_e32 v25, v16, v32
.LBB6_1347:                             ;   in Loop: Header=BB6_357 Depth=4
	s_or_b32 exec_lo, exec_lo, s73
                                        ; implicit-def: $vgpr32
.LBB6_1348:                             ;   in Loop: Header=BB6_357 Depth=4
	s_and_not1_saveexec_b32 s13, s72
; %bb.1349:                             ;   in Loop: Header=BB6_357 Depth=4
	v_or_b32_e32 v25, 0x7b, v32
; %bb.1350:                             ;   in Loop: Header=BB6_357 Depth=4
	s_or_b32 exec_lo, exec_lo, s13
                                        ; implicit-def: $vgpr16
                                        ; implicit-def: $vgpr17
.LBB6_1351:                             ;   in Loop: Header=BB6_357 Depth=4
	s_and_not1_saveexec_b32 s13, s63
	s_cbranch_execz .LBB6_1357
; %bb.1352:                             ;   in Loop: Header=BB6_357 Depth=4
	s_mov_b32 s63, exec_lo
                                        ; implicit-def: $vgpr25
	v_cmpx_ne_u64_e32 0, v[20:21]
	s_xor_b32 s63, exec_lo, s63
; %bb.1353:                             ;   in Loop: Header=BB6_357 Depth=4
	v_or_b32_e32 v25, 0x7f, v17
                                        ; implicit-def: $vgpr16
; %bb.1354:                             ;   in Loop: Header=BB6_357 Depth=4
	s_and_not1_saveexec_b32 s63, s63
; %bb.1355:                             ;   in Loop: Header=BB6_357 Depth=4
	v_cmp_lt_i32_e32 vcc_lo, -1, v16
	v_mov_b32_e32 v16, 0x7c
	s_delay_alu instid0(VALU_DEP_1)
	v_cndmask_b32_e32 v25, 0xfc, v16, vcc_lo
; %bb.1356:                             ;   in Loop: Header=BB6_357 Depth=4
	s_or_b32 exec_lo, exec_lo, s63
.LBB6_1357:                             ;   in Loop: Header=BB6_357 Depth=4
	s_delay_alu instid0(SALU_CYCLE_1) | instskip(SKIP_3) | instid1(VALU_DEP_2)
	s_or_b32 exec_lo, exec_lo, s13
	v_lshrrev_b16 v16, 8, v34
	v_dual_mov_b32 v18, 0 :: v_dual_mov_b32 v19, 0
	s_mov_b32 s63, exec_lo
	v_cmpx_ne_u16_e32 0, v16
	s_cbranch_execz .LBB6_1367
; %bb.1358:                             ;   in Loop: Header=BB6_357 Depth=4
	v_bfrev_b32_e32 v19, 1
	s_mov_b32 s72, exec_lo
	v_cmpx_ne_u16_e32 0x80, v16
	s_cbranch_execz .LBB6_1366
; %bb.1359:                             ;   in Loop: Header=BB6_357 Depth=4
	v_and_b32_e32 v20, 0xffff, v16
	s_delay_alu instid0(VALU_DEP_1) | instskip(SKIP_1) | instid1(VALU_DEP_2)
	v_and_b32_e32 v19, 0x7c, v20
	v_and_b32_e32 v17, 3, v20
	v_cmp_ne_u32_e32 vcc_lo, 0x7c, v19
                                        ; implicit-def: $vgpr19
	s_and_saveexec_b32 s13, vcc_lo
	s_delay_alu instid0(SALU_CYCLE_1)
	s_xor_b32 s13, exec_lo, s13
	s_cbranch_execz .LBB6_1363
; %bb.1360:                             ;   in Loop: Header=BB6_357 Depth=4
	v_bfe_u32 v19, v20, 2, 5
	s_mov_b32 s73, exec_lo
	s_delay_alu instid0(VALU_DEP_1)
	v_cmpx_eq_u32_e32 0, v19
	s_cbranch_execz .LBB6_1362
; %bb.1361:                             ;   in Loop: Header=BB6_357 Depth=4
	v_clz_i32_u32_e32 v17, v17
	s_delay_alu instid0(VALU_DEP_1) | instskip(SKIP_1) | instid1(VALU_DEP_2)
	v_min_u32_e32 v19, 32, v17
	v_mov_b32_e32 v17, v21
	v_subrev_nc_u32_e32 v20, 29, v19
	v_sub_nc_u32_e32 v19, 30, v19
	s_delay_alu instid0(VALU_DEP_2) | instskip(NEXT) | instid1(VALU_DEP_1)
	v_lshlrev_b64_e32 v[16:17], v20, v[16:17]
	v_and_b32_e32 v17, 3, v16
.LBB6_1362:                             ;   in Loop: Header=BB6_357 Depth=4
	s_or_b32 exec_lo, exec_lo, s73
	v_lshlrev_b32_e32 v16, 16, v34
	s_delay_alu instid0(VALU_DEP_1) | instskip(NEXT) | instid1(VALU_DEP_1)
	v_and_b32_e32 v16, 0x80000000, v16
	v_lshl_add_u32 v16, v19, 23, v16
	s_delay_alu instid0(VALU_DEP_1) | instskip(NEXT) | instid1(VALU_DEP_1)
	v_lshl_or_b32 v16, v17, 21, v16
                                        ; implicit-def: $vgpr17
	v_add_nc_u32_e32 v19, 0x38000000, v16
.LBB6_1363:                             ;   in Loop: Header=BB6_357 Depth=4
	s_and_not1_saveexec_b32 s73, s13
; %bb.1364:                             ;   in Loop: Header=BB6_357 Depth=4
	v_cmp_lt_i16_e64 s13, -1, v34
	v_mov_b32_e32 v16, 0x7f800000
	v_cmp_eq_u32_e32 vcc_lo, 0, v17
	s_delay_alu instid0(VALU_DEP_2) | instskip(NEXT) | instid1(VALU_DEP_1)
	v_cndmask_b32_e64 v16, 0xff800000, v16, s13
	v_cndmask_b32_e32 v19, 0x7f800001, v16, vcc_lo
; %bb.1365:                             ;   in Loop: Header=BB6_357 Depth=4
	s_or_b32 exec_lo, exec_lo, s73
.LBB6_1366:                             ;   in Loop: Header=BB6_357 Depth=4
	s_delay_alu instid0(SALU_CYCLE_1)
	s_or_b32 exec_lo, exec_lo, s72
.LBB6_1367:                             ;   in Loop: Header=BB6_357 Depth=4
	s_delay_alu instid0(SALU_CYCLE_1) | instskip(SKIP_2) | instid1(VALU_DEP_1)
	s_or_b32 exec_lo, exec_lo, s63
	v_lshrrev_b16 v16, 8, v26
	s_mov_b32 s63, exec_lo
	v_cmpx_ne_u16_e32 0, v16
	s_cbranch_execz .LBB6_1377
; %bb.1368:                             ;   in Loop: Header=BB6_357 Depth=4
	v_bfrev_b32_e32 v18, 1
	s_mov_b32 s72, exec_lo
	v_cmpx_ne_u16_e32 0x80, v16
	s_cbranch_execz .LBB6_1376
; %bb.1369:                             ;   in Loop: Header=BB6_357 Depth=4
	v_and_b32_e32 v20, 0xffff, v16
	s_delay_alu instid0(VALU_DEP_1) | instskip(SKIP_1) | instid1(VALU_DEP_2)
	v_and_b32_e32 v18, 0x7c, v20
	v_and_b32_e32 v17, 3, v20
	v_cmp_ne_u32_e32 vcc_lo, 0x7c, v18
                                        ; implicit-def: $vgpr18
	s_and_saveexec_b32 s13, vcc_lo
	s_delay_alu instid0(SALU_CYCLE_1)
	s_xor_b32 s13, exec_lo, s13
	s_cbranch_execz .LBB6_1373
; %bb.1370:                             ;   in Loop: Header=BB6_357 Depth=4
	v_bfe_u32 v18, v20, 2, 5
	s_mov_b32 s73, exec_lo
	s_delay_alu instid0(VALU_DEP_1)
	v_cmpx_eq_u32_e32 0, v18
	s_cbranch_execz .LBB6_1372
; %bb.1371:                             ;   in Loop: Header=BB6_357 Depth=4
	v_clz_i32_u32_e32 v17, v17
	s_delay_alu instid0(VALU_DEP_1) | instskip(SKIP_1) | instid1(VALU_DEP_2)
	v_min_u32_e32 v18, 32, v17
	v_mov_b32_e32 v17, v21
	v_subrev_nc_u32_e32 v20, 29, v18
	v_sub_nc_u32_e32 v18, 30, v18
	s_delay_alu instid0(VALU_DEP_2) | instskip(NEXT) | instid1(VALU_DEP_1)
	v_lshlrev_b64_e32 v[16:17], v20, v[16:17]
	v_and_b32_e32 v17, 3, v16
.LBB6_1372:                             ;   in Loop: Header=BB6_357 Depth=4
	s_or_b32 exec_lo, exec_lo, s73
	v_lshlrev_b32_e32 v16, 16, v26
	s_delay_alu instid0(VALU_DEP_1) | instskip(NEXT) | instid1(VALU_DEP_1)
	v_and_b32_e32 v16, 0x80000000, v16
	v_lshl_add_u32 v16, v18, 23, v16
	s_delay_alu instid0(VALU_DEP_1) | instskip(NEXT) | instid1(VALU_DEP_1)
	v_lshl_or_b32 v16, v17, 21, v16
                                        ; implicit-def: $vgpr17
	v_add_nc_u32_e32 v18, 0x38000000, v16
.LBB6_1373:                             ;   in Loop: Header=BB6_357 Depth=4
	s_and_not1_saveexec_b32 s73, s13
; %bb.1374:                             ;   in Loop: Header=BB6_357 Depth=4
	v_cmp_lt_i16_e64 s13, -1, v26
	v_mov_b32_e32 v16, 0x7f800000
	v_cmp_eq_u32_e32 vcc_lo, 0, v17
	s_delay_alu instid0(VALU_DEP_2) | instskip(NEXT) | instid1(VALU_DEP_1)
	v_cndmask_b32_e64 v16, 0xff800000, v16, s13
	v_cndmask_b32_e32 v18, 0x7f800001, v16, vcc_lo
; %bb.1375:                             ;   in Loop: Header=BB6_357 Depth=4
	s_or_b32 exec_lo, exec_lo, s73
.LBB6_1376:                             ;   in Loop: Header=BB6_357 Depth=4
	s_delay_alu instid0(SALU_CYCLE_1)
	s_or_b32 exec_lo, exec_lo, s72
.LBB6_1377:                             ;   in Loop: Header=BB6_357 Depth=4
	s_delay_alu instid0(SALU_CYCLE_1) | instskip(NEXT) | instid1(VALU_DEP_1)
	s_or_b32 exec_lo, exec_lo, s63
	v_dual_mul_f32 v16, v19, v18 :: v_dual_mov_b32 v19, v21
                                        ; implicit-def: $vgpr32
	s_mov_b32 s13, exec_lo
	s_delay_alu instid0(VALU_DEP_1) | instskip(SKIP_2) | instid1(VALU_DEP_3)
	v_and_b32_e32 v18, 0x7f800000, v16
	v_and_b32_e32 v20, 0x7fffff, v16
	v_lshrrev_b32_e32 v17, 24, v16
	v_cmpx_ne_u64_e32 0x7f800000, v[18:19]
	s_xor_b32 s63, exec_lo, s13
	s_cbranch_execz .LBB6_1391
; %bb.1378:                             ;   in Loop: Header=BB6_357 Depth=4
	v_and_b32_e32 v18, 0x7fffffff, v16
	v_mov_b32_e32 v19, v21
	v_and_b32_e32 v33, 0x80, v17
                                        ; implicit-def: $vgpr32
	s_mov_b32 s13, exec_lo
	s_delay_alu instid0(VALU_DEP_2)
	v_cmpx_gt_u64_e32 0x47600001, v[18:19]
	s_xor_b32 s72, exec_lo, s13
	s_cbranch_execz .LBB6_1388
; %bb.1379:                             ;   in Loop: Header=BB6_357 Depth=4
	v_mov_b32_e32 v32, 0
	s_mov_b32 s73, exec_lo
	v_cmpx_ne_u32_e32 0, v16
	s_cbranch_execz .LBB6_1387
; %bb.1380:                             ;   in Loop: Header=BB6_357 Depth=4
	v_bfe_u32 v32, v16, 23, 8
	v_or_b32_e32 v17, 0x800000, v20
	s_delay_alu instid0(VALU_DEP_2) | instskip(SKIP_2) | instid1(VALU_DEP_2)
	v_cmp_gt_u32_e64 s13, 0x72, v32
	v_sub_nc_u32_e32 v16, 0x71, v32
	v_cmp_eq_u32_e32 vcc_lo, 0, v32
	v_cndmask_b32_e64 v16, 0, v16, s13
	s_delay_alu instid0(VALU_DEP_1) | instskip(SKIP_1) | instid1(VALU_DEP_2)
	v_cndmask_b32_e64 v71, v16, 0x70, vcc_lo
	v_cndmask_b32_e32 v16, v17, v20, vcc_lo
	v_dual_mov_b32 v17, v21 :: v_dual_add_nc_u32 v18, 21, v71
	v_add_nc_u32_e32 v20, 20, v71
	s_delay_alu instid0(VALU_DEP_2) | instskip(NEXT) | instid1(VALU_DEP_2)
	v_lshlrev_b64_e64 v[18:19], v18, -1
	v_lshlrev_b64_e64 v[80:81], v20, 1
	s_delay_alu instid0(VALU_DEP_2) | instskip(SKIP_1) | instid1(VALU_DEP_4)
	v_bfi_b32 v18, v18, 0, v16
	v_lshrrev_b64 v[16:17], v71, v[16:17]
	v_bfi_b32 v19, v19, 0, 0
	s_delay_alu instid0(VALU_DEP_1) | instskip(NEXT) | instid1(VALU_DEP_3)
	v_cmp_eq_u64_e64 s13, v[18:19], v[80:81]
	v_mov_b64_e32 v[18:19], v[16:17]
	s_and_saveexec_b32 s74, s13
; %bb.1381:                             ;   in Loop: Header=BB6_357 Depth=4
	v_bfe_u32 v18, v16, 21, 1
	v_mov_b32_e32 v19, v21
	s_delay_alu instid0(VALU_DEP_1) | instskip(NEXT) | instid1(VALU_DEP_1)
	v_add_nc_u64_e32 v[18:19], v[16:17], v[18:19]
	v_add_nc_u64_e32 v[18:19], -1, v[18:19]
; %bb.1382:                             ;   in Loop: Header=BB6_357 Depth=4
	s_or_b32 exec_lo, exec_lo, s74
	v_add_nc_u32_e32 v17, 0xffffff81, v32
	v_lshrrev_b32_e32 v19, 23, v16
	s_mov_b32 s13, exec_lo
	s_delay_alu instid0(VALU_DEP_2) | instskip(NEXT) | instid1(VALU_DEP_1)
	v_cndmask_b32_e64 v17, v17, 0xffffff82, vcc_lo
	v_add3_u32 v32, v71, v17, v19
	v_and_b32_e32 v17, 0x1fffff, v18
                                        ; implicit-def: $vgpr18
	s_delay_alu instid0(VALU_DEP_2) | instskip(NEXT) | instid1(VALU_DEP_2)
	v_add_nc_u32_e32 v19, 14, v32
	v_add_nc_u32_e32 v20, v17, v16
                                        ; implicit-def: $vgpr16_vgpr17
	s_delay_alu instid0(VALU_DEP_2)
	v_cmpx_ne_u32_e32 0, v19
	s_xor_b32 s13, exec_lo, s13
; %bb.1383:                             ;   in Loop: Header=BB6_357 Depth=4
	s_delay_alu instid0(VALU_DEP_2) | instskip(SKIP_1) | instid1(VALU_DEP_1)
	v_cmp_lt_u64_e32 vcc_lo, 0xffffff, v[20:21]
	v_add_nc_u32_e32 v16, 15, v32
	v_cndmask_b32_e32 v18, v19, v16, vcc_lo
	v_cndmask_b32_e64 v16, 0, 1, vcc_lo
	s_delay_alu instid0(VALU_DEP_1)
	v_lshrrev_b64 v[16:17], v16, v[20:21]
; %bb.1384:                             ;   in Loop: Header=BB6_357 Depth=4
	s_and_not1_saveexec_b32 s13, s13
; %bb.1385:                             ;   in Loop: Header=BB6_357 Depth=4
	v_mov_b64_e32 v[16:17], v[20:21]
	v_bfe_u32 v18, v20, 23, 1
; %bb.1386:                             ;   in Loop: Header=BB6_357 Depth=4
	s_or_b32 exec_lo, exec_lo, s13
	s_delay_alu instid0(VALU_DEP_2) | instskip(NEXT) | instid1(VALU_DEP_2)
	v_lshrrev_b64 v[16:17], 21, v[16:17]
	v_cmp_gt_i32_e32 vcc_lo, 32, v18
	v_min_i32_e32 v19, 31, v18
	v_cmp_eq_u32_e64 s13, 0, v18
	s_delay_alu instid0(VALU_DEP_2) | instskip(SKIP_1) | instid1(VALU_DEP_2)
	v_dual_cndmask_b32 v17, 0, v17, vcc_lo :: v_dual_lshlrev_b32 v19, 2, v19
	v_cndmask_b32_e32 v16, 3, v16, vcc_lo
	v_and_b32_e32 v19, 0xfc, v19
	s_delay_alu instid0(VALU_DEP_2) | instskip(NEXT) | instid1(VALU_DEP_2)
	v_cmp_eq_u64_e32 vcc_lo, 0, v[16:17]
	v_and_or_b32 v16, v16, 3, v19
	s_and_b32 s13, s13, vcc_lo
	s_delay_alu instid0(VALU_DEP_1) | instid1(SALU_CYCLE_1)
	v_cndmask_b32_e64 v16, v16, 0, s13
	s_delay_alu instid0(VALU_DEP_1)
	v_or_b32_e32 v32, v16, v33
.LBB6_1387:                             ;   in Loop: Header=BB6_357 Depth=4
	s_or_b32 exec_lo, exec_lo, s73
                                        ; implicit-def: $vgpr33
.LBB6_1388:                             ;   in Loop: Header=BB6_357 Depth=4
	s_and_not1_saveexec_b32 s13, s72
; %bb.1389:                             ;   in Loop: Header=BB6_357 Depth=4
	v_or_b32_e32 v32, 0x7b, v33
; %bb.1390:                             ;   in Loop: Header=BB6_357 Depth=4
	s_or_b32 exec_lo, exec_lo, s13
                                        ; implicit-def: $vgpr16
                                        ; implicit-def: $vgpr17
.LBB6_1391:                             ;   in Loop: Header=BB6_357 Depth=4
	s_and_not1_saveexec_b32 s13, s63
	s_cbranch_execz .LBB6_1397
; %bb.1392:                             ;   in Loop: Header=BB6_357 Depth=4
	s_mov_b32 s63, exec_lo
                                        ; implicit-def: $vgpr32
	v_cmpx_ne_u64_e32 0, v[20:21]
	s_xor_b32 s63, exec_lo, s63
; %bb.1393:                             ;   in Loop: Header=BB6_357 Depth=4
	v_or_b32_e32 v32, 0x7f, v17
                                        ; implicit-def: $vgpr16
; %bb.1394:                             ;   in Loop: Header=BB6_357 Depth=4
	s_and_not1_saveexec_b32 s63, s63
; %bb.1395:                             ;   in Loop: Header=BB6_357 Depth=4
	v_cmp_lt_i32_e32 vcc_lo, -1, v16
	v_mov_b32_e32 v16, 0x7c
	s_delay_alu instid0(VALU_DEP_1)
	v_cndmask_b32_e32 v32, 0xfc, v16, vcc_lo
; %bb.1396:                             ;   in Loop: Header=BB6_357 Depth=4
	s_or_b32 exec_lo, exec_lo, s63
.LBB6_1397:                             ;   in Loop: Header=BB6_357 Depth=4
	s_delay_alu instid0(SALU_CYCLE_1) | instskip(SKIP_3) | instid1(VALU_DEP_2)
	s_or_b32 exec_lo, exec_lo, s13
	v_dual_mov_b32 v17, 0 :: v_dual_lshrrev_b32 v16, 16, v34
	v_mov_b32_e32 v18, 0
	s_mov_b32 s63, exec_lo
	v_and_b32_e32 v19, 0xff, v16
	s_delay_alu instid0(VALU_DEP_1)
	v_cmpx_ne_u16_e32 0, v19
	s_cbranch_execz .LBB6_1407
; %bb.1398:                             ;   in Loop: Header=BB6_357 Depth=4
	v_bfrev_b32_e32 v18, 1
	s_mov_b32 s72, exec_lo
	v_cmpx_ne_u16_e32 0x80, v19
	s_cbranch_execz .LBB6_1406
; %bb.1399:                             ;   in Loop: Header=BB6_357 Depth=4
	v_and_b32_e32 v18, 0x7c0000, v34
	v_bfe_u32 v19, v34, 16, 2
	s_delay_alu instid0(VALU_DEP_2) | instskip(SKIP_1) | instid1(SALU_CYCLE_1)
	v_cmp_ne_u32_e32 vcc_lo, 0x7c0000, v18
                                        ; implicit-def: $vgpr18
	s_and_saveexec_b32 s13, vcc_lo
	s_xor_b32 s13, exec_lo, s13
	s_cbranch_execz .LBB6_1403
; %bb.1400:                             ;   in Loop: Header=BB6_357 Depth=4
	v_bfe_u32 v18, v34, 18, 5
	s_mov_b32 s73, exec_lo
	s_delay_alu instid0(VALU_DEP_1)
	v_cmpx_eq_u32_e32 0, v18
; %bb.1401:                             ;   in Loop: Header=BB6_357 Depth=4
	v_clz_i32_u32_e32 v18, v19
	s_delay_alu instid0(VALU_DEP_1) | instskip(NEXT) | instid1(VALU_DEP_1)
	v_min_u32_e32 v18, 32, v18
	v_subrev_nc_u32_e32 v19, 29, v18
	s_delay_alu instid0(VALU_DEP_1) | instskip(NEXT) | instid1(VALU_DEP_1)
	v_lshlrev_b64_e32 v[80:81], v19, v[16:17]
	v_dual_sub_nc_u32 v18, 30, v18 :: v_dual_bitop2_b32 v19, 3, v80 bitop3:0x40
; %bb.1402:                             ;   in Loop: Header=BB6_357 Depth=4
	s_or_b32 exec_lo, exec_lo, s73
	v_lshlrev_b32_e32 v16, 24, v16
	s_delay_alu instid0(VALU_DEP_1) | instskip(NEXT) | instid1(VALU_DEP_1)
	v_and_b32_e32 v16, 0x80000000, v16
	v_lshl_add_u32 v16, v18, 23, v16
	s_delay_alu instid0(VALU_DEP_1) | instskip(NEXT) | instid1(VALU_DEP_1)
	v_lshl_or_b32 v16, v19, 21, v16
                                        ; implicit-def: $vgpr19
	v_add_nc_u32_e32 v18, 0x38000000, v16
                                        ; implicit-def: $vgpr16
.LBB6_1403:                             ;   in Loop: Header=BB6_357 Depth=4
	s_and_not1_saveexec_b32 s73, s13
; %bb.1404:                             ;   in Loop: Header=BB6_357 Depth=4
	v_bfe_i32 v16, v16, 0, 8
	v_cmp_eq_u32_e32 vcc_lo, 0, v19
	s_delay_alu instid0(VALU_DEP_2) | instskip(SKIP_1) | instid1(VALU_DEP_1)
	v_cmp_lt_i16_e64 s13, -1, v16
	v_mov_b32_e32 v16, 0x7f800000
	v_cndmask_b32_e64 v16, 0xff800000, v16, s13
	s_delay_alu instid0(VALU_DEP_1)
	v_cndmask_b32_e32 v18, 0x7f800001, v16, vcc_lo
; %bb.1405:                             ;   in Loop: Header=BB6_357 Depth=4
	s_or_b32 exec_lo, exec_lo, s73
.LBB6_1406:                             ;   in Loop: Header=BB6_357 Depth=4
	s_delay_alu instid0(SALU_CYCLE_1)
	s_or_b32 exec_lo, exec_lo, s72
.LBB6_1407:                             ;   in Loop: Header=BB6_357 Depth=4
	s_delay_alu instid0(SALU_CYCLE_1) | instskip(SKIP_2) | instid1(VALU_DEP_1)
	s_or_b32 exec_lo, exec_lo, s63
	v_lshrrev_b32_e32 v16, 16, v26
	s_mov_b32 s63, exec_lo
	v_and_b32_e32 v19, 0xff, v16
	s_delay_alu instid0(VALU_DEP_1)
	v_cmpx_ne_u16_e32 0, v19
	s_cbranch_execz .LBB6_1417
; %bb.1408:                             ;   in Loop: Header=BB6_357 Depth=4
	v_bfrev_b32_e32 v17, 1
	s_mov_b32 s72, exec_lo
	v_cmpx_ne_u16_e32 0x80, v19
	s_cbranch_execz .LBB6_1416
; %bb.1409:                             ;   in Loop: Header=BB6_357 Depth=4
	v_and_b32_e32 v17, 0x7c0000, v26
	v_bfe_u32 v19, v26, 16, 2
	s_delay_alu instid0(VALU_DEP_2) | instskip(SKIP_1) | instid1(SALU_CYCLE_1)
	v_cmp_ne_u32_e32 vcc_lo, 0x7c0000, v17
                                        ; implicit-def: $vgpr17
	s_and_saveexec_b32 s13, vcc_lo
	s_xor_b32 s13, exec_lo, s13
	s_cbranch_execz .LBB6_1413
; %bb.1410:                             ;   in Loop: Header=BB6_357 Depth=4
	v_bfe_u32 v17, v26, 18, 5
	s_mov_b32 s73, exec_lo
	s_delay_alu instid0(VALU_DEP_1)
	v_cmpx_eq_u32_e32 0, v17
; %bb.1411:                             ;   in Loop: Header=BB6_357 Depth=4
	v_clz_i32_u32_e32 v17, v19
	s_delay_alu instid0(VALU_DEP_1) | instskip(NEXT) | instid1(VALU_DEP_1)
	v_min_u32_e32 v17, 32, v17
	v_subrev_nc_u32_e32 v19, 29, v17
	s_delay_alu instid0(VALU_DEP_1) | instskip(NEXT) | instid1(VALU_DEP_1)
	v_lshlrev_b64_e32 v[80:81], v19, v[16:17]
	v_dual_sub_nc_u32 v17, 30, v17 :: v_dual_bitop2_b32 v19, 3, v80 bitop3:0x40
; %bb.1412:                             ;   in Loop: Header=BB6_357 Depth=4
	s_or_b32 exec_lo, exec_lo, s73
	v_lshlrev_b32_e32 v16, 24, v16
	s_delay_alu instid0(VALU_DEP_1) | instskip(NEXT) | instid1(VALU_DEP_1)
	v_and_b32_e32 v16, 0x80000000, v16
	v_lshl_add_u32 v16, v17, 23, v16
	s_delay_alu instid0(VALU_DEP_1) | instskip(NEXT) | instid1(VALU_DEP_1)
	v_lshl_or_b32 v16, v19, 21, v16
                                        ; implicit-def: $vgpr19
	v_add_nc_u32_e32 v17, 0x38000000, v16
                                        ; implicit-def: $vgpr16
.LBB6_1413:                             ;   in Loop: Header=BB6_357 Depth=4
	s_and_not1_saveexec_b32 s73, s13
; %bb.1414:                             ;   in Loop: Header=BB6_357 Depth=4
	v_bfe_i32 v16, v16, 0, 8
	v_cmp_eq_u32_e32 vcc_lo, 0, v19
	s_delay_alu instid0(VALU_DEP_2) | instskip(SKIP_1) | instid1(VALU_DEP_1)
	v_cmp_lt_i16_e64 s13, -1, v16
	v_mov_b32_e32 v16, 0x7f800000
	v_cndmask_b32_e64 v16, 0xff800000, v16, s13
	s_delay_alu instid0(VALU_DEP_1)
	v_cndmask_b32_e32 v17, 0x7f800001, v16, vcc_lo
; %bb.1415:                             ;   in Loop: Header=BB6_357 Depth=4
	s_or_b32 exec_lo, exec_lo, s73
.LBB6_1416:                             ;   in Loop: Header=BB6_357 Depth=4
	s_delay_alu instid0(SALU_CYCLE_1)
	s_or_b32 exec_lo, exec_lo, s72
.LBB6_1417:                             ;   in Loop: Header=BB6_357 Depth=4
	s_delay_alu instid0(SALU_CYCLE_1) | instskip(NEXT) | instid1(VALU_DEP_1)
	s_or_b32 exec_lo, exec_lo, s63
	v_dual_mul_f32 v16, v18, v17 :: v_dual_mov_b32 v19, v21
                                        ; implicit-def: $vgpr33
	s_mov_b32 s13, exec_lo
	s_delay_alu instid0(VALU_DEP_1) | instskip(SKIP_2) | instid1(VALU_DEP_3)
	v_and_b32_e32 v18, 0x7f800000, v16
	v_and_b32_e32 v20, 0x7fffff, v16
	v_lshrrev_b32_e32 v17, 24, v16
	v_cmpx_ne_u64_e32 0x7f800000, v[18:19]
	s_xor_b32 s63, exec_lo, s13
	s_cbranch_execz .LBB6_1431
; %bb.1418:                             ;   in Loop: Header=BB6_357 Depth=4
	v_and_b32_e32 v18, 0x7fffffff, v16
	v_mov_b32_e32 v19, v21
	v_and_b32_e32 v71, 0x80, v17
                                        ; implicit-def: $vgpr33
	s_mov_b32 s13, exec_lo
	s_delay_alu instid0(VALU_DEP_2)
	v_cmpx_gt_u64_e32 0x47600001, v[18:19]
	s_xor_b32 s72, exec_lo, s13
	s_cbranch_execz .LBB6_1428
; %bb.1419:                             ;   in Loop: Header=BB6_357 Depth=4
	v_mov_b32_e32 v33, 0
	s_mov_b32 s73, exec_lo
	v_cmpx_ne_u32_e32 0, v16
	s_cbranch_execz .LBB6_1427
; %bb.1420:                             ;   in Loop: Header=BB6_357 Depth=4
	v_bfe_u32 v33, v16, 23, 8
	v_or_b32_e32 v17, 0x800000, v20
	s_delay_alu instid0(VALU_DEP_2) | instskip(SKIP_2) | instid1(VALU_DEP_2)
	v_cmp_gt_u32_e64 s13, 0x72, v33
	v_sub_nc_u32_e32 v16, 0x71, v33
	v_cmp_eq_u32_e32 vcc_lo, 0, v33
	v_cndmask_b32_e64 v16, 0, v16, s13
	s_delay_alu instid0(VALU_DEP_1) | instskip(SKIP_1) | instid1(VALU_DEP_2)
	v_cndmask_b32_e64 v80, v16, 0x70, vcc_lo
	v_cndmask_b32_e32 v16, v17, v20, vcc_lo
	v_dual_mov_b32 v17, v21 :: v_dual_add_nc_u32 v18, 21, v80
	v_add_nc_u32_e32 v20, 20, v80
	s_delay_alu instid0(VALU_DEP_2) | instskip(NEXT) | instid1(VALU_DEP_2)
	v_lshlrev_b64_e64 v[18:19], v18, -1
	v_lshlrev_b64_e64 v[82:83], v20, 1
	s_delay_alu instid0(VALU_DEP_2) | instskip(SKIP_1) | instid1(VALU_DEP_4)
	v_bfi_b32 v18, v18, 0, v16
	v_lshrrev_b64 v[16:17], v80, v[16:17]
	v_bfi_b32 v19, v19, 0, 0
	s_delay_alu instid0(VALU_DEP_1) | instskip(NEXT) | instid1(VALU_DEP_3)
	v_cmp_eq_u64_e64 s13, v[18:19], v[82:83]
	v_mov_b64_e32 v[18:19], v[16:17]
	s_and_saveexec_b32 s74, s13
; %bb.1421:                             ;   in Loop: Header=BB6_357 Depth=4
	v_bfe_u32 v18, v16, 21, 1
	v_mov_b32_e32 v19, v21
	s_delay_alu instid0(VALU_DEP_1) | instskip(NEXT) | instid1(VALU_DEP_1)
	v_add_nc_u64_e32 v[18:19], v[16:17], v[18:19]
	v_add_nc_u64_e32 v[18:19], -1, v[18:19]
; %bb.1422:                             ;   in Loop: Header=BB6_357 Depth=4
	s_or_b32 exec_lo, exec_lo, s74
	v_add_nc_u32_e32 v17, 0xffffff81, v33
	v_lshrrev_b32_e32 v19, 23, v16
	s_mov_b32 s13, exec_lo
	s_delay_alu instid0(VALU_DEP_2) | instskip(NEXT) | instid1(VALU_DEP_1)
	v_cndmask_b32_e64 v17, v17, 0xffffff82, vcc_lo
	v_add3_u32 v33, v80, v17, v19
	v_and_b32_e32 v17, 0x1fffff, v18
                                        ; implicit-def: $vgpr18
	s_delay_alu instid0(VALU_DEP_1) | instskip(NEXT) | instid1(VALU_DEP_1)
	v_dual_add_nc_u32 v19, 14, v33 :: v_dual_add_nc_u32 v20, v17, v16
                                        ; implicit-def: $vgpr16_vgpr17
	v_cmpx_ne_u32_e32 0, v19
	s_xor_b32 s13, exec_lo, s13
; %bb.1423:                             ;   in Loop: Header=BB6_357 Depth=4
	s_delay_alu instid0(VALU_DEP_2) | instskip(SKIP_1) | instid1(VALU_DEP_1)
	v_cmp_lt_u64_e32 vcc_lo, 0xffffff, v[20:21]
	v_add_nc_u32_e32 v16, 15, v33
	v_cndmask_b32_e32 v18, v19, v16, vcc_lo
	v_cndmask_b32_e64 v16, 0, 1, vcc_lo
	s_delay_alu instid0(VALU_DEP_1)
	v_lshrrev_b64 v[16:17], v16, v[20:21]
; %bb.1424:                             ;   in Loop: Header=BB6_357 Depth=4
	s_and_not1_saveexec_b32 s13, s13
; %bb.1425:                             ;   in Loop: Header=BB6_357 Depth=4
	v_mov_b64_e32 v[16:17], v[20:21]
	v_bfe_u32 v18, v20, 23, 1
; %bb.1426:                             ;   in Loop: Header=BB6_357 Depth=4
	s_or_b32 exec_lo, exec_lo, s13
	s_delay_alu instid0(VALU_DEP_2) | instskip(NEXT) | instid1(VALU_DEP_2)
	v_lshrrev_b64 v[16:17], 21, v[16:17]
	v_cmp_gt_i32_e32 vcc_lo, 32, v18
	v_min_i32_e32 v19, 31, v18
	v_cmp_eq_u32_e64 s13, 0, v18
	s_delay_alu instid0(VALU_DEP_2) | instskip(SKIP_1) | instid1(VALU_DEP_2)
	v_dual_cndmask_b32 v17, 0, v17, vcc_lo :: v_dual_lshlrev_b32 v19, 2, v19
	v_cndmask_b32_e32 v16, 3, v16, vcc_lo
	v_and_b32_e32 v19, 0xfc, v19
	s_delay_alu instid0(VALU_DEP_2) | instskip(NEXT) | instid1(VALU_DEP_2)
	v_cmp_eq_u64_e32 vcc_lo, 0, v[16:17]
	v_and_or_b32 v16, v16, 3, v19
	s_and_b32 s13, s13, vcc_lo
	s_delay_alu instid0(VALU_DEP_1) | instid1(SALU_CYCLE_1)
	v_cndmask_b32_e64 v16, v16, 0, s13
	s_delay_alu instid0(VALU_DEP_1)
	v_or_b32_e32 v33, v16, v71
.LBB6_1427:                             ;   in Loop: Header=BB6_357 Depth=4
	s_or_b32 exec_lo, exec_lo, s73
                                        ; implicit-def: $vgpr71
.LBB6_1428:                             ;   in Loop: Header=BB6_357 Depth=4
	s_and_not1_saveexec_b32 s13, s72
; %bb.1429:                             ;   in Loop: Header=BB6_357 Depth=4
	v_or_b32_e32 v33, 0x7b, v71
; %bb.1430:                             ;   in Loop: Header=BB6_357 Depth=4
	s_or_b32 exec_lo, exec_lo, s13
                                        ; implicit-def: $vgpr16
                                        ; implicit-def: $vgpr17
.LBB6_1431:                             ;   in Loop: Header=BB6_357 Depth=4
	s_and_not1_saveexec_b32 s13, s63
	s_cbranch_execz .LBB6_1437
; %bb.1432:                             ;   in Loop: Header=BB6_357 Depth=4
	s_mov_b32 s63, exec_lo
                                        ; implicit-def: $vgpr33
	v_cmpx_ne_u64_e32 0, v[20:21]
	s_xor_b32 s63, exec_lo, s63
; %bb.1433:                             ;   in Loop: Header=BB6_357 Depth=4
	v_or_b32_e32 v33, 0x7f, v17
                                        ; implicit-def: $vgpr16
; %bb.1434:                             ;   in Loop: Header=BB6_357 Depth=4
	s_and_not1_saveexec_b32 s63, s63
; %bb.1435:                             ;   in Loop: Header=BB6_357 Depth=4
	v_cmp_lt_i32_e32 vcc_lo, -1, v16
	v_mov_b32_e32 v16, 0x7c
	s_delay_alu instid0(VALU_DEP_1)
	v_cndmask_b32_e32 v33, 0xfc, v16, vcc_lo
; %bb.1436:                             ;   in Loop: Header=BB6_357 Depth=4
	s_or_b32 exec_lo, exec_lo, s63
.LBB6_1437:                             ;   in Loop: Header=BB6_357 Depth=4
	s_delay_alu instid0(SALU_CYCLE_1)
	s_or_b32 exec_lo, exec_lo, s13
	v_dual_mov_b32 v17, 0 :: v_dual_mov_b32 v18, 0
	s_mov_b32 s63, exec_lo
	v_cmpx_lt_u32_e32 0xffffff, v34
	s_cbranch_execz .LBB6_1447
; %bb.1438:                             ;   in Loop: Header=BB6_357 Depth=4
	v_lshrrev_b32_e32 v16, 24, v34
	v_bfrev_b32_e32 v18, 1
	s_mov_b32 s72, exec_lo
	s_delay_alu instid0(VALU_DEP_2)
	v_cmpx_ne_u32_e32 0x80, v16
	s_cbranch_execz .LBB6_1446
; %bb.1439:                             ;   in Loop: Header=BB6_357 Depth=4
	v_and_b32_e32 v18, 0x7c000000, v34
	v_bfe_u32 v19, v34, 24, 2
	s_delay_alu instid0(VALU_DEP_2) | instskip(SKIP_1) | instid1(SALU_CYCLE_1)
	v_cmp_ne_u32_e32 vcc_lo, 0x7c000000, v18
                                        ; implicit-def: $vgpr18
	s_and_saveexec_b32 s13, vcc_lo
	s_xor_b32 s13, exec_lo, s13
	s_cbranch_execz .LBB6_1443
; %bb.1440:                             ;   in Loop: Header=BB6_357 Depth=4
	v_bfe_u32 v18, v34, 26, 5
	s_mov_b32 s73, exec_lo
	s_delay_alu instid0(VALU_DEP_1)
	v_cmpx_eq_u32_e32 0, v18
; %bb.1441:                             ;   in Loop: Header=BB6_357 Depth=4
	v_clz_i32_u32_e32 v18, v19
	s_delay_alu instid0(VALU_DEP_1) | instskip(NEXT) | instid1(VALU_DEP_1)
	v_min_u32_e32 v18, 32, v18
	v_subrev_nc_u32_e32 v19, 29, v18
	s_delay_alu instid0(VALU_DEP_1) | instskip(NEXT) | instid1(VALU_DEP_1)
	v_lshlrev_b64_e32 v[80:81], v19, v[16:17]
	v_dual_sub_nc_u32 v18, 30, v18 :: v_dual_bitop2_b32 v19, 3, v80 bitop3:0x40
; %bb.1442:                             ;   in Loop: Header=BB6_357 Depth=4
	s_or_b32 exec_lo, exec_lo, s73
	v_and_b32_e32 v16, 0x80000000, v34
	s_delay_alu instid0(VALU_DEP_1) | instskip(NEXT) | instid1(VALU_DEP_1)
	v_lshl_add_u32 v16, v18, 23, v16
	v_lshl_or_b32 v16, v19, 21, v16
                                        ; implicit-def: $vgpr19
	s_delay_alu instid0(VALU_DEP_1)
	v_add_nc_u32_e32 v18, 0x38000000, v16
.LBB6_1443:                             ;   in Loop: Header=BB6_357 Depth=4
	s_and_not1_saveexec_b32 s73, s13
; %bb.1444:                             ;   in Loop: Header=BB6_357 Depth=4
	v_cmp_lt_i32_e64 s13, -1, v34
	v_mov_b32_e32 v16, 0x7f800000
	v_cmp_eq_u32_e32 vcc_lo, 0, v19
	s_delay_alu instid0(VALU_DEP_2) | instskip(NEXT) | instid1(VALU_DEP_1)
	v_cndmask_b32_e64 v16, 0xff800000, v16, s13
	v_cndmask_b32_e32 v18, 0x7f800001, v16, vcc_lo
; %bb.1445:                             ;   in Loop: Header=BB6_357 Depth=4
	s_or_b32 exec_lo, exec_lo, s73
.LBB6_1446:                             ;   in Loop: Header=BB6_357 Depth=4
	s_delay_alu instid0(SALU_CYCLE_1)
	s_or_b32 exec_lo, exec_lo, s72
.LBB6_1447:                             ;   in Loop: Header=BB6_357 Depth=4
	s_delay_alu instid0(SALU_CYCLE_1) | instskip(NEXT) | instid1(SALU_CYCLE_1)
	s_or_b32 exec_lo, exec_lo, s63
	s_mov_b32 s63, exec_lo
	v_cmpx_lt_u32_e32 0xffffff, v26
	s_cbranch_execz .LBB6_1457
; %bb.1448:                             ;   in Loop: Header=BB6_357 Depth=4
	v_lshrrev_b32_e32 v16, 24, v26
	v_bfrev_b32_e32 v17, 1
	s_mov_b32 s72, exec_lo
	s_delay_alu instid0(VALU_DEP_2)
	v_cmpx_ne_u32_e32 0x80, v16
	s_cbranch_execz .LBB6_1456
; %bb.1449:                             ;   in Loop: Header=BB6_357 Depth=4
	v_and_b32_e32 v17, 0x7c000000, v26
	v_bfe_u32 v19, v26, 24, 2
	s_delay_alu instid0(VALU_DEP_2) | instskip(SKIP_1) | instid1(SALU_CYCLE_1)
	v_cmp_ne_u32_e32 vcc_lo, 0x7c000000, v17
                                        ; implicit-def: $vgpr17
	s_and_saveexec_b32 s13, vcc_lo
	s_xor_b32 s13, exec_lo, s13
	s_cbranch_execz .LBB6_1453
; %bb.1450:                             ;   in Loop: Header=BB6_357 Depth=4
	v_bfe_u32 v17, v26, 26, 5
	s_mov_b32 s73, exec_lo
	s_delay_alu instid0(VALU_DEP_1)
	v_cmpx_eq_u32_e32 0, v17
; %bb.1451:                             ;   in Loop: Header=BB6_357 Depth=4
	v_clz_i32_u32_e32 v17, v19
	s_delay_alu instid0(VALU_DEP_1) | instskip(NEXT) | instid1(VALU_DEP_1)
	v_min_u32_e32 v19, 32, v17
	v_subrev_nc_u32_e32 v17, 29, v19
	s_delay_alu instid0(VALU_DEP_1) | instskip(NEXT) | instid1(VALU_DEP_1)
	v_lshlrev_b64_e32 v[16:17], v17, v[16:17]
	v_dual_sub_nc_u32 v17, 30, v19 :: v_dual_bitop2_b32 v19, 3, v16 bitop3:0x40
; %bb.1452:                             ;   in Loop: Header=BB6_357 Depth=4
	s_or_b32 exec_lo, exec_lo, s73
	v_and_b32_e32 v16, 0x80000000, v26
	s_delay_alu instid0(VALU_DEP_1) | instskip(NEXT) | instid1(VALU_DEP_1)
	v_lshl_add_u32 v16, v17, 23, v16
	v_lshl_or_b32 v16, v19, 21, v16
                                        ; implicit-def: $vgpr19
	s_delay_alu instid0(VALU_DEP_1)
	v_add_nc_u32_e32 v17, 0x38000000, v16
.LBB6_1453:                             ;   in Loop: Header=BB6_357 Depth=4
	s_and_not1_saveexec_b32 s73, s13
; %bb.1454:                             ;   in Loop: Header=BB6_357 Depth=4
	v_cmp_lt_i32_e64 s13, -1, v26
	v_mov_b32_e32 v16, 0x7f800000
	v_cmp_eq_u32_e32 vcc_lo, 0, v19
	s_delay_alu instid0(VALU_DEP_2) | instskip(NEXT) | instid1(VALU_DEP_1)
	v_cndmask_b32_e64 v16, 0xff800000, v16, s13
	v_cndmask_b32_e32 v17, 0x7f800001, v16, vcc_lo
; %bb.1455:                             ;   in Loop: Header=BB6_357 Depth=4
	s_or_b32 exec_lo, exec_lo, s73
.LBB6_1456:                             ;   in Loop: Header=BB6_357 Depth=4
	s_delay_alu instid0(SALU_CYCLE_1)
	s_or_b32 exec_lo, exec_lo, s72
.LBB6_1457:                             ;   in Loop: Header=BB6_357 Depth=4
	s_delay_alu instid0(SALU_CYCLE_1) | instskip(NEXT) | instid1(VALU_DEP_1)
	s_or_b32 exec_lo, exec_lo, s63
	v_dual_mul_f32 v16, v18, v17 :: v_dual_mov_b32 v19, v21
                                        ; implicit-def: $vgpr71
	s_mov_b32 s13, exec_lo
	s_delay_alu instid0(VALU_DEP_1) | instskip(SKIP_2) | instid1(VALU_DEP_3)
	v_and_b32_e32 v18, 0x7f800000, v16
	v_and_b32_e32 v20, 0x7fffff, v16
	v_lshrrev_b32_e32 v17, 24, v16
	v_cmpx_ne_u64_e32 0x7f800000, v[18:19]
	s_xor_b32 s63, exec_lo, s13
	s_cbranch_execz .LBB6_1471
; %bb.1458:                             ;   in Loop: Header=BB6_357 Depth=4
	v_and_b32_e32 v18, 0x7fffffff, v16
	v_mov_b32_e32 v19, v21
	v_and_b32_e32 v80, 0x80, v17
                                        ; implicit-def: $vgpr71
	s_mov_b32 s13, exec_lo
	s_delay_alu instid0(VALU_DEP_2)
	v_cmpx_gt_u64_e32 0x47600001, v[18:19]
	s_xor_b32 s72, exec_lo, s13
	s_cbranch_execz .LBB6_1468
; %bb.1459:                             ;   in Loop: Header=BB6_357 Depth=4
	v_mov_b32_e32 v71, 0
	s_mov_b32 s73, exec_lo
	v_cmpx_ne_u32_e32 0, v16
	s_cbranch_execz .LBB6_1467
; %bb.1460:                             ;   in Loop: Header=BB6_357 Depth=4
	v_bfe_u32 v71, v16, 23, 8
	v_or_b32_e32 v17, 0x800000, v20
	s_delay_alu instid0(VALU_DEP_2) | instskip(SKIP_2) | instid1(VALU_DEP_2)
	v_cmp_gt_u32_e64 s13, 0x72, v71
	v_sub_nc_u32_e32 v16, 0x71, v71
	v_cmp_eq_u32_e32 vcc_lo, 0, v71
	v_cndmask_b32_e64 v16, 0, v16, s13
	s_delay_alu instid0(VALU_DEP_1) | instskip(SKIP_1) | instid1(VALU_DEP_2)
	v_cndmask_b32_e64 v81, v16, 0x70, vcc_lo
	v_cndmask_b32_e32 v16, v17, v20, vcc_lo
	v_dual_mov_b32 v17, v21 :: v_dual_add_nc_u32 v18, 21, v81
	v_add_nc_u32_e32 v20, 20, v81
	s_delay_alu instid0(VALU_DEP_2) | instskip(NEXT) | instid1(VALU_DEP_2)
	v_lshlrev_b64_e64 v[18:19], v18, -1
	v_lshlrev_b64_e64 v[82:83], v20, 1
	s_delay_alu instid0(VALU_DEP_2) | instskip(SKIP_1) | instid1(VALU_DEP_4)
	v_bfi_b32 v18, v18, 0, v16
	v_lshrrev_b64 v[16:17], v81, v[16:17]
	v_bfi_b32 v19, v19, 0, 0
	s_delay_alu instid0(VALU_DEP_1) | instskip(NEXT) | instid1(VALU_DEP_3)
	v_cmp_eq_u64_e64 s13, v[18:19], v[82:83]
	v_mov_b64_e32 v[18:19], v[16:17]
	s_and_saveexec_b32 s74, s13
; %bb.1461:                             ;   in Loop: Header=BB6_357 Depth=4
	v_bfe_u32 v18, v16, 21, 1
	v_mov_b32_e32 v19, v21
	s_delay_alu instid0(VALU_DEP_1) | instskip(NEXT) | instid1(VALU_DEP_1)
	v_add_nc_u64_e32 v[18:19], v[16:17], v[18:19]
	v_add_nc_u64_e32 v[18:19], -1, v[18:19]
; %bb.1462:                             ;   in Loop: Header=BB6_357 Depth=4
	s_or_b32 exec_lo, exec_lo, s74
	v_add_nc_u32_e32 v17, 0xffffff81, v71
	v_lshrrev_b32_e32 v19, 23, v16
	s_mov_b32 s13, exec_lo
	s_delay_alu instid0(VALU_DEP_2) | instskip(NEXT) | instid1(VALU_DEP_1)
	v_cndmask_b32_e64 v17, v17, 0xffffff82, vcc_lo
	v_add3_u32 v71, v81, v17, v19
	v_and_b32_e32 v17, 0x1fffff, v18
                                        ; implicit-def: $vgpr18
	s_delay_alu instid0(VALU_DEP_1) | instskip(NEXT) | instid1(VALU_DEP_1)
	v_dual_add_nc_u32 v19, 14, v71 :: v_dual_add_nc_u32 v20, v17, v16
                                        ; implicit-def: $vgpr16_vgpr17
	v_cmpx_ne_u32_e32 0, v19
	s_xor_b32 s13, exec_lo, s13
; %bb.1463:                             ;   in Loop: Header=BB6_357 Depth=4
	s_delay_alu instid0(VALU_DEP_2) | instskip(SKIP_1) | instid1(VALU_DEP_1)
	v_cmp_lt_u64_e32 vcc_lo, 0xffffff, v[20:21]
	v_add_nc_u32_e32 v16, 15, v71
	v_cndmask_b32_e32 v18, v19, v16, vcc_lo
	v_cndmask_b32_e64 v16, 0, 1, vcc_lo
	s_delay_alu instid0(VALU_DEP_1)
	v_lshrrev_b64 v[16:17], v16, v[20:21]
; %bb.1464:                             ;   in Loop: Header=BB6_357 Depth=4
	s_and_not1_saveexec_b32 s13, s13
; %bb.1465:                             ;   in Loop: Header=BB6_357 Depth=4
	v_mov_b64_e32 v[16:17], v[20:21]
	v_bfe_u32 v18, v20, 23, 1
; %bb.1466:                             ;   in Loop: Header=BB6_357 Depth=4
	s_or_b32 exec_lo, exec_lo, s13
	s_delay_alu instid0(VALU_DEP_2) | instskip(NEXT) | instid1(VALU_DEP_2)
	v_lshrrev_b64 v[16:17], 21, v[16:17]
	v_cmp_gt_i32_e32 vcc_lo, 32, v18
	v_min_i32_e32 v19, 31, v18
	v_cmp_eq_u32_e64 s13, 0, v18
	s_delay_alu instid0(VALU_DEP_2) | instskip(SKIP_1) | instid1(VALU_DEP_2)
	v_dual_cndmask_b32 v17, 0, v17, vcc_lo :: v_dual_lshlrev_b32 v19, 2, v19
	v_cndmask_b32_e32 v16, 3, v16, vcc_lo
	v_and_b32_e32 v19, 0xfc, v19
	s_delay_alu instid0(VALU_DEP_2) | instskip(NEXT) | instid1(VALU_DEP_2)
	v_cmp_eq_u64_e32 vcc_lo, 0, v[16:17]
	v_and_or_b32 v16, v16, 3, v19
	s_and_b32 s13, s13, vcc_lo
	s_delay_alu instid0(VALU_DEP_1) | instid1(SALU_CYCLE_1)
	v_cndmask_b32_e64 v16, v16, 0, s13
	s_delay_alu instid0(VALU_DEP_1)
	v_or_b32_e32 v71, v16, v80
.LBB6_1467:                             ;   in Loop: Header=BB6_357 Depth=4
	s_or_b32 exec_lo, exec_lo, s73
                                        ; implicit-def: $vgpr80
.LBB6_1468:                             ;   in Loop: Header=BB6_357 Depth=4
	s_and_not1_saveexec_b32 s13, s72
; %bb.1469:                             ;   in Loop: Header=BB6_357 Depth=4
	v_or_b32_e32 v71, 0x7b, v80
; %bb.1470:                             ;   in Loop: Header=BB6_357 Depth=4
	s_or_b32 exec_lo, exec_lo, s13
                                        ; implicit-def: $vgpr16
                                        ; implicit-def: $vgpr17
.LBB6_1471:                             ;   in Loop: Header=BB6_357 Depth=4
	s_and_not1_saveexec_b32 s13, s63
	s_cbranch_execz .LBB6_1477
; %bb.1472:                             ;   in Loop: Header=BB6_357 Depth=4
	s_mov_b32 s63, exec_lo
                                        ; implicit-def: $vgpr71
	v_cmpx_ne_u64_e32 0, v[20:21]
	s_xor_b32 s63, exec_lo, s63
; %bb.1473:                             ;   in Loop: Header=BB6_357 Depth=4
	v_or_b32_e32 v71, 0x7f, v17
                                        ; implicit-def: $vgpr16
; %bb.1474:                             ;   in Loop: Header=BB6_357 Depth=4
	s_and_not1_saveexec_b32 s63, s63
; %bb.1475:                             ;   in Loop: Header=BB6_357 Depth=4
	v_cmp_lt_i32_e32 vcc_lo, -1, v16
	v_mov_b32_e32 v16, 0x7c
	s_delay_alu instid0(VALU_DEP_1)
	v_cndmask_b32_e32 v71, 0xfc, v16, vcc_lo
; %bb.1476:                             ;   in Loop: Header=BB6_357 Depth=4
	s_or_b32 exec_lo, exec_lo, s63
.LBB6_1477:                             ;   in Loop: Header=BB6_357 Depth=4
	s_delay_alu instid0(SALU_CYCLE_1) | instskip(SKIP_4) | instid1(VALU_DEP_3)
	s_or_b32 exec_lo, exec_lo, s13
	v_and_b32_e32 v18, 0xff, v35
	v_dual_mov_b32 v20, v35 :: v_dual_mov_b32 v17, 0
	v_mov_b32_e32 v16, 0
	s_mov_b32 s63, exec_lo
	v_cmpx_ne_u16_e32 0, v18
	s_cbranch_execz .LBB6_1487
; %bb.1478:                             ;   in Loop: Header=BB6_357 Depth=4
	v_bfrev_b32_e32 v16, 1
	s_mov_b32 s72, exec_lo
	v_cmpx_ne_u16_e32 0x80, v18
	s_cbranch_execz .LBB6_1486
; %bb.1479:                             ;   in Loop: Header=BB6_357 Depth=4
	v_and_b32_e32 v16, 0x7c, v35
	v_and_b32_e32 v18, 3, v35
	s_delay_alu instid0(VALU_DEP_2) | instskip(SKIP_1) | instid1(SALU_CYCLE_1)
	v_cmp_ne_u32_e32 vcc_lo, 0x7c, v16
                                        ; implicit-def: $vgpr16
	s_and_saveexec_b32 s13, vcc_lo
	s_xor_b32 s13, exec_lo, s13
	s_cbranch_execz .LBB6_1483
; %bb.1480:                             ;   in Loop: Header=BB6_357 Depth=4
	v_bfe_u32 v16, v35, 2, 5
	s_mov_b32 s73, exec_lo
	s_delay_alu instid0(VALU_DEP_1)
	v_cmpx_eq_u32_e32 0, v16
; %bb.1481:                             ;   in Loop: Header=BB6_357 Depth=4
	v_clz_i32_u32_e32 v16, v18
	s_delay_alu instid0(VALU_DEP_1) | instskip(NEXT) | instid1(VALU_DEP_1)
	v_min_u32_e32 v16, 32, v16
	v_subrev_nc_u32_e32 v18, 29, v16
	s_delay_alu instid0(VALU_DEP_1) | instskip(NEXT) | instid1(VALU_DEP_1)
	v_lshlrev_b64_e32 v[18:19], v18, v[20:21]
	v_dual_sub_nc_u32 v16, 30, v16 :: v_dual_bitop2_b32 v18, 3, v18 bitop3:0x40
; %bb.1482:                             ;   in Loop: Header=BB6_357 Depth=4
	s_or_b32 exec_lo, exec_lo, s73
	v_lshlrev_b32_e32 v19, 24, v35
	s_delay_alu instid0(VALU_DEP_1) | instskip(NEXT) | instid1(VALU_DEP_1)
	v_and_b32_e32 v19, 0x80000000, v19
	v_lshl_add_u32 v16, v16, 23, v19
	s_delay_alu instid0(VALU_DEP_1) | instskip(NEXT) | instid1(VALU_DEP_1)
	v_lshl_or_b32 v16, v18, 21, v16
                                        ; implicit-def: $vgpr18
	v_add_nc_u32_e32 v16, 0x38000000, v16
.LBB6_1483:                             ;   in Loop: Header=BB6_357 Depth=4
	s_and_not1_saveexec_b32 s73, s13
; %bb.1484:                             ;   in Loop: Header=BB6_357 Depth=4
	v_bfe_i32 v16, v35, 0, 8
	v_cmp_eq_u32_e32 vcc_lo, 0, v18
	s_delay_alu instid0(VALU_DEP_2) | instskip(SKIP_1) | instid1(VALU_DEP_1)
	v_cmp_lt_i16_e64 s13, -1, v16
	v_mov_b32_e32 v16, 0x7f800000
	v_cndmask_b32_e64 v16, 0xff800000, v16, s13
	s_delay_alu instid0(VALU_DEP_1)
	v_cndmask_b32_e32 v16, 0x7f800001, v16, vcc_lo
; %bb.1485:                             ;   in Loop: Header=BB6_357 Depth=4
	s_or_b32 exec_lo, exec_lo, s73
.LBB6_1486:                             ;   in Loop: Header=BB6_357 Depth=4
	s_delay_alu instid0(SALU_CYCLE_1)
	s_or_b32 exec_lo, exec_lo, s72
.LBB6_1487:                             ;   in Loop: Header=BB6_357 Depth=4
	s_delay_alu instid0(SALU_CYCLE_1) | instskip(SKIP_2) | instid1(VALU_DEP_1)
	s_or_b32 exec_lo, exec_lo, s63
	v_and_b32_e32 v18, 0xff, v27
	s_mov_b32 s63, exec_lo
	v_cmpx_ne_u16_e32 0, v18
	s_cbranch_execz .LBB6_1497
; %bb.1488:                             ;   in Loop: Header=BB6_357 Depth=4
	v_bfrev_b32_e32 v17, 1
	s_mov_b32 s72, exec_lo
	v_cmpx_ne_u16_e32 0x80, v18
	s_cbranch_execz .LBB6_1496
; %bb.1489:                             ;   in Loop: Header=BB6_357 Depth=4
	v_and_b32_e32 v17, 0x7c, v27
	v_and_b32_e32 v18, 3, v27
	s_delay_alu instid0(VALU_DEP_2) | instskip(SKIP_1) | instid1(SALU_CYCLE_1)
	v_cmp_ne_u32_e32 vcc_lo, 0x7c, v17
                                        ; implicit-def: $vgpr17
	s_and_saveexec_b32 s13, vcc_lo
	s_xor_b32 s13, exec_lo, s13
	s_cbranch_execz .LBB6_1493
; %bb.1490:                             ;   in Loop: Header=BB6_357 Depth=4
	v_bfe_u32 v17, v27, 2, 5
	s_mov_b32 s73, exec_lo
	s_delay_alu instid0(VALU_DEP_1)
	v_cmpx_eq_u32_e32 0, v17
; %bb.1491:                             ;   in Loop: Header=BB6_357 Depth=4
	v_clz_i32_u32_e32 v17, v18
	v_dual_mov_b32 v18, v27 :: v_dual_mov_b32 v19, v21
	s_delay_alu instid0(VALU_DEP_2) | instskip(NEXT) | instid1(VALU_DEP_1)
	v_min_u32_e32 v17, 32, v17
	v_subrev_nc_u32_e32 v80, 29, v17
	s_delay_alu instid0(VALU_DEP_1) | instskip(NEXT) | instid1(VALU_DEP_1)
	v_lshlrev_b64_e32 v[18:19], v80, v[18:19]
	v_dual_sub_nc_u32 v17, 30, v17 :: v_dual_bitop2_b32 v18, 3, v18 bitop3:0x40
; %bb.1492:                             ;   in Loop: Header=BB6_357 Depth=4
	s_or_b32 exec_lo, exec_lo, s73
	v_lshlrev_b32_e32 v19, 24, v27
	s_delay_alu instid0(VALU_DEP_1) | instskip(NEXT) | instid1(VALU_DEP_1)
	v_and_b32_e32 v19, 0x80000000, v19
	v_lshl_add_u32 v17, v17, 23, v19
	s_delay_alu instid0(VALU_DEP_1) | instskip(NEXT) | instid1(VALU_DEP_1)
	v_lshl_or_b32 v17, v18, 21, v17
                                        ; implicit-def: $vgpr18
	v_add_nc_u32_e32 v17, 0x38000000, v17
.LBB6_1493:                             ;   in Loop: Header=BB6_357 Depth=4
	s_and_not1_saveexec_b32 s73, s13
; %bb.1494:                             ;   in Loop: Header=BB6_357 Depth=4
	v_bfe_i32 v17, v27, 0, 8
	v_cmp_eq_u32_e32 vcc_lo, 0, v18
	s_delay_alu instid0(VALU_DEP_2) | instskip(SKIP_1) | instid1(VALU_DEP_1)
	v_cmp_lt_i16_e64 s13, -1, v17
	v_mov_b32_e32 v17, 0x7f800000
	v_cndmask_b32_e64 v17, 0xff800000, v17, s13
	s_delay_alu instid0(VALU_DEP_1)
	v_cndmask_b32_e32 v17, 0x7f800001, v17, vcc_lo
; %bb.1495:                             ;   in Loop: Header=BB6_357 Depth=4
	s_or_b32 exec_lo, exec_lo, s73
.LBB6_1496:                             ;   in Loop: Header=BB6_357 Depth=4
	s_delay_alu instid0(SALU_CYCLE_1)
	s_or_b32 exec_lo, exec_lo, s72
.LBB6_1497:                             ;   in Loop: Header=BB6_357 Depth=4
	s_delay_alu instid0(SALU_CYCLE_1) | instskip(NEXT) | instid1(VALU_DEP_1)
	s_or_b32 exec_lo, exec_lo, s63
	v_dual_mul_f32 v18, v16, v17 :: v_dual_mov_b32 v81, v21
	s_delay_alu instid0(VALU_DEP_1) | instskip(SKIP_2) | instid1(VALU_DEP_2)
	v_dual_mov_b32 v17, v21 :: v_dual_lshrrev_b32 v19, 24, v18
	v_and_b32_e32 v80, 0x7f800000, v18
	v_and_b32_e32 v16, 0x7fffff, v18
	v_cmp_ne_u64_e32 vcc_lo, 0x7f800000, v[80:81]
                                        ; implicit-def: $vgpr80
	s_and_saveexec_b32 s13, vcc_lo
	s_delay_alu instid0(SALU_CYCLE_1)
	s_xor_b32 s63, exec_lo, s13
	s_cbranch_execz .LBB6_1511
; %bb.1498:                             ;   in Loop: Header=BB6_357 Depth=4
	v_and_b32_e32 v80, 0x7fffffff, v18
	v_mov_b32_e32 v81, v21
	s_delay_alu instid0(VALU_DEP_1) | instskip(SKIP_2) | instid1(SALU_CYCLE_1)
	v_cmp_gt_u64_e32 vcc_lo, 0x47600001, v[80:81]
	v_and_b32_e32 v81, 0x80, v19
                                        ; implicit-def: $vgpr80
	s_and_saveexec_b32 s13, vcc_lo
	s_xor_b32 s72, exec_lo, s13
	s_cbranch_execz .LBB6_1508
; %bb.1499:                             ;   in Loop: Header=BB6_357 Depth=4
	v_mov_b32_e32 v80, 0
	s_mov_b32 s73, exec_lo
	v_cmpx_ne_u32_e32 0, v18
	s_cbranch_execz .LBB6_1507
; %bb.1500:                             ;   in Loop: Header=BB6_357 Depth=4
	v_bfe_u32 v80, v18, 23, 8
	v_or_b32_e32 v19, 0x800000, v16
	s_delay_alu instid0(VALU_DEP_2) | instskip(SKIP_2) | instid1(VALU_DEP_2)
	v_cmp_gt_u32_e64 s13, 0x72, v80
	v_sub_nc_u32_e32 v18, 0x71, v80
	v_cmp_eq_u32_e32 vcc_lo, 0, v80
	v_dual_cndmask_b32 v18, 0, v18, s13 :: v_dual_cndmask_b32 v16, v19, v16, vcc_lo
	s_delay_alu instid0(VALU_DEP_1) | instskip(NEXT) | instid1(VALU_DEP_1)
	v_cndmask_b32_e64 v82, v18, 0x70, vcc_lo
	v_dual_add_nc_u32 v18, 21, v82 :: v_dual_add_nc_u32 v83, 20, v82
	s_delay_alu instid0(VALU_DEP_1) | instskip(NEXT) | instid1(VALU_DEP_2)
	v_lshlrev_b64_e64 v[18:19], v18, -1
	v_lshlrev_b64_e64 v[84:85], v83, 1
	s_delay_alu instid0(VALU_DEP_2) | instskip(SKIP_1) | instid1(VALU_DEP_4)
	v_bfi_b32 v18, v18, 0, v16
	v_lshrrev_b64 v[16:17], v82, v[16:17]
	v_bfi_b32 v19, v19, 0, 0
	s_delay_alu instid0(VALU_DEP_1) | instskip(NEXT) | instid1(VALU_DEP_3)
	v_cmp_eq_u64_e64 s13, v[18:19], v[84:85]
	v_mov_b64_e32 v[18:19], v[16:17]
	s_and_saveexec_b32 s74, s13
; %bb.1501:                             ;   in Loop: Header=BB6_357 Depth=4
	v_bfe_u32 v18, v16, 21, 1
	v_mov_b32_e32 v19, v21
	s_delay_alu instid0(VALU_DEP_1) | instskip(NEXT) | instid1(VALU_DEP_1)
	v_add_nc_u64_e32 v[18:19], v[16:17], v[18:19]
	v_add_nc_u64_e32 v[18:19], -1, v[18:19]
; %bb.1502:                             ;   in Loop: Header=BB6_357 Depth=4
	s_or_b32 exec_lo, exec_lo, s74
	v_add_nc_u32_e32 v17, 0xffffff81, v80
	v_lshrrev_b32_e32 v19, 23, v16
	s_mov_b32 s13, exec_lo
	s_delay_alu instid0(VALU_DEP_2) | instskip(NEXT) | instid1(VALU_DEP_1)
	v_cndmask_b32_e64 v17, v17, 0xffffff82, vcc_lo
	v_add3_u32 v80, v82, v17, v19
	v_and_b32_e32 v17, 0x1fffff, v18
                                        ; implicit-def: $vgpr18
	s_delay_alu instid0(VALU_DEP_2) | instskip(NEXT) | instid1(VALU_DEP_2)
	v_add_nc_u32_e32 v19, 14, v80
	v_add_nc_u32_e32 v16, v17, v16
	v_mov_b32_e32 v17, v21
	s_delay_alu instid0(VALU_DEP_3)
	v_cmpx_ne_u32_e32 0, v19
	s_xor_b32 s13, exec_lo, s13
; %bb.1503:                             ;   in Loop: Header=BB6_357 Depth=4
	s_delay_alu instid0(VALU_DEP_2) | instskip(SKIP_1) | instid1(VALU_DEP_1)
	v_cmp_lt_u64_e32 vcc_lo, 0xffffff, v[16:17]
	v_add_nc_u32_e32 v18, 15, v80
	v_cndmask_b32_e32 v18, v19, v18, vcc_lo
	v_cndmask_b32_e64 v19, 0, 1, vcc_lo
	s_delay_alu instid0(VALU_DEP_1)
	v_lshrrev_b64 v[16:17], v19, v[16:17]
; %bb.1504:                             ;   in Loop: Header=BB6_357 Depth=4
	s_and_not1_saveexec_b32 s13, s13
; %bb.1505:                             ;   in Loop: Header=BB6_357 Depth=4
	s_delay_alu instid0(VALU_DEP_1)
	v_bfe_u32 v18, v16, 23, 1
; %bb.1506:                             ;   in Loop: Header=BB6_357 Depth=4
	s_or_b32 exec_lo, exec_lo, s13
	s_delay_alu instid0(VALU_DEP_2) | instskip(NEXT) | instid1(VALU_DEP_2)
	v_lshrrev_b64 v[16:17], 21, v[16:17]
	v_cmp_gt_i32_e32 vcc_lo, 32, v18
	v_min_i32_e32 v19, 31, v18
	v_cmp_eq_u32_e64 s13, 0, v18
	s_delay_alu instid0(VALU_DEP_2) | instskip(SKIP_1) | instid1(VALU_DEP_2)
	v_dual_cndmask_b32 v17, 0, v17, vcc_lo :: v_dual_lshlrev_b32 v19, 2, v19
	v_cndmask_b32_e32 v16, 3, v16, vcc_lo
	v_and_b32_e32 v19, 0xfc, v19
	s_delay_alu instid0(VALU_DEP_2) | instskip(NEXT) | instid1(VALU_DEP_2)
	v_cmp_eq_u64_e32 vcc_lo, 0, v[16:17]
	v_and_or_b32 v16, v16, 3, v19
	s_and_b32 s13, s13, vcc_lo
	s_delay_alu instid0(VALU_DEP_1) | instid1(SALU_CYCLE_1)
	v_cndmask_b32_e64 v16, v16, 0, s13
	s_delay_alu instid0(VALU_DEP_1)
	v_or_b32_e32 v80, v16, v81
.LBB6_1507:                             ;   in Loop: Header=BB6_357 Depth=4
	s_or_b32 exec_lo, exec_lo, s73
                                        ; implicit-def: $vgpr81
.LBB6_1508:                             ;   in Loop: Header=BB6_357 Depth=4
	s_and_not1_saveexec_b32 s13, s72
; %bb.1509:                             ;   in Loop: Header=BB6_357 Depth=4
	v_or_b32_e32 v80, 0x7b, v81
; %bb.1510:                             ;   in Loop: Header=BB6_357 Depth=4
	s_or_b32 exec_lo, exec_lo, s13
                                        ; implicit-def: $vgpr18
                                        ; implicit-def: $vgpr16_vgpr17
                                        ; implicit-def: $vgpr19
.LBB6_1511:                             ;   in Loop: Header=BB6_357 Depth=4
	s_and_not1_saveexec_b32 s13, s63
	s_cbranch_execz .LBB6_1517
; %bb.1512:                             ;   in Loop: Header=BB6_357 Depth=4
	s_mov_b32 s63, exec_lo
                                        ; implicit-def: $vgpr80
	v_cmpx_ne_u64_e32 0, v[16:17]
	s_xor_b32 s63, exec_lo, s63
; %bb.1513:                             ;   in Loop: Header=BB6_357 Depth=4
	v_or_b32_e32 v80, 0x7f, v19
                                        ; implicit-def: $vgpr18
; %bb.1514:                             ;   in Loop: Header=BB6_357 Depth=4
	s_and_not1_saveexec_b32 s63, s63
; %bb.1515:                             ;   in Loop: Header=BB6_357 Depth=4
	v_cmp_lt_i32_e32 vcc_lo, -1, v18
	v_mov_b32_e32 v16, 0x7c
	s_delay_alu instid0(VALU_DEP_1)
	v_cndmask_b32_e32 v80, 0xfc, v16, vcc_lo
; %bb.1516:                             ;   in Loop: Header=BB6_357 Depth=4
	s_or_b32 exec_lo, exec_lo, s63
.LBB6_1517:                             ;   in Loop: Header=BB6_357 Depth=4
	s_delay_alu instid0(SALU_CYCLE_1) | instskip(SKIP_3) | instid1(VALU_DEP_2)
	s_or_b32 exec_lo, exec_lo, s13
	v_lshrrev_b16 v16, 8, v20
	v_dual_mov_b32 v18, 0 :: v_dual_mov_b32 v19, 0
	s_mov_b32 s63, exec_lo
	v_cmpx_ne_u16_e32 0, v16
	s_cbranch_execz .LBB6_1527
; %bb.1518:                             ;   in Loop: Header=BB6_357 Depth=4
	v_bfrev_b32_e32 v19, 1
	s_mov_b32 s72, exec_lo
	v_cmpx_ne_u16_e32 0x80, v16
	s_cbranch_execz .LBB6_1526
; %bb.1519:                             ;   in Loop: Header=BB6_357 Depth=4
	v_and_b32_e32 v81, 0xffff, v16
	s_delay_alu instid0(VALU_DEP_1) | instskip(SKIP_1) | instid1(VALU_DEP_2)
	v_and_b32_e32 v19, 0x7c, v81
	v_and_b32_e32 v17, 3, v81
	v_cmp_ne_u32_e32 vcc_lo, 0x7c, v19
                                        ; implicit-def: $vgpr19
	s_and_saveexec_b32 s13, vcc_lo
	s_delay_alu instid0(SALU_CYCLE_1)
	s_xor_b32 s13, exec_lo, s13
	s_cbranch_execz .LBB6_1523
; %bb.1520:                             ;   in Loop: Header=BB6_357 Depth=4
	v_bfe_u32 v19, v81, 2, 5
	s_mov_b32 s73, exec_lo
	s_delay_alu instid0(VALU_DEP_1)
	v_cmpx_eq_u32_e32 0, v19
	s_cbranch_execz .LBB6_1522
; %bb.1521:                             ;   in Loop: Header=BB6_357 Depth=4
	v_clz_i32_u32_e32 v17, v17
	s_delay_alu instid0(VALU_DEP_1) | instskip(SKIP_1) | instid1(VALU_DEP_2)
	v_min_u32_e32 v19, 32, v17
	v_mov_b32_e32 v17, v21
	v_subrev_nc_u32_e32 v81, 29, v19
	v_sub_nc_u32_e32 v19, 30, v19
	s_delay_alu instid0(VALU_DEP_2) | instskip(NEXT) | instid1(VALU_DEP_1)
	v_lshlrev_b64_e32 v[16:17], v81, v[16:17]
	v_and_b32_e32 v17, 3, v16
.LBB6_1522:                             ;   in Loop: Header=BB6_357 Depth=4
	s_or_b32 exec_lo, exec_lo, s73
	v_lshlrev_b32_e32 v16, 16, v20
	s_delay_alu instid0(VALU_DEP_1) | instskip(NEXT) | instid1(VALU_DEP_1)
	v_and_b32_e32 v16, 0x80000000, v16
	v_lshl_add_u32 v16, v19, 23, v16
	s_delay_alu instid0(VALU_DEP_1) | instskip(NEXT) | instid1(VALU_DEP_1)
	v_lshl_or_b32 v16, v17, 21, v16
                                        ; implicit-def: $vgpr17
	v_add_nc_u32_e32 v19, 0x38000000, v16
.LBB6_1523:                             ;   in Loop: Header=BB6_357 Depth=4
	s_and_not1_saveexec_b32 s73, s13
; %bb.1524:                             ;   in Loop: Header=BB6_357 Depth=4
	v_cmp_lt_i16_e64 s13, -1, v20
	v_mov_b32_e32 v16, 0x7f800000
	v_cmp_eq_u32_e32 vcc_lo, 0, v17
	s_delay_alu instid0(VALU_DEP_2) | instskip(NEXT) | instid1(VALU_DEP_1)
	v_cndmask_b32_e64 v16, 0xff800000, v16, s13
	v_cndmask_b32_e32 v19, 0x7f800001, v16, vcc_lo
; %bb.1525:                             ;   in Loop: Header=BB6_357 Depth=4
	s_or_b32 exec_lo, exec_lo, s73
.LBB6_1526:                             ;   in Loop: Header=BB6_357 Depth=4
	s_delay_alu instid0(SALU_CYCLE_1)
	s_or_b32 exec_lo, exec_lo, s72
.LBB6_1527:                             ;   in Loop: Header=BB6_357 Depth=4
	s_delay_alu instid0(SALU_CYCLE_1) | instskip(SKIP_2) | instid1(VALU_DEP_1)
	s_or_b32 exec_lo, exec_lo, s63
	v_lshrrev_b16 v16, 8, v27
	s_mov_b32 s63, exec_lo
	v_cmpx_ne_u16_e32 0, v16
	s_cbranch_execz .LBB6_1537
; %bb.1528:                             ;   in Loop: Header=BB6_357 Depth=4
	v_bfrev_b32_e32 v18, 1
	s_mov_b32 s72, exec_lo
	v_cmpx_ne_u16_e32 0x80, v16
	s_cbranch_execz .LBB6_1536
; %bb.1529:                             ;   in Loop: Header=BB6_357 Depth=4
	v_and_b32_e32 v20, 0xffff, v16
	s_delay_alu instid0(VALU_DEP_1) | instskip(SKIP_1) | instid1(VALU_DEP_2)
	v_and_b32_e32 v18, 0x7c, v20
	v_and_b32_e32 v17, 3, v20
	v_cmp_ne_u32_e32 vcc_lo, 0x7c, v18
                                        ; implicit-def: $vgpr18
	s_and_saveexec_b32 s13, vcc_lo
	s_delay_alu instid0(SALU_CYCLE_1)
	s_xor_b32 s13, exec_lo, s13
	s_cbranch_execz .LBB6_1533
; %bb.1530:                             ;   in Loop: Header=BB6_357 Depth=4
	v_bfe_u32 v18, v20, 2, 5
	s_mov_b32 s73, exec_lo
	s_delay_alu instid0(VALU_DEP_1)
	v_cmpx_eq_u32_e32 0, v18
	s_cbranch_execz .LBB6_1532
; %bb.1531:                             ;   in Loop: Header=BB6_357 Depth=4
	v_clz_i32_u32_e32 v17, v17
	s_delay_alu instid0(VALU_DEP_1) | instskip(SKIP_1) | instid1(VALU_DEP_2)
	v_min_u32_e32 v18, 32, v17
	v_mov_b32_e32 v17, v21
	v_subrev_nc_u32_e32 v20, 29, v18
	v_sub_nc_u32_e32 v18, 30, v18
	s_delay_alu instid0(VALU_DEP_2) | instskip(NEXT) | instid1(VALU_DEP_1)
	v_lshlrev_b64_e32 v[16:17], v20, v[16:17]
	v_and_b32_e32 v17, 3, v16
.LBB6_1532:                             ;   in Loop: Header=BB6_357 Depth=4
	s_or_b32 exec_lo, exec_lo, s73
	v_lshlrev_b32_e32 v16, 16, v27
	s_delay_alu instid0(VALU_DEP_1) | instskip(NEXT) | instid1(VALU_DEP_1)
	v_and_b32_e32 v16, 0x80000000, v16
	v_lshl_add_u32 v16, v18, 23, v16
	s_delay_alu instid0(VALU_DEP_1) | instskip(NEXT) | instid1(VALU_DEP_1)
	v_lshl_or_b32 v16, v17, 21, v16
                                        ; implicit-def: $vgpr17
	v_add_nc_u32_e32 v18, 0x38000000, v16
.LBB6_1533:                             ;   in Loop: Header=BB6_357 Depth=4
	s_and_not1_saveexec_b32 s73, s13
; %bb.1534:                             ;   in Loop: Header=BB6_357 Depth=4
	v_cmp_lt_i16_e64 s13, -1, v27
	v_mov_b32_e32 v16, 0x7f800000
	v_cmp_eq_u32_e32 vcc_lo, 0, v17
	s_delay_alu instid0(VALU_DEP_2) | instskip(NEXT) | instid1(VALU_DEP_1)
	v_cndmask_b32_e64 v16, 0xff800000, v16, s13
	v_cndmask_b32_e32 v18, 0x7f800001, v16, vcc_lo
; %bb.1535:                             ;   in Loop: Header=BB6_357 Depth=4
	s_or_b32 exec_lo, exec_lo, s73
.LBB6_1536:                             ;   in Loop: Header=BB6_357 Depth=4
	s_delay_alu instid0(SALU_CYCLE_1)
	s_or_b32 exec_lo, exec_lo, s72
.LBB6_1537:                             ;   in Loop: Header=BB6_357 Depth=4
	s_delay_alu instid0(SALU_CYCLE_1) | instskip(NEXT) | instid1(VALU_DEP_1)
	s_or_b32 exec_lo, exec_lo, s63
	v_dual_mul_f32 v16, v19, v18 :: v_dual_mov_b32 v19, v21
                                        ; implicit-def: $vgpr81
	s_mov_b32 s13, exec_lo
	s_delay_alu instid0(VALU_DEP_1) | instskip(SKIP_2) | instid1(VALU_DEP_3)
	v_and_b32_e32 v18, 0x7f800000, v16
	v_and_b32_e32 v20, 0x7fffff, v16
	v_lshrrev_b32_e32 v17, 24, v16
	v_cmpx_ne_u64_e32 0x7f800000, v[18:19]
	s_xor_b32 s63, exec_lo, s13
	s_cbranch_execz .LBB6_1551
; %bb.1538:                             ;   in Loop: Header=BB6_357 Depth=4
	v_and_b32_e32 v18, 0x7fffffff, v16
	v_mov_b32_e32 v19, v21
	v_and_b32_e32 v82, 0x80, v17
                                        ; implicit-def: $vgpr81
	s_mov_b32 s13, exec_lo
	s_delay_alu instid0(VALU_DEP_2)
	v_cmpx_gt_u64_e32 0x47600001, v[18:19]
	s_xor_b32 s72, exec_lo, s13
	s_cbranch_execz .LBB6_1548
; %bb.1539:                             ;   in Loop: Header=BB6_357 Depth=4
	v_mov_b32_e32 v81, 0
	s_mov_b32 s73, exec_lo
	v_cmpx_ne_u32_e32 0, v16
	s_cbranch_execz .LBB6_1547
; %bb.1540:                             ;   in Loop: Header=BB6_357 Depth=4
	v_bfe_u32 v81, v16, 23, 8
	v_or_b32_e32 v17, 0x800000, v20
	s_delay_alu instid0(VALU_DEP_2) | instskip(SKIP_2) | instid1(VALU_DEP_2)
	v_cmp_gt_u32_e64 s13, 0x72, v81
	v_sub_nc_u32_e32 v16, 0x71, v81
	v_cmp_eq_u32_e32 vcc_lo, 0, v81
	v_cndmask_b32_e64 v16, 0, v16, s13
	s_delay_alu instid0(VALU_DEP_1) | instskip(SKIP_1) | instid1(VALU_DEP_2)
	v_cndmask_b32_e64 v83, v16, 0x70, vcc_lo
	v_cndmask_b32_e32 v16, v17, v20, vcc_lo
	v_dual_mov_b32 v17, v21 :: v_dual_add_nc_u32 v18, 21, v83
	v_add_nc_u32_e32 v20, 20, v83
	s_delay_alu instid0(VALU_DEP_2) | instskip(NEXT) | instid1(VALU_DEP_2)
	v_lshlrev_b64_e64 v[18:19], v18, -1
	v_lshlrev_b64_e64 v[84:85], v20, 1
	s_delay_alu instid0(VALU_DEP_2) | instskip(SKIP_1) | instid1(VALU_DEP_4)
	v_bfi_b32 v18, v18, 0, v16
	v_lshrrev_b64 v[16:17], v83, v[16:17]
	v_bfi_b32 v19, v19, 0, 0
	s_delay_alu instid0(VALU_DEP_1) | instskip(NEXT) | instid1(VALU_DEP_3)
	v_cmp_eq_u64_e64 s13, v[18:19], v[84:85]
	v_mov_b64_e32 v[18:19], v[16:17]
	s_and_saveexec_b32 s74, s13
; %bb.1541:                             ;   in Loop: Header=BB6_357 Depth=4
	v_bfe_u32 v18, v16, 21, 1
	v_mov_b32_e32 v19, v21
	s_delay_alu instid0(VALU_DEP_1) | instskip(NEXT) | instid1(VALU_DEP_1)
	v_add_nc_u64_e32 v[18:19], v[16:17], v[18:19]
	v_add_nc_u64_e32 v[18:19], -1, v[18:19]
; %bb.1542:                             ;   in Loop: Header=BB6_357 Depth=4
	s_or_b32 exec_lo, exec_lo, s74
	v_add_nc_u32_e32 v17, 0xffffff81, v81
	v_lshrrev_b32_e32 v19, 23, v16
	s_mov_b32 s13, exec_lo
	s_delay_alu instid0(VALU_DEP_2) | instskip(NEXT) | instid1(VALU_DEP_1)
	v_cndmask_b32_e64 v17, v17, 0xffffff82, vcc_lo
	v_add3_u32 v81, v83, v17, v19
	v_and_b32_e32 v17, 0x1fffff, v18
                                        ; implicit-def: $vgpr18
	s_delay_alu instid0(VALU_DEP_1) | instskip(NEXT) | instid1(VALU_DEP_1)
	v_dual_add_nc_u32 v19, 14, v81 :: v_dual_add_nc_u32 v20, v17, v16
                                        ; implicit-def: $vgpr16_vgpr17
	v_cmpx_ne_u32_e32 0, v19
	s_xor_b32 s13, exec_lo, s13
; %bb.1543:                             ;   in Loop: Header=BB6_357 Depth=4
	s_delay_alu instid0(VALU_DEP_2) | instskip(SKIP_1) | instid1(VALU_DEP_1)
	v_cmp_lt_u64_e32 vcc_lo, 0xffffff, v[20:21]
	v_add_nc_u32_e32 v16, 15, v81
	v_cndmask_b32_e32 v18, v19, v16, vcc_lo
	v_cndmask_b32_e64 v16, 0, 1, vcc_lo
	s_delay_alu instid0(VALU_DEP_1)
	v_lshrrev_b64 v[16:17], v16, v[20:21]
; %bb.1544:                             ;   in Loop: Header=BB6_357 Depth=4
	s_and_not1_saveexec_b32 s13, s13
; %bb.1545:                             ;   in Loop: Header=BB6_357 Depth=4
	v_mov_b64_e32 v[16:17], v[20:21]
	v_bfe_u32 v18, v20, 23, 1
; %bb.1546:                             ;   in Loop: Header=BB6_357 Depth=4
	s_or_b32 exec_lo, exec_lo, s13
	s_delay_alu instid0(VALU_DEP_2) | instskip(NEXT) | instid1(VALU_DEP_2)
	v_lshrrev_b64 v[16:17], 21, v[16:17]
	v_cmp_gt_i32_e32 vcc_lo, 32, v18
	v_min_i32_e32 v19, 31, v18
	v_cmp_eq_u32_e64 s13, 0, v18
	s_delay_alu instid0(VALU_DEP_2) | instskip(SKIP_1) | instid1(VALU_DEP_2)
	v_dual_cndmask_b32 v17, 0, v17, vcc_lo :: v_dual_lshlrev_b32 v19, 2, v19
	v_cndmask_b32_e32 v16, 3, v16, vcc_lo
	v_and_b32_e32 v19, 0xfc, v19
	s_delay_alu instid0(VALU_DEP_2) | instskip(NEXT) | instid1(VALU_DEP_2)
	v_cmp_eq_u64_e32 vcc_lo, 0, v[16:17]
	v_and_or_b32 v16, v16, 3, v19
	s_and_b32 s13, s13, vcc_lo
	s_delay_alu instid0(VALU_DEP_1) | instid1(SALU_CYCLE_1)
	v_cndmask_b32_e64 v16, v16, 0, s13
	s_delay_alu instid0(VALU_DEP_1)
	v_or_b32_e32 v81, v16, v82
.LBB6_1547:                             ;   in Loop: Header=BB6_357 Depth=4
	s_or_b32 exec_lo, exec_lo, s73
                                        ; implicit-def: $vgpr82
.LBB6_1548:                             ;   in Loop: Header=BB6_357 Depth=4
	s_and_not1_saveexec_b32 s13, s72
; %bb.1549:                             ;   in Loop: Header=BB6_357 Depth=4
	v_or_b32_e32 v81, 0x7b, v82
; %bb.1550:                             ;   in Loop: Header=BB6_357 Depth=4
	s_or_b32 exec_lo, exec_lo, s13
                                        ; implicit-def: $vgpr16
                                        ; implicit-def: $vgpr17
.LBB6_1551:                             ;   in Loop: Header=BB6_357 Depth=4
	s_and_not1_saveexec_b32 s13, s63
	s_cbranch_execz .LBB6_1557
; %bb.1552:                             ;   in Loop: Header=BB6_357 Depth=4
	s_mov_b32 s63, exec_lo
                                        ; implicit-def: $vgpr81
	v_cmpx_ne_u64_e32 0, v[20:21]
	s_xor_b32 s63, exec_lo, s63
; %bb.1553:                             ;   in Loop: Header=BB6_357 Depth=4
	v_or_b32_e32 v81, 0x7f, v17
                                        ; implicit-def: $vgpr16
; %bb.1554:                             ;   in Loop: Header=BB6_357 Depth=4
	s_and_not1_saveexec_b32 s63, s63
; %bb.1555:                             ;   in Loop: Header=BB6_357 Depth=4
	v_cmp_lt_i32_e32 vcc_lo, -1, v16
	v_mov_b32_e32 v16, 0x7c
	s_delay_alu instid0(VALU_DEP_1)
	v_cndmask_b32_e32 v81, 0xfc, v16, vcc_lo
; %bb.1556:                             ;   in Loop: Header=BB6_357 Depth=4
	s_or_b32 exec_lo, exec_lo, s63
.LBB6_1557:                             ;   in Loop: Header=BB6_357 Depth=4
	s_delay_alu instid0(SALU_CYCLE_1) | instskip(SKIP_3) | instid1(VALU_DEP_2)
	s_or_b32 exec_lo, exec_lo, s13
	v_dual_mov_b32 v17, 0 :: v_dual_lshrrev_b32 v16, 16, v35
	v_mov_b32_e32 v18, 0
	s_mov_b32 s63, exec_lo
	v_and_b32_e32 v19, 0xff, v16
	s_delay_alu instid0(VALU_DEP_1)
	v_cmpx_ne_u16_e32 0, v19
	s_cbranch_execz .LBB6_1567
; %bb.1558:                             ;   in Loop: Header=BB6_357 Depth=4
	v_bfrev_b32_e32 v18, 1
	s_mov_b32 s72, exec_lo
	v_cmpx_ne_u16_e32 0x80, v19
	s_cbranch_execz .LBB6_1566
; %bb.1559:                             ;   in Loop: Header=BB6_357 Depth=4
	v_and_b32_e32 v18, 0x7c0000, v35
	v_bfe_u32 v19, v35, 16, 2
	s_delay_alu instid0(VALU_DEP_2) | instskip(SKIP_1) | instid1(SALU_CYCLE_1)
	v_cmp_ne_u32_e32 vcc_lo, 0x7c0000, v18
                                        ; implicit-def: $vgpr18
	s_and_saveexec_b32 s13, vcc_lo
	s_xor_b32 s13, exec_lo, s13
	s_cbranch_execz .LBB6_1563
; %bb.1560:                             ;   in Loop: Header=BB6_357 Depth=4
	v_bfe_u32 v18, v35, 18, 5
	s_mov_b32 s73, exec_lo
	s_delay_alu instid0(VALU_DEP_1)
	v_cmpx_eq_u32_e32 0, v18
; %bb.1561:                             ;   in Loop: Header=BB6_357 Depth=4
	v_clz_i32_u32_e32 v18, v19
	s_delay_alu instid0(VALU_DEP_1) | instskip(NEXT) | instid1(VALU_DEP_1)
	v_min_u32_e32 v18, 32, v18
	v_subrev_nc_u32_e32 v19, 29, v18
	v_sub_nc_u32_e32 v18, 30, v18
	s_delay_alu instid0(VALU_DEP_2) | instskip(NEXT) | instid1(VALU_DEP_1)
	v_lshlrev_b64_e32 v[82:83], v19, v[16:17]
	v_and_b32_e32 v19, 3, v82
; %bb.1562:                             ;   in Loop: Header=BB6_357 Depth=4
	s_or_b32 exec_lo, exec_lo, s73
	v_lshlrev_b32_e32 v16, 24, v16
	s_delay_alu instid0(VALU_DEP_1) | instskip(NEXT) | instid1(VALU_DEP_1)
	v_and_b32_e32 v16, 0x80000000, v16
	v_lshl_add_u32 v16, v18, 23, v16
	s_delay_alu instid0(VALU_DEP_1) | instskip(NEXT) | instid1(VALU_DEP_1)
	v_lshl_or_b32 v16, v19, 21, v16
                                        ; implicit-def: $vgpr19
	v_add_nc_u32_e32 v18, 0x38000000, v16
                                        ; implicit-def: $vgpr16
.LBB6_1563:                             ;   in Loop: Header=BB6_357 Depth=4
	s_and_not1_saveexec_b32 s73, s13
; %bb.1564:                             ;   in Loop: Header=BB6_357 Depth=4
	v_bfe_i32 v16, v16, 0, 8
	v_cmp_eq_u32_e32 vcc_lo, 0, v19
	s_delay_alu instid0(VALU_DEP_2) | instskip(SKIP_1) | instid1(VALU_DEP_1)
	v_cmp_lt_i16_e64 s13, -1, v16
	v_mov_b32_e32 v16, 0x7f800000
	v_cndmask_b32_e64 v16, 0xff800000, v16, s13
	s_delay_alu instid0(VALU_DEP_1)
	v_cndmask_b32_e32 v18, 0x7f800001, v16, vcc_lo
; %bb.1565:                             ;   in Loop: Header=BB6_357 Depth=4
	s_or_b32 exec_lo, exec_lo, s73
.LBB6_1566:                             ;   in Loop: Header=BB6_357 Depth=4
	s_delay_alu instid0(SALU_CYCLE_1)
	s_or_b32 exec_lo, exec_lo, s72
.LBB6_1567:                             ;   in Loop: Header=BB6_357 Depth=4
	s_delay_alu instid0(SALU_CYCLE_1) | instskip(SKIP_2) | instid1(VALU_DEP_1)
	s_or_b32 exec_lo, exec_lo, s63
	v_lshrrev_b32_e32 v16, 16, v27
	s_mov_b32 s63, exec_lo
	v_and_b32_e32 v19, 0xff, v16
	s_delay_alu instid0(VALU_DEP_1)
	v_cmpx_ne_u16_e32 0, v19
	s_cbranch_execz .LBB6_1577
; %bb.1568:                             ;   in Loop: Header=BB6_357 Depth=4
	v_bfrev_b32_e32 v17, 1
	s_mov_b32 s72, exec_lo
	v_cmpx_ne_u16_e32 0x80, v19
	s_cbranch_execz .LBB6_1576
; %bb.1569:                             ;   in Loop: Header=BB6_357 Depth=4
	v_and_b32_e32 v17, 0x7c0000, v27
	v_bfe_u32 v19, v27, 16, 2
	s_delay_alu instid0(VALU_DEP_2) | instskip(SKIP_1) | instid1(SALU_CYCLE_1)
	v_cmp_ne_u32_e32 vcc_lo, 0x7c0000, v17
                                        ; implicit-def: $vgpr17
	s_and_saveexec_b32 s13, vcc_lo
	s_xor_b32 s13, exec_lo, s13
	s_cbranch_execz .LBB6_1573
; %bb.1570:                             ;   in Loop: Header=BB6_357 Depth=4
	v_bfe_u32 v17, v27, 18, 5
	s_mov_b32 s73, exec_lo
	s_delay_alu instid0(VALU_DEP_1)
	v_cmpx_eq_u32_e32 0, v17
; %bb.1571:                             ;   in Loop: Header=BB6_357 Depth=4
	v_clz_i32_u32_e32 v17, v19
	s_delay_alu instid0(VALU_DEP_1) | instskip(NEXT) | instid1(VALU_DEP_1)
	v_min_u32_e32 v17, 32, v17
	v_subrev_nc_u32_e32 v19, 29, v17
	s_delay_alu instid0(VALU_DEP_1) | instskip(NEXT) | instid1(VALU_DEP_1)
	v_lshlrev_b64_e32 v[82:83], v19, v[16:17]
	v_dual_sub_nc_u32 v17, 30, v17 :: v_dual_bitop2_b32 v19, 3, v82 bitop3:0x40
; %bb.1572:                             ;   in Loop: Header=BB6_357 Depth=4
	s_or_b32 exec_lo, exec_lo, s73
	v_lshlrev_b32_e32 v16, 24, v16
	s_delay_alu instid0(VALU_DEP_1) | instskip(NEXT) | instid1(VALU_DEP_1)
	v_and_b32_e32 v16, 0x80000000, v16
	v_lshl_add_u32 v16, v17, 23, v16
	s_delay_alu instid0(VALU_DEP_1) | instskip(NEXT) | instid1(VALU_DEP_1)
	v_lshl_or_b32 v16, v19, 21, v16
                                        ; implicit-def: $vgpr19
	v_add_nc_u32_e32 v17, 0x38000000, v16
                                        ; implicit-def: $vgpr16
.LBB6_1573:                             ;   in Loop: Header=BB6_357 Depth=4
	s_and_not1_saveexec_b32 s73, s13
; %bb.1574:                             ;   in Loop: Header=BB6_357 Depth=4
	v_bfe_i32 v16, v16, 0, 8
	v_cmp_eq_u32_e32 vcc_lo, 0, v19
	s_delay_alu instid0(VALU_DEP_2) | instskip(SKIP_1) | instid1(VALU_DEP_1)
	v_cmp_lt_i16_e64 s13, -1, v16
	v_mov_b32_e32 v16, 0x7f800000
	v_cndmask_b32_e64 v16, 0xff800000, v16, s13
	s_delay_alu instid0(VALU_DEP_1)
	v_cndmask_b32_e32 v17, 0x7f800001, v16, vcc_lo
; %bb.1575:                             ;   in Loop: Header=BB6_357 Depth=4
	s_or_b32 exec_lo, exec_lo, s73
.LBB6_1576:                             ;   in Loop: Header=BB6_357 Depth=4
	s_delay_alu instid0(SALU_CYCLE_1)
	s_or_b32 exec_lo, exec_lo, s72
.LBB6_1577:                             ;   in Loop: Header=BB6_357 Depth=4
	s_delay_alu instid0(SALU_CYCLE_1) | instskip(NEXT) | instid1(VALU_DEP_1)
	s_or_b32 exec_lo, exec_lo, s63
	v_dual_mul_f32 v16, v18, v17 :: v_dual_mov_b32 v19, v21
                                        ; implicit-def: $vgpr82
	s_mov_b32 s13, exec_lo
	s_delay_alu instid0(VALU_DEP_1) | instskip(SKIP_2) | instid1(VALU_DEP_3)
	v_and_b32_e32 v18, 0x7f800000, v16
	v_and_b32_e32 v20, 0x7fffff, v16
	v_lshrrev_b32_e32 v17, 24, v16
	v_cmpx_ne_u64_e32 0x7f800000, v[18:19]
	s_xor_b32 s63, exec_lo, s13
	s_cbranch_execz .LBB6_1591
; %bb.1578:                             ;   in Loop: Header=BB6_357 Depth=4
	v_and_b32_e32 v18, 0x7fffffff, v16
	v_mov_b32_e32 v19, v21
	v_and_b32_e32 v83, 0x80, v17
                                        ; implicit-def: $vgpr82
	s_mov_b32 s13, exec_lo
	s_delay_alu instid0(VALU_DEP_2)
	v_cmpx_gt_u64_e32 0x47600001, v[18:19]
	s_xor_b32 s72, exec_lo, s13
	s_cbranch_execz .LBB6_1588
; %bb.1579:                             ;   in Loop: Header=BB6_357 Depth=4
	v_mov_b32_e32 v82, 0
	s_mov_b32 s73, exec_lo
	v_cmpx_ne_u32_e32 0, v16
	s_cbranch_execz .LBB6_1587
; %bb.1580:                             ;   in Loop: Header=BB6_357 Depth=4
	v_bfe_u32 v82, v16, 23, 8
	v_or_b32_e32 v17, 0x800000, v20
	s_delay_alu instid0(VALU_DEP_2) | instskip(SKIP_2) | instid1(VALU_DEP_2)
	v_cmp_gt_u32_e64 s13, 0x72, v82
	v_sub_nc_u32_e32 v16, 0x71, v82
	v_cmp_eq_u32_e32 vcc_lo, 0, v82
	v_cndmask_b32_e64 v16, 0, v16, s13
	s_delay_alu instid0(VALU_DEP_1) | instskip(SKIP_1) | instid1(VALU_DEP_2)
	v_cndmask_b32_e64 v84, v16, 0x70, vcc_lo
	v_cndmask_b32_e32 v16, v17, v20, vcc_lo
	v_dual_mov_b32 v17, v21 :: v_dual_add_nc_u32 v18, 21, v84
	v_add_nc_u32_e32 v20, 20, v84
	s_delay_alu instid0(VALU_DEP_2) | instskip(NEXT) | instid1(VALU_DEP_2)
	v_lshlrev_b64_e64 v[18:19], v18, -1
	v_lshlrev_b64_e64 v[86:87], v20, 1
	s_delay_alu instid0(VALU_DEP_2) | instskip(SKIP_1) | instid1(VALU_DEP_4)
	v_bfi_b32 v18, v18, 0, v16
	v_lshrrev_b64 v[16:17], v84, v[16:17]
	v_bfi_b32 v19, v19, 0, 0
	s_delay_alu instid0(VALU_DEP_1) | instskip(NEXT) | instid1(VALU_DEP_3)
	v_cmp_eq_u64_e64 s13, v[18:19], v[86:87]
	v_mov_b64_e32 v[18:19], v[16:17]
	s_and_saveexec_b32 s74, s13
; %bb.1581:                             ;   in Loop: Header=BB6_357 Depth=4
	v_bfe_u32 v18, v16, 21, 1
	v_mov_b32_e32 v19, v21
	s_delay_alu instid0(VALU_DEP_1) | instskip(NEXT) | instid1(VALU_DEP_1)
	v_add_nc_u64_e32 v[18:19], v[16:17], v[18:19]
	v_add_nc_u64_e32 v[18:19], -1, v[18:19]
; %bb.1582:                             ;   in Loop: Header=BB6_357 Depth=4
	s_or_b32 exec_lo, exec_lo, s74
	v_add_nc_u32_e32 v17, 0xffffff81, v82
	v_lshrrev_b32_e32 v19, 23, v16
	s_mov_b32 s13, exec_lo
	s_delay_alu instid0(VALU_DEP_2) | instskip(NEXT) | instid1(VALU_DEP_1)
	v_cndmask_b32_e64 v17, v17, 0xffffff82, vcc_lo
	v_add3_u32 v82, v84, v17, v19
	v_and_b32_e32 v17, 0x1fffff, v18
                                        ; implicit-def: $vgpr18
	s_delay_alu instid0(VALU_DEP_1) | instskip(NEXT) | instid1(VALU_DEP_1)
	v_dual_add_nc_u32 v19, 14, v82 :: v_dual_add_nc_u32 v20, v17, v16
                                        ; implicit-def: $vgpr16_vgpr17
	v_cmpx_ne_u32_e32 0, v19
	s_xor_b32 s13, exec_lo, s13
; %bb.1583:                             ;   in Loop: Header=BB6_357 Depth=4
	s_delay_alu instid0(VALU_DEP_2) | instskip(SKIP_1) | instid1(VALU_DEP_1)
	v_cmp_lt_u64_e32 vcc_lo, 0xffffff, v[20:21]
	v_add_nc_u32_e32 v16, 15, v82
	v_cndmask_b32_e32 v18, v19, v16, vcc_lo
	v_cndmask_b32_e64 v16, 0, 1, vcc_lo
	s_delay_alu instid0(VALU_DEP_1)
	v_lshrrev_b64 v[16:17], v16, v[20:21]
; %bb.1584:                             ;   in Loop: Header=BB6_357 Depth=4
	s_and_not1_saveexec_b32 s13, s13
; %bb.1585:                             ;   in Loop: Header=BB6_357 Depth=4
	v_mov_b64_e32 v[16:17], v[20:21]
	v_bfe_u32 v18, v20, 23, 1
; %bb.1586:                             ;   in Loop: Header=BB6_357 Depth=4
	s_or_b32 exec_lo, exec_lo, s13
	s_delay_alu instid0(VALU_DEP_2) | instskip(NEXT) | instid1(VALU_DEP_2)
	v_lshrrev_b64 v[16:17], 21, v[16:17]
	v_cmp_gt_i32_e32 vcc_lo, 32, v18
	v_min_i32_e32 v19, 31, v18
	v_cmp_eq_u32_e64 s13, 0, v18
	s_delay_alu instid0(VALU_DEP_2) | instskip(SKIP_1) | instid1(VALU_DEP_2)
	v_dual_cndmask_b32 v17, 0, v17, vcc_lo :: v_dual_lshlrev_b32 v19, 2, v19
	v_cndmask_b32_e32 v16, 3, v16, vcc_lo
	v_and_b32_e32 v19, 0xfc, v19
	s_delay_alu instid0(VALU_DEP_2) | instskip(NEXT) | instid1(VALU_DEP_2)
	v_cmp_eq_u64_e32 vcc_lo, 0, v[16:17]
	v_and_or_b32 v16, v16, 3, v19
	s_and_b32 s13, s13, vcc_lo
	s_delay_alu instid0(VALU_DEP_1) | instid1(SALU_CYCLE_1)
	v_cndmask_b32_e64 v16, v16, 0, s13
	s_delay_alu instid0(VALU_DEP_1)
	v_or_b32_e32 v82, v16, v83
.LBB6_1587:                             ;   in Loop: Header=BB6_357 Depth=4
	s_or_b32 exec_lo, exec_lo, s73
                                        ; implicit-def: $vgpr83
.LBB6_1588:                             ;   in Loop: Header=BB6_357 Depth=4
	s_and_not1_saveexec_b32 s13, s72
; %bb.1589:                             ;   in Loop: Header=BB6_357 Depth=4
	v_or_b32_e32 v82, 0x7b, v83
; %bb.1590:                             ;   in Loop: Header=BB6_357 Depth=4
	s_or_b32 exec_lo, exec_lo, s13
                                        ; implicit-def: $vgpr16
                                        ; implicit-def: $vgpr17
.LBB6_1591:                             ;   in Loop: Header=BB6_357 Depth=4
	s_and_not1_saveexec_b32 s13, s63
	s_cbranch_execz .LBB6_1597
; %bb.1592:                             ;   in Loop: Header=BB6_357 Depth=4
	s_mov_b32 s63, exec_lo
                                        ; implicit-def: $vgpr82
	v_cmpx_ne_u64_e32 0, v[20:21]
	s_xor_b32 s63, exec_lo, s63
; %bb.1593:                             ;   in Loop: Header=BB6_357 Depth=4
	v_or_b32_e32 v82, 0x7f, v17
                                        ; implicit-def: $vgpr16
; %bb.1594:                             ;   in Loop: Header=BB6_357 Depth=4
	s_and_not1_saveexec_b32 s63, s63
; %bb.1595:                             ;   in Loop: Header=BB6_357 Depth=4
	v_cmp_lt_i32_e32 vcc_lo, -1, v16
	v_mov_b32_e32 v16, 0x7c
	s_delay_alu instid0(VALU_DEP_1)
	v_cndmask_b32_e32 v82, 0xfc, v16, vcc_lo
; %bb.1596:                             ;   in Loop: Header=BB6_357 Depth=4
	s_or_b32 exec_lo, exec_lo, s63
.LBB6_1597:                             ;   in Loop: Header=BB6_357 Depth=4
	s_delay_alu instid0(SALU_CYCLE_1)
	s_or_b32 exec_lo, exec_lo, s13
	v_dual_mov_b32 v17, 0 :: v_dual_mov_b32 v18, 0
	s_mov_b32 s63, exec_lo
	v_cmpx_lt_u64_e64 s[22:23], v[34:35]
	s_cbranch_execz .LBB6_1607
; %bb.1598:                             ;   in Loop: Header=BB6_357 Depth=4
	v_lshrrev_b32_e32 v16, 24, v35
	v_bfrev_b32_e32 v18, 1
	s_mov_b32 s72, exec_lo
	s_delay_alu instid0(VALU_DEP_2)
	v_cmpx_ne_u32_e32 0x80, v16
	s_cbranch_execz .LBB6_1606
; %bb.1599:                             ;   in Loop: Header=BB6_357 Depth=4
	v_and_b32_e32 v18, 0x7c000000, v35
	v_bfe_u32 v19, v35, 24, 2
	s_delay_alu instid0(VALU_DEP_2) | instskip(SKIP_1) | instid1(SALU_CYCLE_1)
	v_cmp_ne_u32_e32 vcc_lo, 0x7c000000, v18
                                        ; implicit-def: $vgpr18
	s_and_saveexec_b32 s13, vcc_lo
	s_xor_b32 s13, exec_lo, s13
	s_cbranch_execz .LBB6_1603
; %bb.1600:                             ;   in Loop: Header=BB6_357 Depth=4
	v_bfe_u32 v18, v35, 26, 5
	s_mov_b32 s73, exec_lo
	s_delay_alu instid0(VALU_DEP_1)
	v_cmpx_eq_u32_e32 0, v18
; %bb.1601:                             ;   in Loop: Header=BB6_357 Depth=4
	v_clz_i32_u32_e32 v18, v19
	s_delay_alu instid0(VALU_DEP_1) | instskip(NEXT) | instid1(VALU_DEP_1)
	v_min_u32_e32 v18, 32, v18
	v_subrev_nc_u32_e32 v19, 29, v18
	s_delay_alu instid0(VALU_DEP_1) | instskip(NEXT) | instid1(VALU_DEP_1)
	v_lshlrev_b64_e32 v[84:85], v19, v[16:17]
	v_dual_sub_nc_u32 v18, 30, v18 :: v_dual_bitop2_b32 v19, 3, v84 bitop3:0x40
; %bb.1602:                             ;   in Loop: Header=BB6_357 Depth=4
	s_or_b32 exec_lo, exec_lo, s73
	v_and_b32_e32 v16, 0x80000000, v35
                                        ; implicit-def: $vgpr34_vgpr35
	s_delay_alu instid0(VALU_DEP_1) | instskip(NEXT) | instid1(VALU_DEP_1)
	v_lshl_add_u32 v16, v18, 23, v16
	v_lshl_or_b32 v16, v19, 21, v16
                                        ; implicit-def: $vgpr19
	s_delay_alu instid0(VALU_DEP_1)
	v_add_nc_u32_e32 v18, 0x38000000, v16
.LBB6_1603:                             ;   in Loop: Header=BB6_357 Depth=4
	s_and_not1_saveexec_b32 s73, s13
; %bb.1604:                             ;   in Loop: Header=BB6_357 Depth=4
	v_cmp_lt_i64_e64 s13, -1, v[34:35]
	v_mov_b32_e32 v16, 0x7f800000
	v_cmp_eq_u32_e32 vcc_lo, 0, v19
	s_delay_alu instid0(VALU_DEP_2) | instskip(NEXT) | instid1(VALU_DEP_1)
	v_cndmask_b32_e64 v16, 0xff800000, v16, s13
	v_cndmask_b32_e32 v18, 0x7f800001, v16, vcc_lo
; %bb.1605:                             ;   in Loop: Header=BB6_357 Depth=4
	s_or_b32 exec_lo, exec_lo, s73
.LBB6_1606:                             ;   in Loop: Header=BB6_357 Depth=4
	s_delay_alu instid0(SALU_CYCLE_1)
	s_or_b32 exec_lo, exec_lo, s72
.LBB6_1607:                             ;   in Loop: Header=BB6_357 Depth=4
	s_delay_alu instid0(SALU_CYCLE_1) | instskip(NEXT) | instid1(SALU_CYCLE_1)
	s_or_b32 exec_lo, exec_lo, s63
	s_mov_b32 s63, exec_lo
	v_cmpx_lt_u64_e64 s[22:23], v[26:27]
	s_cbranch_execz .LBB6_1617
; %bb.1608:                             ;   in Loop: Header=BB6_357 Depth=4
	v_lshrrev_b32_e32 v16, 24, v27
	v_bfrev_b32_e32 v17, 1
	s_mov_b32 s72, exec_lo
	s_delay_alu instid0(VALU_DEP_2)
	v_cmpx_ne_u32_e32 0x80, v16
	s_cbranch_execz .LBB6_1616
; %bb.1609:                             ;   in Loop: Header=BB6_357 Depth=4
	v_and_b32_e32 v17, 0x7c000000, v27
	v_bfe_u32 v19, v27, 24, 2
	s_delay_alu instid0(VALU_DEP_2) | instskip(SKIP_1) | instid1(SALU_CYCLE_1)
	v_cmp_ne_u32_e32 vcc_lo, 0x7c000000, v17
                                        ; implicit-def: $vgpr17
	s_and_saveexec_b32 s13, vcc_lo
	s_xor_b32 s13, exec_lo, s13
	s_cbranch_execz .LBB6_1613
; %bb.1610:                             ;   in Loop: Header=BB6_357 Depth=4
	v_bfe_u32 v17, v27, 26, 5
	s_mov_b32 s73, exec_lo
	s_delay_alu instid0(VALU_DEP_1)
	v_cmpx_eq_u32_e32 0, v17
; %bb.1611:                             ;   in Loop: Header=BB6_357 Depth=4
	v_clz_i32_u32_e32 v17, v19
	s_delay_alu instid0(VALU_DEP_1) | instskip(NEXT) | instid1(VALU_DEP_1)
	v_min_u32_e32 v19, 32, v17
	v_subrev_nc_u32_e32 v17, 29, v19
	s_delay_alu instid0(VALU_DEP_1) | instskip(NEXT) | instid1(VALU_DEP_1)
	v_lshlrev_b64_e32 v[16:17], v17, v[16:17]
	v_dual_sub_nc_u32 v17, 30, v19 :: v_dual_bitop2_b32 v19, 3, v16 bitop3:0x40
; %bb.1612:                             ;   in Loop: Header=BB6_357 Depth=4
	s_or_b32 exec_lo, exec_lo, s73
	v_and_b32_e32 v16, 0x80000000, v27
                                        ; implicit-def: $vgpr26_vgpr27
	s_delay_alu instid0(VALU_DEP_1) | instskip(NEXT) | instid1(VALU_DEP_1)
	v_lshl_add_u32 v16, v17, 23, v16
	v_lshl_or_b32 v16, v19, 21, v16
                                        ; implicit-def: $vgpr19
	s_delay_alu instid0(VALU_DEP_1)
	v_add_nc_u32_e32 v17, 0x38000000, v16
.LBB6_1613:                             ;   in Loop: Header=BB6_357 Depth=4
	s_and_not1_saveexec_b32 s73, s13
; %bb.1614:                             ;   in Loop: Header=BB6_357 Depth=4
	v_cmp_lt_i64_e64 s13, -1, v[26:27]
	v_mov_b32_e32 v16, 0x7f800000
	v_cmp_eq_u32_e32 vcc_lo, 0, v19
	s_delay_alu instid0(VALU_DEP_2) | instskip(NEXT) | instid1(VALU_DEP_1)
	v_cndmask_b32_e64 v16, 0xff800000, v16, s13
	v_cndmask_b32_e32 v17, 0x7f800001, v16, vcc_lo
; %bb.1615:                             ;   in Loop: Header=BB6_357 Depth=4
	s_or_b32 exec_lo, exec_lo, s73
.LBB6_1616:                             ;   in Loop: Header=BB6_357 Depth=4
	s_delay_alu instid0(SALU_CYCLE_1)
	s_or_b32 exec_lo, exec_lo, s72
.LBB6_1617:                             ;   in Loop: Header=BB6_357 Depth=4
	s_delay_alu instid0(SALU_CYCLE_1) | instskip(NEXT) | instid1(VALU_DEP_1)
	s_or_b32 exec_lo, exec_lo, s63
	v_dual_mul_f32 v16, v18, v17 :: v_dual_mov_b32 v19, v21
                                        ; implicit-def: $vgpr26
	s_mov_b32 s13, exec_lo
	s_delay_alu instid0(VALU_DEP_1) | instskip(SKIP_2) | instid1(VALU_DEP_3)
	v_and_b32_e32 v18, 0x7f800000, v16
	v_and_b32_e32 v20, 0x7fffff, v16
	v_lshrrev_b32_e32 v17, 24, v16
	v_cmpx_ne_u64_e32 0x7f800000, v[18:19]
	s_xor_b32 s63, exec_lo, s13
	s_cbranch_execz .LBB6_1631
; %bb.1618:                             ;   in Loop: Header=BB6_357 Depth=4
	v_and_b32_e32 v18, 0x7fffffff, v16
	v_mov_b32_e32 v19, v21
	v_and_b32_e32 v27, 0x80, v17
                                        ; implicit-def: $vgpr26
	s_mov_b32 s13, exec_lo
	s_delay_alu instid0(VALU_DEP_2)
	v_cmpx_gt_u64_e32 0x47600001, v[18:19]
	s_xor_b32 s72, exec_lo, s13
	s_cbranch_execz .LBB6_1628
; %bb.1619:                             ;   in Loop: Header=BB6_357 Depth=4
	v_mov_b32_e32 v26, 0
	s_mov_b32 s73, exec_lo
	v_cmpx_ne_u32_e32 0, v16
	s_cbranch_execz .LBB6_1627
; %bb.1620:                             ;   in Loop: Header=BB6_357 Depth=4
	v_bfe_u32 v26, v16, 23, 8
	v_or_b32_e32 v17, 0x800000, v20
	s_delay_alu instid0(VALU_DEP_2) | instskip(SKIP_2) | instid1(VALU_DEP_2)
	v_cmp_gt_u32_e64 s13, 0x72, v26
	v_sub_nc_u32_e32 v16, 0x71, v26
	v_cmp_eq_u32_e32 vcc_lo, 0, v26
	v_cndmask_b32_e64 v16, 0, v16, s13
	s_delay_alu instid0(VALU_DEP_1) | instskip(SKIP_1) | instid1(VALU_DEP_2)
	v_cndmask_b32_e64 v34, v16, 0x70, vcc_lo
	v_cndmask_b32_e32 v16, v17, v20, vcc_lo
	v_dual_mov_b32 v17, v21 :: v_dual_add_nc_u32 v18, 21, v34
	v_add_nc_u32_e32 v20, 20, v34
	s_delay_alu instid0(VALU_DEP_2) | instskip(NEXT) | instid1(VALU_DEP_2)
	v_lshlrev_b64_e64 v[18:19], v18, -1
	v_lshlrev_b64_e64 v[84:85], v20, 1
	s_delay_alu instid0(VALU_DEP_2) | instskip(SKIP_1) | instid1(VALU_DEP_4)
	v_bfi_b32 v18, v18, 0, v16
	v_lshrrev_b64 v[16:17], v34, v[16:17]
	v_bfi_b32 v19, v19, 0, 0
	s_delay_alu instid0(VALU_DEP_1) | instskip(NEXT) | instid1(VALU_DEP_3)
	v_cmp_eq_u64_e64 s13, v[18:19], v[84:85]
	v_mov_b64_e32 v[18:19], v[16:17]
	s_and_saveexec_b32 s74, s13
; %bb.1621:                             ;   in Loop: Header=BB6_357 Depth=4
	v_bfe_u32 v18, v16, 21, 1
	v_mov_b32_e32 v19, v21
	s_delay_alu instid0(VALU_DEP_1) | instskip(NEXT) | instid1(VALU_DEP_1)
	v_add_nc_u64_e32 v[18:19], v[16:17], v[18:19]
	v_add_nc_u64_e32 v[18:19], -1, v[18:19]
; %bb.1622:                             ;   in Loop: Header=BB6_357 Depth=4
	s_or_b32 exec_lo, exec_lo, s74
	v_add_nc_u32_e32 v17, 0xffffff81, v26
	v_lshrrev_b32_e32 v19, 23, v16
	s_mov_b32 s13, exec_lo
	s_delay_alu instid0(VALU_DEP_2) | instskip(NEXT) | instid1(VALU_DEP_1)
	v_cndmask_b32_e64 v17, v17, 0xffffff82, vcc_lo
	v_add3_u32 v26, v34, v17, v19
	v_and_b32_e32 v17, 0x1fffff, v18
                                        ; implicit-def: $vgpr18
	s_delay_alu instid0(VALU_DEP_1) | instskip(NEXT) | instid1(VALU_DEP_1)
	v_dual_add_nc_u32 v19, 14, v26 :: v_dual_add_nc_u32 v20, v17, v16
                                        ; implicit-def: $vgpr16_vgpr17
	v_cmpx_ne_u32_e32 0, v19
	s_xor_b32 s13, exec_lo, s13
; %bb.1623:                             ;   in Loop: Header=BB6_357 Depth=4
	s_delay_alu instid0(VALU_DEP_2) | instskip(SKIP_1) | instid1(VALU_DEP_1)
	v_cmp_lt_u64_e32 vcc_lo, 0xffffff, v[20:21]
	v_add_nc_u32_e32 v16, 15, v26
	v_cndmask_b32_e32 v18, v19, v16, vcc_lo
	v_cndmask_b32_e64 v16, 0, 1, vcc_lo
	s_delay_alu instid0(VALU_DEP_1)
	v_lshrrev_b64 v[16:17], v16, v[20:21]
; %bb.1624:                             ;   in Loop: Header=BB6_357 Depth=4
	s_and_not1_saveexec_b32 s13, s13
; %bb.1625:                             ;   in Loop: Header=BB6_357 Depth=4
	v_mov_b64_e32 v[16:17], v[20:21]
	v_bfe_u32 v18, v20, 23, 1
; %bb.1626:                             ;   in Loop: Header=BB6_357 Depth=4
	s_or_b32 exec_lo, exec_lo, s13
	s_delay_alu instid0(VALU_DEP_2) | instskip(NEXT) | instid1(VALU_DEP_2)
	v_lshrrev_b64 v[16:17], 21, v[16:17]
	v_cmp_gt_i32_e32 vcc_lo, 32, v18
	v_min_i32_e32 v19, 31, v18
	v_cmp_eq_u32_e64 s13, 0, v18
	s_delay_alu instid0(VALU_DEP_2) | instskip(SKIP_1) | instid1(VALU_DEP_2)
	v_dual_cndmask_b32 v17, 0, v17, vcc_lo :: v_dual_lshlrev_b32 v19, 2, v19
	v_cndmask_b32_e32 v16, 3, v16, vcc_lo
	v_and_b32_e32 v19, 0xfc, v19
	s_delay_alu instid0(VALU_DEP_2) | instskip(NEXT) | instid1(VALU_DEP_2)
	v_cmp_eq_u64_e32 vcc_lo, 0, v[16:17]
	v_and_or_b32 v16, v16, 3, v19
	s_and_b32 s13, s13, vcc_lo
	s_delay_alu instid0(VALU_DEP_1) | instid1(SALU_CYCLE_1)
	v_cndmask_b32_e64 v16, v16, 0, s13
	s_delay_alu instid0(VALU_DEP_1)
	v_or_b32_e32 v26, v16, v27
.LBB6_1627:                             ;   in Loop: Header=BB6_357 Depth=4
	s_or_b32 exec_lo, exec_lo, s73
                                        ; implicit-def: $vgpr27
.LBB6_1628:                             ;   in Loop: Header=BB6_357 Depth=4
	s_and_not1_saveexec_b32 s13, s72
; %bb.1629:                             ;   in Loop: Header=BB6_357 Depth=4
	v_or_b32_e32 v26, 0x7b, v27
; %bb.1630:                             ;   in Loop: Header=BB6_357 Depth=4
	s_or_b32 exec_lo, exec_lo, s13
                                        ; implicit-def: $vgpr16
                                        ; implicit-def: $vgpr17
.LBB6_1631:                             ;   in Loop: Header=BB6_357 Depth=4
	s_and_not1_saveexec_b32 s13, s63
	s_cbranch_execz .LBB6_1637
; %bb.1632:                             ;   in Loop: Header=BB6_357 Depth=4
	s_mov_b32 s63, exec_lo
                                        ; implicit-def: $vgpr26
	v_cmpx_ne_u64_e32 0, v[20:21]
	s_xor_b32 s63, exec_lo, s63
; %bb.1633:                             ;   in Loop: Header=BB6_357 Depth=4
	v_or_b32_e32 v26, 0x7f, v17
                                        ; implicit-def: $vgpr16
; %bb.1634:                             ;   in Loop: Header=BB6_357 Depth=4
	s_and_not1_saveexec_b32 s63, s63
; %bb.1635:                             ;   in Loop: Header=BB6_357 Depth=4
	v_cmp_lt_i32_e32 vcc_lo, -1, v16
	v_mov_b32_e32 v16, 0x7c
	s_delay_alu instid0(VALU_DEP_1)
	v_cndmask_b32_e32 v26, 0xfc, v16, vcc_lo
; %bb.1636:                             ;   in Loop: Header=BB6_357 Depth=4
	s_or_b32 exec_lo, exec_lo, s63
.LBB6_1637:                             ;   in Loop: Header=BB6_357 Depth=4
	s_delay_alu instid0(SALU_CYCLE_1) | instskip(SKIP_2) | instid1(VALU_DEP_2)
	s_or_b32 exec_lo, exec_lo, s13
	v_and_b32_e32 v17, 0xff, v12
	v_mov_b32_e32 v16, 0
	v_cmp_ne_u16_e32 vcc_lo, 0, v17
	v_mov_b32_e32 v17, 0
	s_and_saveexec_b32 s63, vcc_lo
	s_cbranch_execz .LBB6_1647
; %bb.1638:                             ;   in Loop: Header=BB6_357 Depth=4
	v_bfe_i32 v19, v12, 0, 8
	v_bfrev_b32_e32 v17, 1
	s_mov_b32 s72, exec_lo
	s_delay_alu instid0(VALU_DEP_2)
	v_cmpx_ne_u16_e32 0xff80, v19
	s_cbranch_execz .LBB6_1646
; %bb.1639:                             ;   in Loop: Header=BB6_357 Depth=4
	v_and_b32_e32 v17, 0x7c, v12
	v_and_b32_e32 v18, 3, v12
	s_delay_alu instid0(VALU_DEP_2) | instskip(SKIP_1) | instid1(SALU_CYCLE_1)
	v_cmp_ne_u32_e32 vcc_lo, 0x7c, v17
                                        ; implicit-def: $vgpr17
	s_and_saveexec_b32 s13, vcc_lo
	s_xor_b32 s13, exec_lo, s13
	s_cbranch_execz .LBB6_1643
; %bb.1640:                             ;   in Loop: Header=BB6_357 Depth=4
	v_bfe_u32 v17, v12, 2, 5
	s_mov_b32 s73, exec_lo
	s_delay_alu instid0(VALU_DEP_1)
	v_cmpx_eq_u32_e32 0, v17
; %bb.1641:                             ;   in Loop: Header=BB6_357 Depth=4
	v_clz_i32_u32_e32 v17, v18
	s_delay_alu instid0(VALU_DEP_1) | instskip(NEXT) | instid1(VALU_DEP_1)
	v_min_u32_e32 v17, 32, v17
	v_subrev_nc_u32_e32 v18, 29, v17
	s_delay_alu instid0(VALU_DEP_1) | instskip(NEXT) | instid1(VALU_DEP_1)
	v_lshlrev_b64_e32 v[18:19], v18, v[12:13]
	v_dual_sub_nc_u32 v17, 30, v17 :: v_dual_bitop2_b32 v18, 3, v18 bitop3:0x40
; %bb.1642:                             ;   in Loop: Header=BB6_357 Depth=4
	s_or_b32 exec_lo, exec_lo, s73
	v_lshlrev_b32_e32 v19, 24, v12
	s_delay_alu instid0(VALU_DEP_1) | instskip(NEXT) | instid1(VALU_DEP_1)
	v_and_b32_e32 v19, 0x80000000, v19
	v_lshl_add_u32 v17, v17, 23, v19
                                        ; implicit-def: $vgpr19
	s_delay_alu instid0(VALU_DEP_1) | instskip(NEXT) | instid1(VALU_DEP_1)
	v_lshl_or_b32 v17, v18, 21, v17
                                        ; implicit-def: $vgpr18
	v_add_nc_u32_e32 v17, 0x38000000, v17
.LBB6_1643:                             ;   in Loop: Header=BB6_357 Depth=4
	s_and_not1_saveexec_b32 s73, s13
; %bb.1644:                             ;   in Loop: Header=BB6_357 Depth=4
	v_cmp_lt_i16_e64 s13, -1, v19
	v_mov_b32_e32 v17, 0x7f800000
	v_cmp_eq_u32_e32 vcc_lo, 0, v18
	s_delay_alu instid0(VALU_DEP_2) | instskip(NEXT) | instid1(VALU_DEP_1)
	v_cndmask_b32_e64 v17, 0xff800000, v17, s13
	v_cndmask_b32_e32 v17, 0x7f800001, v17, vcc_lo
; %bb.1645:                             ;   in Loop: Header=BB6_357 Depth=4
	s_or_b32 exec_lo, exec_lo, s73
.LBB6_1646:                             ;   in Loop: Header=BB6_357 Depth=4
	s_delay_alu instid0(SALU_CYCLE_1)
	s_or_b32 exec_lo, exec_lo, s72
.LBB6_1647:                             ;   in Loop: Header=BB6_357 Depth=4
	s_delay_alu instid0(SALU_CYCLE_1) | instskip(SKIP_3) | instid1(VALU_DEP_1)
	s_or_b32 exec_lo, exec_lo, s63
	s_wait_loadcnt 0x1
	v_and_b32_e32 v18, 0xff, v4
	s_mov_b32 s63, exec_lo
	v_cmpx_ne_u16_e32 0, v18
	s_cbranch_execz .LBB6_1657
; %bb.1648:                             ;   in Loop: Header=BB6_357 Depth=4
	v_bfe_i32 v19, v4, 0, 8
	v_bfrev_b32_e32 v16, 1
	s_mov_b32 s72, exec_lo
	s_delay_alu instid0(VALU_DEP_2)
	v_cmpx_ne_u16_e32 0xff80, v19
	s_cbranch_execz .LBB6_1656
; %bb.1649:                             ;   in Loop: Header=BB6_357 Depth=4
	v_and_b32_e32 v16, 0x7c, v4
	v_and_b32_e32 v18, 3, v4
	s_delay_alu instid0(VALU_DEP_2) | instskip(SKIP_1) | instid1(SALU_CYCLE_1)
	v_cmp_ne_u32_e32 vcc_lo, 0x7c, v16
                                        ; implicit-def: $vgpr16
	s_and_saveexec_b32 s13, vcc_lo
	s_xor_b32 s13, exec_lo, s13
	s_cbranch_execz .LBB6_1653
; %bb.1650:                             ;   in Loop: Header=BB6_357 Depth=4
	v_bfe_u32 v16, v4, 2, 5
	s_mov_b32 s73, exec_lo
	s_delay_alu instid0(VALU_DEP_1)
	v_cmpx_eq_u32_e32 0, v16
; %bb.1651:                             ;   in Loop: Header=BB6_357 Depth=4
	v_clz_i32_u32_e32 v16, v18
	s_delay_alu instid0(VALU_DEP_1) | instskip(NEXT) | instid1(VALU_DEP_1)
	v_min_u32_e32 v16, 32, v16
	v_subrev_nc_u32_e32 v18, 29, v16
	s_delay_alu instid0(VALU_DEP_1) | instskip(NEXT) | instid1(VALU_DEP_1)
	v_lshlrev_b64_e32 v[18:19], v18, v[4:5]
	v_dual_sub_nc_u32 v16, 30, v16 :: v_dual_bitop2_b32 v18, 3, v18 bitop3:0x40
; %bb.1652:                             ;   in Loop: Header=BB6_357 Depth=4
	s_or_b32 exec_lo, exec_lo, s73
	v_lshlrev_b32_e32 v19, 24, v4
	s_delay_alu instid0(VALU_DEP_1) | instskip(NEXT) | instid1(VALU_DEP_1)
	v_and_b32_e32 v19, 0x80000000, v19
	v_lshl_add_u32 v16, v16, 23, v19
                                        ; implicit-def: $vgpr19
	s_delay_alu instid0(VALU_DEP_1) | instskip(NEXT) | instid1(VALU_DEP_1)
	v_lshl_or_b32 v16, v18, 21, v16
                                        ; implicit-def: $vgpr18
	v_add_nc_u32_e32 v16, 0x38000000, v16
.LBB6_1653:                             ;   in Loop: Header=BB6_357 Depth=4
	s_and_not1_saveexec_b32 s73, s13
; %bb.1654:                             ;   in Loop: Header=BB6_357 Depth=4
	v_cmp_lt_i16_e64 s13, -1, v19
	v_mov_b32_e32 v16, 0x7f800000
	v_cmp_eq_u32_e32 vcc_lo, 0, v18
	s_delay_alu instid0(VALU_DEP_2) | instskip(NEXT) | instid1(VALU_DEP_1)
	v_cndmask_b32_e64 v16, 0xff800000, v16, s13
	v_cndmask_b32_e32 v16, 0x7f800001, v16, vcc_lo
; %bb.1655:                             ;   in Loop: Header=BB6_357 Depth=4
	s_or_b32 exec_lo, exec_lo, s73
.LBB6_1656:                             ;   in Loop: Header=BB6_357 Depth=4
	s_delay_alu instid0(SALU_CYCLE_1)
	s_or_b32 exec_lo, exec_lo, s72
.LBB6_1657:                             ;   in Loop: Header=BB6_357 Depth=4
	s_delay_alu instid0(SALU_CYCLE_1) | instskip(NEXT) | instid1(VALU_DEP_1)
	s_or_b32 exec_lo, exec_lo, s63
	v_mul_f32_e32 v16, v17, v16
	v_mov_b32_e32 v19, v21
                                        ; implicit-def: $vgpr27
	s_mov_b32 s13, exec_lo
	s_delay_alu instid0(VALU_DEP_2) | instskip(SKIP_2) | instid1(VALU_DEP_3)
	v_and_b32_e32 v18, 0x7f800000, v16
	v_and_b32_e32 v20, 0x7fffff, v16
	v_lshrrev_b32_e32 v17, 24, v16
	v_cmpx_ne_u64_e32 0x7f800000, v[18:19]
	s_xor_b32 s63, exec_lo, s13
	s_cbranch_execz .LBB6_1671
; %bb.1658:                             ;   in Loop: Header=BB6_357 Depth=4
	v_and_b32_e32 v18, 0x7fffffff, v16
	v_mov_b32_e32 v19, v21
	v_and_b32_e32 v34, 0x80, v17
                                        ; implicit-def: $vgpr27
	s_mov_b32 s13, exec_lo
	s_delay_alu instid0(VALU_DEP_2)
	v_cmpx_gt_u64_e32 0x47600001, v[18:19]
	s_xor_b32 s72, exec_lo, s13
	s_cbranch_execz .LBB6_1668
; %bb.1659:                             ;   in Loop: Header=BB6_357 Depth=4
	v_mov_b32_e32 v27, 0
	s_mov_b32 s73, exec_lo
	v_cmpx_ne_u32_e32 0, v16
	s_cbranch_execz .LBB6_1667
; %bb.1660:                             ;   in Loop: Header=BB6_357 Depth=4
	v_bfe_u32 v27, v16, 23, 8
	v_or_b32_e32 v17, 0x800000, v20
	s_delay_alu instid0(VALU_DEP_2) | instskip(SKIP_2) | instid1(VALU_DEP_2)
	v_cmp_gt_u32_e64 s13, 0x72, v27
	v_sub_nc_u32_e32 v16, 0x71, v27
	v_cmp_eq_u32_e32 vcc_lo, 0, v27
	v_cndmask_b32_e64 v16, 0, v16, s13
	s_delay_alu instid0(VALU_DEP_1) | instskip(SKIP_1) | instid1(VALU_DEP_2)
	v_cndmask_b32_e64 v35, v16, 0x70, vcc_lo
	v_cndmask_b32_e32 v16, v17, v20, vcc_lo
	v_dual_mov_b32 v17, v21 :: v_dual_add_nc_u32 v18, 21, v35
	v_add_nc_u32_e32 v20, 20, v35
	s_delay_alu instid0(VALU_DEP_2) | instskip(NEXT) | instid1(VALU_DEP_2)
	v_lshlrev_b64_e64 v[18:19], v18, -1
	v_lshlrev_b64_e64 v[84:85], v20, 1
	s_delay_alu instid0(VALU_DEP_2) | instskip(SKIP_1) | instid1(VALU_DEP_4)
	v_bfi_b32 v18, v18, 0, v16
	v_lshrrev_b64 v[16:17], v35, v[16:17]
	v_bfi_b32 v19, v19, 0, 0
	s_delay_alu instid0(VALU_DEP_1) | instskip(NEXT) | instid1(VALU_DEP_3)
	v_cmp_eq_u64_e64 s13, v[18:19], v[84:85]
	v_mov_b64_e32 v[18:19], v[16:17]
	s_and_saveexec_b32 s74, s13
; %bb.1661:                             ;   in Loop: Header=BB6_357 Depth=4
	v_bfe_u32 v18, v16, 21, 1
	v_mov_b32_e32 v19, v21
	s_delay_alu instid0(VALU_DEP_1) | instskip(NEXT) | instid1(VALU_DEP_1)
	v_add_nc_u64_e32 v[18:19], v[16:17], v[18:19]
	v_add_nc_u64_e32 v[18:19], -1, v[18:19]
; %bb.1662:                             ;   in Loop: Header=BB6_357 Depth=4
	s_or_b32 exec_lo, exec_lo, s74
	v_add_nc_u32_e32 v17, 0xffffff81, v27
	v_lshrrev_b32_e32 v19, 23, v16
	s_mov_b32 s13, exec_lo
	s_delay_alu instid0(VALU_DEP_2) | instskip(NEXT) | instid1(VALU_DEP_1)
	v_cndmask_b32_e64 v17, v17, 0xffffff82, vcc_lo
	v_add3_u32 v27, v35, v17, v19
	v_and_b32_e32 v17, 0x1fffff, v18
                                        ; implicit-def: $vgpr18
	s_delay_alu instid0(VALU_DEP_1) | instskip(NEXT) | instid1(VALU_DEP_1)
	v_dual_add_nc_u32 v19, 14, v27 :: v_dual_add_nc_u32 v20, v17, v16
                                        ; implicit-def: $vgpr16_vgpr17
	v_cmpx_ne_u32_e32 0, v19
	s_xor_b32 s13, exec_lo, s13
; %bb.1663:                             ;   in Loop: Header=BB6_357 Depth=4
	s_delay_alu instid0(VALU_DEP_2) | instskip(SKIP_1) | instid1(VALU_DEP_1)
	v_cmp_lt_u64_e32 vcc_lo, 0xffffff, v[20:21]
	v_add_nc_u32_e32 v16, 15, v27
	v_cndmask_b32_e32 v18, v19, v16, vcc_lo
	v_cndmask_b32_e64 v16, 0, 1, vcc_lo
	s_delay_alu instid0(VALU_DEP_1)
	v_lshrrev_b64 v[16:17], v16, v[20:21]
; %bb.1664:                             ;   in Loop: Header=BB6_357 Depth=4
	s_and_not1_saveexec_b32 s13, s13
; %bb.1665:                             ;   in Loop: Header=BB6_357 Depth=4
	v_mov_b64_e32 v[16:17], v[20:21]
	v_bfe_u32 v18, v20, 23, 1
; %bb.1666:                             ;   in Loop: Header=BB6_357 Depth=4
	s_or_b32 exec_lo, exec_lo, s13
	s_delay_alu instid0(VALU_DEP_2) | instskip(NEXT) | instid1(VALU_DEP_2)
	v_lshrrev_b64 v[16:17], 21, v[16:17]
	v_cmp_gt_i32_e32 vcc_lo, 32, v18
	v_min_i32_e32 v19, 31, v18
	v_cmp_eq_u32_e64 s13, 0, v18
	s_delay_alu instid0(VALU_DEP_2) | instskip(SKIP_1) | instid1(VALU_DEP_2)
	v_dual_cndmask_b32 v17, 0, v17, vcc_lo :: v_dual_lshlrev_b32 v19, 2, v19
	v_cndmask_b32_e32 v16, 3, v16, vcc_lo
	v_and_b32_e32 v19, 0xfc, v19
	s_delay_alu instid0(VALU_DEP_2) | instskip(NEXT) | instid1(VALU_DEP_2)
	v_cmp_eq_u64_e32 vcc_lo, 0, v[16:17]
	v_and_or_b32 v16, v16, 3, v19
	s_and_b32 s13, s13, vcc_lo
	s_delay_alu instid0(VALU_DEP_1) | instid1(SALU_CYCLE_1)
	v_cndmask_b32_e64 v16, v16, 0, s13
	s_delay_alu instid0(VALU_DEP_1)
	v_or_b32_e32 v27, v16, v34
.LBB6_1667:                             ;   in Loop: Header=BB6_357 Depth=4
	s_or_b32 exec_lo, exec_lo, s73
                                        ; implicit-def: $vgpr34
.LBB6_1668:                             ;   in Loop: Header=BB6_357 Depth=4
	s_and_not1_saveexec_b32 s13, s72
; %bb.1669:                             ;   in Loop: Header=BB6_357 Depth=4
	v_or_b32_e32 v27, 0x7b, v34
; %bb.1670:                             ;   in Loop: Header=BB6_357 Depth=4
	s_or_b32 exec_lo, exec_lo, s13
                                        ; implicit-def: $vgpr16
                                        ; implicit-def: $vgpr17
.LBB6_1671:                             ;   in Loop: Header=BB6_357 Depth=4
	s_and_not1_saveexec_b32 s13, s63
	s_cbranch_execz .LBB6_1677
; %bb.1672:                             ;   in Loop: Header=BB6_357 Depth=4
	s_mov_b32 s63, exec_lo
                                        ; implicit-def: $vgpr27
	v_cmpx_ne_u64_e32 0, v[20:21]
	s_xor_b32 s63, exec_lo, s63
; %bb.1673:                             ;   in Loop: Header=BB6_357 Depth=4
	v_or_b32_e32 v27, 0x7f, v17
                                        ; implicit-def: $vgpr16
; %bb.1674:                             ;   in Loop: Header=BB6_357 Depth=4
	s_and_not1_saveexec_b32 s63, s63
; %bb.1675:                             ;   in Loop: Header=BB6_357 Depth=4
	v_cmp_lt_i32_e32 vcc_lo, -1, v16
	v_mov_b32_e32 v16, 0x7c
	s_delay_alu instid0(VALU_DEP_1)
	v_cndmask_b32_e32 v27, 0xfc, v16, vcc_lo
; %bb.1676:                             ;   in Loop: Header=BB6_357 Depth=4
	s_or_b32 exec_lo, exec_lo, s63
.LBB6_1677:                             ;   in Loop: Header=BB6_357 Depth=4
	s_delay_alu instid0(SALU_CYCLE_1) | instskip(SKIP_3) | instid1(VALU_DEP_2)
	s_or_b32 exec_lo, exec_lo, s13
	v_lshrrev_b16 v16, 8, v12
	v_dual_mov_b32 v18, 0 :: v_dual_mov_b32 v19, 0
	s_mov_b32 s63, exec_lo
	v_cmpx_ne_u16_e32 0, v16
	s_cbranch_execz .LBB6_1687
; %bb.1678:                             ;   in Loop: Header=BB6_357 Depth=4
	v_bfrev_b32_e32 v19, 1
	s_mov_b32 s72, exec_lo
	v_cmpx_ne_u16_e32 0x80, v16
	s_cbranch_execz .LBB6_1686
; %bb.1679:                             ;   in Loop: Header=BB6_357 Depth=4
	v_and_b32_e32 v20, 0xffff, v16
	s_delay_alu instid0(VALU_DEP_1) | instskip(SKIP_1) | instid1(VALU_DEP_2)
	v_and_b32_e32 v19, 0x7c, v20
	v_and_b32_e32 v17, 3, v20
	v_cmp_ne_u32_e32 vcc_lo, 0x7c, v19
                                        ; implicit-def: $vgpr19
	s_and_saveexec_b32 s13, vcc_lo
	s_delay_alu instid0(SALU_CYCLE_1)
	s_xor_b32 s13, exec_lo, s13
	s_cbranch_execz .LBB6_1683
; %bb.1680:                             ;   in Loop: Header=BB6_357 Depth=4
	v_bfe_u32 v19, v20, 2, 5
	s_mov_b32 s73, exec_lo
	s_delay_alu instid0(VALU_DEP_1)
	v_cmpx_eq_u32_e32 0, v19
	s_cbranch_execz .LBB6_1682
; %bb.1681:                             ;   in Loop: Header=BB6_357 Depth=4
	v_clz_i32_u32_e32 v17, v17
	s_delay_alu instid0(VALU_DEP_1) | instskip(SKIP_1) | instid1(VALU_DEP_2)
	v_min_u32_e32 v19, 32, v17
	v_mov_b32_e32 v17, v21
	v_subrev_nc_u32_e32 v20, 29, v19
	v_sub_nc_u32_e32 v19, 30, v19
	s_delay_alu instid0(VALU_DEP_2) | instskip(NEXT) | instid1(VALU_DEP_1)
	v_lshlrev_b64_e32 v[16:17], v20, v[16:17]
	v_and_b32_e32 v17, 3, v16
.LBB6_1682:                             ;   in Loop: Header=BB6_357 Depth=4
	s_or_b32 exec_lo, exec_lo, s73
	v_lshlrev_b32_e32 v16, 16, v12
	s_delay_alu instid0(VALU_DEP_1) | instskip(NEXT) | instid1(VALU_DEP_1)
	v_and_b32_e32 v16, 0x80000000, v16
	v_lshl_add_u32 v16, v19, 23, v16
	s_delay_alu instid0(VALU_DEP_1) | instskip(NEXT) | instid1(VALU_DEP_1)
	v_lshl_or_b32 v16, v17, 21, v16
                                        ; implicit-def: $vgpr17
	v_add_nc_u32_e32 v19, 0x38000000, v16
.LBB6_1683:                             ;   in Loop: Header=BB6_357 Depth=4
	s_and_not1_saveexec_b32 s73, s13
; %bb.1684:                             ;   in Loop: Header=BB6_357 Depth=4
	v_cmp_lt_i16_e64 s13, -1, v12
	v_mov_b32_e32 v16, 0x7f800000
	v_cmp_eq_u32_e32 vcc_lo, 0, v17
	s_delay_alu instid0(VALU_DEP_2) | instskip(NEXT) | instid1(VALU_DEP_1)
	v_cndmask_b32_e64 v16, 0xff800000, v16, s13
	v_cndmask_b32_e32 v19, 0x7f800001, v16, vcc_lo
; %bb.1685:                             ;   in Loop: Header=BB6_357 Depth=4
	s_or_b32 exec_lo, exec_lo, s73
.LBB6_1686:                             ;   in Loop: Header=BB6_357 Depth=4
	s_delay_alu instid0(SALU_CYCLE_1)
	s_or_b32 exec_lo, exec_lo, s72
.LBB6_1687:                             ;   in Loop: Header=BB6_357 Depth=4
	s_delay_alu instid0(SALU_CYCLE_1) | instskip(SKIP_2) | instid1(VALU_DEP_1)
	s_or_b32 exec_lo, exec_lo, s63
	v_lshrrev_b16 v16, 8, v4
	s_mov_b32 s63, exec_lo
	v_cmpx_ne_u16_e32 0, v16
	s_cbranch_execz .LBB6_1697
; %bb.1688:                             ;   in Loop: Header=BB6_357 Depth=4
	v_bfrev_b32_e32 v18, 1
	s_mov_b32 s72, exec_lo
	v_cmpx_ne_u16_e32 0x80, v16
	s_cbranch_execz .LBB6_1696
; %bb.1689:                             ;   in Loop: Header=BB6_357 Depth=4
	v_and_b32_e32 v20, 0xffff, v16
	s_delay_alu instid0(VALU_DEP_1) | instskip(SKIP_1) | instid1(VALU_DEP_2)
	v_and_b32_e32 v18, 0x7c, v20
	v_and_b32_e32 v17, 3, v20
	v_cmp_ne_u32_e32 vcc_lo, 0x7c, v18
                                        ; implicit-def: $vgpr18
	s_and_saveexec_b32 s13, vcc_lo
	s_delay_alu instid0(SALU_CYCLE_1)
	s_xor_b32 s13, exec_lo, s13
	s_cbranch_execz .LBB6_1693
; %bb.1690:                             ;   in Loop: Header=BB6_357 Depth=4
	v_bfe_u32 v18, v20, 2, 5
	s_mov_b32 s73, exec_lo
	s_delay_alu instid0(VALU_DEP_1)
	v_cmpx_eq_u32_e32 0, v18
	s_cbranch_execz .LBB6_1692
; %bb.1691:                             ;   in Loop: Header=BB6_357 Depth=4
	v_clz_i32_u32_e32 v17, v17
	s_delay_alu instid0(VALU_DEP_1) | instskip(SKIP_1) | instid1(VALU_DEP_2)
	v_min_u32_e32 v18, 32, v17
	v_mov_b32_e32 v17, v21
	v_subrev_nc_u32_e32 v20, 29, v18
	v_sub_nc_u32_e32 v18, 30, v18
	s_delay_alu instid0(VALU_DEP_2) | instskip(NEXT) | instid1(VALU_DEP_1)
	v_lshlrev_b64_e32 v[16:17], v20, v[16:17]
	v_and_b32_e32 v17, 3, v16
.LBB6_1692:                             ;   in Loop: Header=BB6_357 Depth=4
	s_or_b32 exec_lo, exec_lo, s73
	v_lshlrev_b32_e32 v16, 16, v4
	s_delay_alu instid0(VALU_DEP_1) | instskip(NEXT) | instid1(VALU_DEP_1)
	v_and_b32_e32 v16, 0x80000000, v16
	v_lshl_add_u32 v16, v18, 23, v16
	s_delay_alu instid0(VALU_DEP_1) | instskip(NEXT) | instid1(VALU_DEP_1)
	v_lshl_or_b32 v16, v17, 21, v16
                                        ; implicit-def: $vgpr17
	v_add_nc_u32_e32 v18, 0x38000000, v16
.LBB6_1693:                             ;   in Loop: Header=BB6_357 Depth=4
	s_and_not1_saveexec_b32 s73, s13
; %bb.1694:                             ;   in Loop: Header=BB6_357 Depth=4
	v_cmp_lt_i16_e64 s13, -1, v4
	v_mov_b32_e32 v16, 0x7f800000
	v_cmp_eq_u32_e32 vcc_lo, 0, v17
	s_delay_alu instid0(VALU_DEP_2) | instskip(NEXT) | instid1(VALU_DEP_1)
	v_cndmask_b32_e64 v16, 0xff800000, v16, s13
	v_cndmask_b32_e32 v18, 0x7f800001, v16, vcc_lo
; %bb.1695:                             ;   in Loop: Header=BB6_357 Depth=4
	s_or_b32 exec_lo, exec_lo, s73
.LBB6_1696:                             ;   in Loop: Header=BB6_357 Depth=4
	s_delay_alu instid0(SALU_CYCLE_1)
	s_or_b32 exec_lo, exec_lo, s72
.LBB6_1697:                             ;   in Loop: Header=BB6_357 Depth=4
	s_delay_alu instid0(SALU_CYCLE_1) | instskip(NEXT) | instid1(VALU_DEP_1)
	s_or_b32 exec_lo, exec_lo, s63
	v_dual_mul_f32 v16, v19, v18 :: v_dual_mov_b32 v19, v21
                                        ; implicit-def: $vgpr34
	s_mov_b32 s13, exec_lo
	s_delay_alu instid0(VALU_DEP_1) | instskip(SKIP_2) | instid1(VALU_DEP_3)
	v_and_b32_e32 v18, 0x7f800000, v16
	v_and_b32_e32 v20, 0x7fffff, v16
	v_lshrrev_b32_e32 v17, 24, v16
	v_cmpx_ne_u64_e32 0x7f800000, v[18:19]
	s_xor_b32 s63, exec_lo, s13
	s_cbranch_execz .LBB6_1711
; %bb.1698:                             ;   in Loop: Header=BB6_357 Depth=4
	v_and_b32_e32 v18, 0x7fffffff, v16
	v_mov_b32_e32 v19, v21
	v_and_b32_e32 v35, 0x80, v17
                                        ; implicit-def: $vgpr34
	s_mov_b32 s13, exec_lo
	s_delay_alu instid0(VALU_DEP_2)
	v_cmpx_gt_u64_e32 0x47600001, v[18:19]
	s_xor_b32 s72, exec_lo, s13
	s_cbranch_execz .LBB6_1708
; %bb.1699:                             ;   in Loop: Header=BB6_357 Depth=4
	v_mov_b32_e32 v34, 0
	s_mov_b32 s73, exec_lo
	v_cmpx_ne_u32_e32 0, v16
	s_cbranch_execz .LBB6_1707
; %bb.1700:                             ;   in Loop: Header=BB6_357 Depth=4
	v_bfe_u32 v34, v16, 23, 8
	v_or_b32_e32 v17, 0x800000, v20
	s_delay_alu instid0(VALU_DEP_2) | instskip(SKIP_2) | instid1(VALU_DEP_2)
	v_cmp_gt_u32_e64 s13, 0x72, v34
	v_sub_nc_u32_e32 v16, 0x71, v34
	v_cmp_eq_u32_e32 vcc_lo, 0, v34
	v_cndmask_b32_e64 v16, 0, v16, s13
	s_delay_alu instid0(VALU_DEP_1) | instskip(SKIP_1) | instid1(VALU_DEP_2)
	v_cndmask_b32_e64 v83, v16, 0x70, vcc_lo
	v_cndmask_b32_e32 v16, v17, v20, vcc_lo
	v_dual_mov_b32 v17, v21 :: v_dual_add_nc_u32 v18, 21, v83
	v_add_nc_u32_e32 v20, 20, v83
	s_delay_alu instid0(VALU_DEP_2) | instskip(NEXT) | instid1(VALU_DEP_2)
	v_lshlrev_b64_e64 v[18:19], v18, -1
	v_lshlrev_b64_e64 v[84:85], v20, 1
	s_delay_alu instid0(VALU_DEP_2) | instskip(SKIP_1) | instid1(VALU_DEP_4)
	v_bfi_b32 v18, v18, 0, v16
	v_lshrrev_b64 v[16:17], v83, v[16:17]
	v_bfi_b32 v19, v19, 0, 0
	s_delay_alu instid0(VALU_DEP_1) | instskip(NEXT) | instid1(VALU_DEP_3)
	v_cmp_eq_u64_e64 s13, v[18:19], v[84:85]
	v_mov_b64_e32 v[18:19], v[16:17]
	s_and_saveexec_b32 s74, s13
; %bb.1701:                             ;   in Loop: Header=BB6_357 Depth=4
	v_bfe_u32 v18, v16, 21, 1
	v_mov_b32_e32 v19, v21
	s_delay_alu instid0(VALU_DEP_1) | instskip(NEXT) | instid1(VALU_DEP_1)
	v_add_nc_u64_e32 v[18:19], v[16:17], v[18:19]
	v_add_nc_u64_e32 v[18:19], -1, v[18:19]
; %bb.1702:                             ;   in Loop: Header=BB6_357 Depth=4
	s_or_b32 exec_lo, exec_lo, s74
	v_add_nc_u32_e32 v17, 0xffffff81, v34
	v_lshrrev_b32_e32 v19, 23, v16
	s_mov_b32 s13, exec_lo
	s_delay_alu instid0(VALU_DEP_2) | instskip(NEXT) | instid1(VALU_DEP_1)
	v_cndmask_b32_e64 v17, v17, 0xffffff82, vcc_lo
	v_add3_u32 v34, v83, v17, v19
	v_and_b32_e32 v17, 0x1fffff, v18
                                        ; implicit-def: $vgpr18
	s_delay_alu instid0(VALU_DEP_1) | instskip(NEXT) | instid1(VALU_DEP_1)
	v_dual_add_nc_u32 v19, 14, v34 :: v_dual_add_nc_u32 v20, v17, v16
                                        ; implicit-def: $vgpr16_vgpr17
	v_cmpx_ne_u32_e32 0, v19
	s_xor_b32 s13, exec_lo, s13
; %bb.1703:                             ;   in Loop: Header=BB6_357 Depth=4
	s_delay_alu instid0(VALU_DEP_2) | instskip(SKIP_1) | instid1(VALU_DEP_1)
	v_cmp_lt_u64_e32 vcc_lo, 0xffffff, v[20:21]
	v_add_nc_u32_e32 v16, 15, v34
	v_cndmask_b32_e32 v18, v19, v16, vcc_lo
	v_cndmask_b32_e64 v16, 0, 1, vcc_lo
	s_delay_alu instid0(VALU_DEP_1)
	v_lshrrev_b64 v[16:17], v16, v[20:21]
; %bb.1704:                             ;   in Loop: Header=BB6_357 Depth=4
	s_and_not1_saveexec_b32 s13, s13
; %bb.1705:                             ;   in Loop: Header=BB6_357 Depth=4
	v_mov_b64_e32 v[16:17], v[20:21]
	v_bfe_u32 v18, v20, 23, 1
; %bb.1706:                             ;   in Loop: Header=BB6_357 Depth=4
	s_or_b32 exec_lo, exec_lo, s13
	s_delay_alu instid0(VALU_DEP_2) | instskip(NEXT) | instid1(VALU_DEP_2)
	v_lshrrev_b64 v[16:17], 21, v[16:17]
	v_cmp_gt_i32_e32 vcc_lo, 32, v18
	v_min_i32_e32 v19, 31, v18
	v_cmp_eq_u32_e64 s13, 0, v18
	s_delay_alu instid0(VALU_DEP_2) | instskip(SKIP_1) | instid1(VALU_DEP_2)
	v_dual_cndmask_b32 v17, 0, v17, vcc_lo :: v_dual_lshlrev_b32 v19, 2, v19
	v_cndmask_b32_e32 v16, 3, v16, vcc_lo
	v_and_b32_e32 v19, 0xfc, v19
	s_delay_alu instid0(VALU_DEP_2) | instskip(NEXT) | instid1(VALU_DEP_2)
	v_cmp_eq_u64_e32 vcc_lo, 0, v[16:17]
	v_and_or_b32 v16, v16, 3, v19
	s_and_b32 s13, s13, vcc_lo
	s_delay_alu instid0(VALU_DEP_1) | instid1(SALU_CYCLE_1)
	v_cndmask_b32_e64 v16, v16, 0, s13
	s_delay_alu instid0(VALU_DEP_1)
	v_or_b32_e32 v34, v16, v35
.LBB6_1707:                             ;   in Loop: Header=BB6_357 Depth=4
	s_or_b32 exec_lo, exec_lo, s73
                                        ; implicit-def: $vgpr35
.LBB6_1708:                             ;   in Loop: Header=BB6_357 Depth=4
	s_and_not1_saveexec_b32 s13, s72
; %bb.1709:                             ;   in Loop: Header=BB6_357 Depth=4
	v_or_b32_e32 v34, 0x7b, v35
; %bb.1710:                             ;   in Loop: Header=BB6_357 Depth=4
	s_or_b32 exec_lo, exec_lo, s13
                                        ; implicit-def: $vgpr16
                                        ; implicit-def: $vgpr17
.LBB6_1711:                             ;   in Loop: Header=BB6_357 Depth=4
	s_and_not1_saveexec_b32 s13, s63
	s_cbranch_execz .LBB6_1717
; %bb.1712:                             ;   in Loop: Header=BB6_357 Depth=4
	s_mov_b32 s63, exec_lo
                                        ; implicit-def: $vgpr34
	v_cmpx_ne_u64_e32 0, v[20:21]
	s_xor_b32 s63, exec_lo, s63
; %bb.1713:                             ;   in Loop: Header=BB6_357 Depth=4
	v_or_b32_e32 v34, 0x7f, v17
                                        ; implicit-def: $vgpr16
; %bb.1714:                             ;   in Loop: Header=BB6_357 Depth=4
	s_and_not1_saveexec_b32 s63, s63
; %bb.1715:                             ;   in Loop: Header=BB6_357 Depth=4
	v_cmp_lt_i32_e32 vcc_lo, -1, v16
	v_mov_b32_e32 v16, 0x7c
	s_delay_alu instid0(VALU_DEP_1)
	v_cndmask_b32_e32 v34, 0xfc, v16, vcc_lo
; %bb.1716:                             ;   in Loop: Header=BB6_357 Depth=4
	s_or_b32 exec_lo, exec_lo, s63
.LBB6_1717:                             ;   in Loop: Header=BB6_357 Depth=4
	s_delay_alu instid0(SALU_CYCLE_1) | instskip(SKIP_3) | instid1(VALU_DEP_2)
	s_or_b32 exec_lo, exec_lo, s13
	v_dual_mov_b32 v17, 0 :: v_dual_lshrrev_b32 v16, 16, v12
	v_mov_b32_e32 v18, 0
	s_mov_b32 s63, exec_lo
	v_and_b32_e32 v19, 0xff, v16
	s_delay_alu instid0(VALU_DEP_1)
	v_cmpx_ne_u16_e32 0, v19
	s_cbranch_execz .LBB6_1727
; %bb.1718:                             ;   in Loop: Header=BB6_357 Depth=4
	v_bfrev_b32_e32 v18, 1
	s_mov_b32 s72, exec_lo
	v_cmpx_ne_u16_e32 0x80, v19
	s_cbranch_execz .LBB6_1726
; %bb.1719:                             ;   in Loop: Header=BB6_357 Depth=4
	v_and_b32_e32 v18, 0x7c0000, v12
	v_bfe_u32 v19, v12, 16, 2
	s_delay_alu instid0(VALU_DEP_2) | instskip(SKIP_1) | instid1(SALU_CYCLE_1)
	v_cmp_ne_u32_e32 vcc_lo, 0x7c0000, v18
                                        ; implicit-def: $vgpr18
	s_and_saveexec_b32 s13, vcc_lo
	s_xor_b32 s13, exec_lo, s13
	s_cbranch_execz .LBB6_1723
; %bb.1720:                             ;   in Loop: Header=BB6_357 Depth=4
	v_bfe_u32 v18, v12, 18, 5
	s_mov_b32 s73, exec_lo
	s_delay_alu instid0(VALU_DEP_1)
	v_cmpx_eq_u32_e32 0, v18
; %bb.1721:                             ;   in Loop: Header=BB6_357 Depth=4
	v_clz_i32_u32_e32 v18, v19
	s_delay_alu instid0(VALU_DEP_1) | instskip(NEXT) | instid1(VALU_DEP_1)
	v_min_u32_e32 v18, 32, v18
	v_subrev_nc_u32_e32 v19, 29, v18
	s_delay_alu instid0(VALU_DEP_1) | instskip(NEXT) | instid1(VALU_DEP_1)
	v_lshlrev_b64_e32 v[84:85], v19, v[16:17]
	v_dual_sub_nc_u32 v18, 30, v18 :: v_dual_bitop2_b32 v19, 3, v84 bitop3:0x40
; %bb.1722:                             ;   in Loop: Header=BB6_357 Depth=4
	s_or_b32 exec_lo, exec_lo, s73
	v_lshlrev_b32_e32 v16, 24, v16
	s_delay_alu instid0(VALU_DEP_1) | instskip(NEXT) | instid1(VALU_DEP_1)
	v_and_b32_e32 v16, 0x80000000, v16
	v_lshl_add_u32 v16, v18, 23, v16
	s_delay_alu instid0(VALU_DEP_1) | instskip(NEXT) | instid1(VALU_DEP_1)
	v_lshl_or_b32 v16, v19, 21, v16
                                        ; implicit-def: $vgpr19
	v_add_nc_u32_e32 v18, 0x38000000, v16
                                        ; implicit-def: $vgpr16
.LBB6_1723:                             ;   in Loop: Header=BB6_357 Depth=4
	s_and_not1_saveexec_b32 s73, s13
; %bb.1724:                             ;   in Loop: Header=BB6_357 Depth=4
	v_bfe_i32 v16, v16, 0, 8
	v_cmp_eq_u32_e32 vcc_lo, 0, v19
	s_delay_alu instid0(VALU_DEP_2) | instskip(SKIP_1) | instid1(VALU_DEP_1)
	v_cmp_lt_i16_e64 s13, -1, v16
	v_mov_b32_e32 v16, 0x7f800000
	v_cndmask_b32_e64 v16, 0xff800000, v16, s13
	s_delay_alu instid0(VALU_DEP_1)
	v_cndmask_b32_e32 v18, 0x7f800001, v16, vcc_lo
; %bb.1725:                             ;   in Loop: Header=BB6_357 Depth=4
	s_or_b32 exec_lo, exec_lo, s73
.LBB6_1726:                             ;   in Loop: Header=BB6_357 Depth=4
	s_delay_alu instid0(SALU_CYCLE_1)
	s_or_b32 exec_lo, exec_lo, s72
.LBB6_1727:                             ;   in Loop: Header=BB6_357 Depth=4
	s_delay_alu instid0(SALU_CYCLE_1) | instskip(SKIP_2) | instid1(VALU_DEP_1)
	s_or_b32 exec_lo, exec_lo, s63
	v_lshrrev_b32_e32 v16, 16, v4
	s_mov_b32 s63, exec_lo
	v_and_b32_e32 v19, 0xff, v16
	s_delay_alu instid0(VALU_DEP_1)
	v_cmpx_ne_u16_e32 0, v19
	s_cbranch_execz .LBB6_1737
; %bb.1728:                             ;   in Loop: Header=BB6_357 Depth=4
	v_bfrev_b32_e32 v17, 1
	s_mov_b32 s72, exec_lo
	v_cmpx_ne_u16_e32 0x80, v19
	s_cbranch_execz .LBB6_1736
; %bb.1729:                             ;   in Loop: Header=BB6_357 Depth=4
	v_and_b32_e32 v17, 0x7c0000, v4
	v_bfe_u32 v19, v4, 16, 2
	s_delay_alu instid0(VALU_DEP_2) | instskip(SKIP_1) | instid1(SALU_CYCLE_1)
	v_cmp_ne_u32_e32 vcc_lo, 0x7c0000, v17
                                        ; implicit-def: $vgpr17
	s_and_saveexec_b32 s13, vcc_lo
	s_xor_b32 s13, exec_lo, s13
	s_cbranch_execz .LBB6_1733
; %bb.1730:                             ;   in Loop: Header=BB6_357 Depth=4
	v_bfe_u32 v17, v4, 18, 5
	s_mov_b32 s73, exec_lo
	s_delay_alu instid0(VALU_DEP_1)
	v_cmpx_eq_u32_e32 0, v17
; %bb.1731:                             ;   in Loop: Header=BB6_357 Depth=4
	v_clz_i32_u32_e32 v17, v19
	s_delay_alu instid0(VALU_DEP_1) | instskip(NEXT) | instid1(VALU_DEP_1)
	v_min_u32_e32 v17, 32, v17
	v_subrev_nc_u32_e32 v19, 29, v17
	s_delay_alu instid0(VALU_DEP_1) | instskip(NEXT) | instid1(VALU_DEP_1)
	v_lshlrev_b64_e32 v[84:85], v19, v[16:17]
	v_dual_sub_nc_u32 v17, 30, v17 :: v_dual_bitop2_b32 v19, 3, v84 bitop3:0x40
; %bb.1732:                             ;   in Loop: Header=BB6_357 Depth=4
	s_or_b32 exec_lo, exec_lo, s73
	v_lshlrev_b32_e32 v16, 24, v16
	s_delay_alu instid0(VALU_DEP_1) | instskip(NEXT) | instid1(VALU_DEP_1)
	v_and_b32_e32 v16, 0x80000000, v16
	v_lshl_add_u32 v16, v17, 23, v16
	s_delay_alu instid0(VALU_DEP_1) | instskip(NEXT) | instid1(VALU_DEP_1)
	v_lshl_or_b32 v16, v19, 21, v16
                                        ; implicit-def: $vgpr19
	v_add_nc_u32_e32 v17, 0x38000000, v16
                                        ; implicit-def: $vgpr16
.LBB6_1733:                             ;   in Loop: Header=BB6_357 Depth=4
	s_and_not1_saveexec_b32 s73, s13
; %bb.1734:                             ;   in Loop: Header=BB6_357 Depth=4
	v_bfe_i32 v16, v16, 0, 8
	v_cmp_eq_u32_e32 vcc_lo, 0, v19
	s_delay_alu instid0(VALU_DEP_2) | instskip(SKIP_1) | instid1(VALU_DEP_1)
	v_cmp_lt_i16_e64 s13, -1, v16
	v_mov_b32_e32 v16, 0x7f800000
	v_cndmask_b32_e64 v16, 0xff800000, v16, s13
	s_delay_alu instid0(VALU_DEP_1)
	v_cndmask_b32_e32 v17, 0x7f800001, v16, vcc_lo
; %bb.1735:                             ;   in Loop: Header=BB6_357 Depth=4
	s_or_b32 exec_lo, exec_lo, s73
.LBB6_1736:                             ;   in Loop: Header=BB6_357 Depth=4
	s_delay_alu instid0(SALU_CYCLE_1)
	s_or_b32 exec_lo, exec_lo, s72
.LBB6_1737:                             ;   in Loop: Header=BB6_357 Depth=4
	s_delay_alu instid0(SALU_CYCLE_1) | instskip(NEXT) | instid1(VALU_DEP_1)
	s_or_b32 exec_lo, exec_lo, s63
	v_dual_mul_f32 v16, v18, v17 :: v_dual_mov_b32 v19, v21
                                        ; implicit-def: $vgpr35
	s_mov_b32 s13, exec_lo
	s_delay_alu instid0(VALU_DEP_1) | instskip(SKIP_2) | instid1(VALU_DEP_3)
	v_and_b32_e32 v18, 0x7f800000, v16
	v_and_b32_e32 v20, 0x7fffff, v16
	v_lshrrev_b32_e32 v17, 24, v16
	v_cmpx_ne_u64_e32 0x7f800000, v[18:19]
	s_xor_b32 s63, exec_lo, s13
	s_cbranch_execz .LBB6_1751
; %bb.1738:                             ;   in Loop: Header=BB6_357 Depth=4
	v_and_b32_e32 v18, 0x7fffffff, v16
	v_mov_b32_e32 v19, v21
	v_and_b32_e32 v83, 0x80, v17
                                        ; implicit-def: $vgpr35
	s_mov_b32 s13, exec_lo
	s_delay_alu instid0(VALU_DEP_2)
	v_cmpx_gt_u64_e32 0x47600001, v[18:19]
	s_xor_b32 s72, exec_lo, s13
	s_cbranch_execz .LBB6_1748
; %bb.1739:                             ;   in Loop: Header=BB6_357 Depth=4
	v_mov_b32_e32 v35, 0
	s_mov_b32 s73, exec_lo
	v_cmpx_ne_u32_e32 0, v16
	s_cbranch_execz .LBB6_1747
; %bb.1740:                             ;   in Loop: Header=BB6_357 Depth=4
	v_bfe_u32 v35, v16, 23, 8
	v_or_b32_e32 v17, 0x800000, v20
	s_delay_alu instid0(VALU_DEP_2) | instskip(SKIP_2) | instid1(VALU_DEP_2)
	v_cmp_gt_u32_e64 s13, 0x72, v35
	v_sub_nc_u32_e32 v16, 0x71, v35
	v_cmp_eq_u32_e32 vcc_lo, 0, v35
	v_cndmask_b32_e64 v16, 0, v16, s13
	s_delay_alu instid0(VALU_DEP_1) | instskip(SKIP_1) | instid1(VALU_DEP_2)
	v_cndmask_b32_e64 v84, v16, 0x70, vcc_lo
	v_cndmask_b32_e32 v16, v17, v20, vcc_lo
	v_dual_mov_b32 v17, v21 :: v_dual_add_nc_u32 v18, 21, v84
	v_add_nc_u32_e32 v20, 20, v84
	s_delay_alu instid0(VALU_DEP_2) | instskip(NEXT) | instid1(VALU_DEP_2)
	v_lshlrev_b64_e64 v[18:19], v18, -1
	v_lshlrev_b64_e64 v[86:87], v20, 1
	s_delay_alu instid0(VALU_DEP_2) | instskip(SKIP_1) | instid1(VALU_DEP_4)
	v_bfi_b32 v18, v18, 0, v16
	v_lshrrev_b64 v[16:17], v84, v[16:17]
	v_bfi_b32 v19, v19, 0, 0
	s_delay_alu instid0(VALU_DEP_1) | instskip(NEXT) | instid1(VALU_DEP_3)
	v_cmp_eq_u64_e64 s13, v[18:19], v[86:87]
	v_mov_b64_e32 v[18:19], v[16:17]
	s_and_saveexec_b32 s74, s13
; %bb.1741:                             ;   in Loop: Header=BB6_357 Depth=4
	v_bfe_u32 v18, v16, 21, 1
	v_mov_b32_e32 v19, v21
	s_delay_alu instid0(VALU_DEP_1) | instskip(NEXT) | instid1(VALU_DEP_1)
	v_add_nc_u64_e32 v[18:19], v[16:17], v[18:19]
	v_add_nc_u64_e32 v[18:19], -1, v[18:19]
; %bb.1742:                             ;   in Loop: Header=BB6_357 Depth=4
	s_or_b32 exec_lo, exec_lo, s74
	v_add_nc_u32_e32 v17, 0xffffff81, v35
	v_lshrrev_b32_e32 v19, 23, v16
	s_mov_b32 s13, exec_lo
	s_delay_alu instid0(VALU_DEP_2) | instskip(NEXT) | instid1(VALU_DEP_1)
	v_cndmask_b32_e64 v17, v17, 0xffffff82, vcc_lo
	v_add3_u32 v35, v84, v17, v19
	v_and_b32_e32 v17, 0x1fffff, v18
                                        ; implicit-def: $vgpr18
	s_delay_alu instid0(VALU_DEP_1) | instskip(NEXT) | instid1(VALU_DEP_1)
	v_dual_add_nc_u32 v19, 14, v35 :: v_dual_add_nc_u32 v20, v17, v16
                                        ; implicit-def: $vgpr16_vgpr17
	v_cmpx_ne_u32_e32 0, v19
	s_xor_b32 s13, exec_lo, s13
; %bb.1743:                             ;   in Loop: Header=BB6_357 Depth=4
	s_delay_alu instid0(VALU_DEP_2) | instskip(SKIP_1) | instid1(VALU_DEP_1)
	v_cmp_lt_u64_e32 vcc_lo, 0xffffff, v[20:21]
	v_add_nc_u32_e32 v16, 15, v35
	v_cndmask_b32_e32 v18, v19, v16, vcc_lo
	v_cndmask_b32_e64 v16, 0, 1, vcc_lo
	s_delay_alu instid0(VALU_DEP_1)
	v_lshrrev_b64 v[16:17], v16, v[20:21]
; %bb.1744:                             ;   in Loop: Header=BB6_357 Depth=4
	s_and_not1_saveexec_b32 s13, s13
; %bb.1745:                             ;   in Loop: Header=BB6_357 Depth=4
	v_mov_b64_e32 v[16:17], v[20:21]
	v_bfe_u32 v18, v20, 23, 1
; %bb.1746:                             ;   in Loop: Header=BB6_357 Depth=4
	s_or_b32 exec_lo, exec_lo, s13
	s_delay_alu instid0(VALU_DEP_2) | instskip(NEXT) | instid1(VALU_DEP_2)
	v_lshrrev_b64 v[16:17], 21, v[16:17]
	v_cmp_gt_i32_e32 vcc_lo, 32, v18
	v_min_i32_e32 v19, 31, v18
	v_cmp_eq_u32_e64 s13, 0, v18
	s_delay_alu instid0(VALU_DEP_2) | instskip(SKIP_1) | instid1(VALU_DEP_2)
	v_dual_cndmask_b32 v17, 0, v17, vcc_lo :: v_dual_lshlrev_b32 v19, 2, v19
	v_cndmask_b32_e32 v16, 3, v16, vcc_lo
	v_and_b32_e32 v19, 0xfc, v19
	s_delay_alu instid0(VALU_DEP_2) | instskip(NEXT) | instid1(VALU_DEP_2)
	v_cmp_eq_u64_e32 vcc_lo, 0, v[16:17]
	v_and_or_b32 v16, v16, 3, v19
	s_and_b32 s13, s13, vcc_lo
	s_delay_alu instid0(VALU_DEP_1) | instid1(SALU_CYCLE_1)
	v_cndmask_b32_e64 v16, v16, 0, s13
	s_delay_alu instid0(VALU_DEP_1)
	v_or_b32_e32 v35, v16, v83
.LBB6_1747:                             ;   in Loop: Header=BB6_357 Depth=4
	s_or_b32 exec_lo, exec_lo, s73
                                        ; implicit-def: $vgpr83
.LBB6_1748:                             ;   in Loop: Header=BB6_357 Depth=4
	s_and_not1_saveexec_b32 s13, s72
; %bb.1749:                             ;   in Loop: Header=BB6_357 Depth=4
	v_or_b32_e32 v35, 0x7b, v83
; %bb.1750:                             ;   in Loop: Header=BB6_357 Depth=4
	s_or_b32 exec_lo, exec_lo, s13
                                        ; implicit-def: $vgpr16
                                        ; implicit-def: $vgpr17
.LBB6_1751:                             ;   in Loop: Header=BB6_357 Depth=4
	s_and_not1_saveexec_b32 s13, s63
	s_cbranch_execz .LBB6_1757
; %bb.1752:                             ;   in Loop: Header=BB6_357 Depth=4
	s_mov_b32 s63, exec_lo
                                        ; implicit-def: $vgpr35
	v_cmpx_ne_u64_e32 0, v[20:21]
	s_xor_b32 s63, exec_lo, s63
; %bb.1753:                             ;   in Loop: Header=BB6_357 Depth=4
	v_or_b32_e32 v35, 0x7f, v17
                                        ; implicit-def: $vgpr16
; %bb.1754:                             ;   in Loop: Header=BB6_357 Depth=4
	s_and_not1_saveexec_b32 s63, s63
; %bb.1755:                             ;   in Loop: Header=BB6_357 Depth=4
	v_cmp_lt_i32_e32 vcc_lo, -1, v16
	v_mov_b32_e32 v16, 0x7c
	s_delay_alu instid0(VALU_DEP_1)
	v_cndmask_b32_e32 v35, 0xfc, v16, vcc_lo
; %bb.1756:                             ;   in Loop: Header=BB6_357 Depth=4
	s_or_b32 exec_lo, exec_lo, s63
.LBB6_1757:                             ;   in Loop: Header=BB6_357 Depth=4
	s_delay_alu instid0(SALU_CYCLE_1)
	s_or_b32 exec_lo, exec_lo, s13
	v_dual_mov_b32 v17, 0 :: v_dual_mov_b32 v18, 0
	s_mov_b32 s63, exec_lo
	v_cmpx_lt_u32_e32 0xffffff, v12
	s_cbranch_execz .LBB6_1767
; %bb.1758:                             ;   in Loop: Header=BB6_357 Depth=4
	v_lshrrev_b32_e32 v16, 24, v12
	v_bfrev_b32_e32 v18, 1
	s_mov_b32 s72, exec_lo
	s_delay_alu instid0(VALU_DEP_2)
	v_cmpx_ne_u32_e32 0x80, v16
	s_cbranch_execz .LBB6_1766
; %bb.1759:                             ;   in Loop: Header=BB6_357 Depth=4
	v_and_b32_e32 v18, 0x7c000000, v12
	v_bfe_u32 v19, v12, 24, 2
	s_delay_alu instid0(VALU_DEP_2) | instskip(SKIP_1) | instid1(SALU_CYCLE_1)
	v_cmp_ne_u32_e32 vcc_lo, 0x7c000000, v18
                                        ; implicit-def: $vgpr18
	s_and_saveexec_b32 s13, vcc_lo
	s_xor_b32 s13, exec_lo, s13
	s_cbranch_execz .LBB6_1763
; %bb.1760:                             ;   in Loop: Header=BB6_357 Depth=4
	v_bfe_u32 v18, v12, 26, 5
	s_mov_b32 s73, exec_lo
	s_delay_alu instid0(VALU_DEP_1)
	v_cmpx_eq_u32_e32 0, v18
; %bb.1761:                             ;   in Loop: Header=BB6_357 Depth=4
	v_clz_i32_u32_e32 v18, v19
	s_delay_alu instid0(VALU_DEP_1) | instskip(NEXT) | instid1(VALU_DEP_1)
	v_min_u32_e32 v18, 32, v18
	v_subrev_nc_u32_e32 v19, 29, v18
	s_delay_alu instid0(VALU_DEP_1) | instskip(NEXT) | instid1(VALU_DEP_1)
	v_lshlrev_b64_e32 v[84:85], v19, v[16:17]
	v_dual_sub_nc_u32 v18, 30, v18 :: v_dual_bitop2_b32 v19, 3, v84 bitop3:0x40
; %bb.1762:                             ;   in Loop: Header=BB6_357 Depth=4
	s_or_b32 exec_lo, exec_lo, s73
	v_and_b32_e32 v16, 0x80000000, v12
	s_delay_alu instid0(VALU_DEP_1) | instskip(NEXT) | instid1(VALU_DEP_1)
	v_lshl_add_u32 v16, v18, 23, v16
	v_lshl_or_b32 v16, v19, 21, v16
                                        ; implicit-def: $vgpr19
	s_delay_alu instid0(VALU_DEP_1)
	v_add_nc_u32_e32 v18, 0x38000000, v16
.LBB6_1763:                             ;   in Loop: Header=BB6_357 Depth=4
	s_and_not1_saveexec_b32 s73, s13
; %bb.1764:                             ;   in Loop: Header=BB6_357 Depth=4
	v_cmp_lt_i32_e64 s13, -1, v12
	v_mov_b32_e32 v16, 0x7f800000
	v_cmp_eq_u32_e32 vcc_lo, 0, v19
	s_delay_alu instid0(VALU_DEP_2) | instskip(NEXT) | instid1(VALU_DEP_1)
	v_cndmask_b32_e64 v16, 0xff800000, v16, s13
	v_cndmask_b32_e32 v18, 0x7f800001, v16, vcc_lo
; %bb.1765:                             ;   in Loop: Header=BB6_357 Depth=4
	s_or_b32 exec_lo, exec_lo, s73
.LBB6_1766:                             ;   in Loop: Header=BB6_357 Depth=4
	s_delay_alu instid0(SALU_CYCLE_1)
	s_or_b32 exec_lo, exec_lo, s72
.LBB6_1767:                             ;   in Loop: Header=BB6_357 Depth=4
	s_delay_alu instid0(SALU_CYCLE_1) | instskip(NEXT) | instid1(SALU_CYCLE_1)
	s_or_b32 exec_lo, exec_lo, s63
	s_mov_b32 s63, exec_lo
	v_cmpx_lt_u32_e32 0xffffff, v4
	s_cbranch_execz .LBB6_1777
; %bb.1768:                             ;   in Loop: Header=BB6_357 Depth=4
	v_lshrrev_b32_e32 v16, 24, v4
	v_bfrev_b32_e32 v17, 1
	s_mov_b32 s72, exec_lo
	s_delay_alu instid0(VALU_DEP_2)
	v_cmpx_ne_u32_e32 0x80, v16
	s_cbranch_execz .LBB6_1776
; %bb.1769:                             ;   in Loop: Header=BB6_357 Depth=4
	v_and_b32_e32 v17, 0x7c000000, v4
	v_bfe_u32 v19, v4, 24, 2
	s_delay_alu instid0(VALU_DEP_2) | instskip(SKIP_1) | instid1(SALU_CYCLE_1)
	v_cmp_ne_u32_e32 vcc_lo, 0x7c000000, v17
                                        ; implicit-def: $vgpr17
	s_and_saveexec_b32 s13, vcc_lo
	s_xor_b32 s13, exec_lo, s13
	s_cbranch_execz .LBB6_1773
; %bb.1770:                             ;   in Loop: Header=BB6_357 Depth=4
	v_bfe_u32 v17, v4, 26, 5
	s_mov_b32 s73, exec_lo
	s_delay_alu instid0(VALU_DEP_1)
	v_cmpx_eq_u32_e32 0, v17
; %bb.1771:                             ;   in Loop: Header=BB6_357 Depth=4
	v_clz_i32_u32_e32 v17, v19
	s_delay_alu instid0(VALU_DEP_1) | instskip(NEXT) | instid1(VALU_DEP_1)
	v_min_u32_e32 v19, 32, v17
	v_subrev_nc_u32_e32 v17, 29, v19
	s_delay_alu instid0(VALU_DEP_1) | instskip(NEXT) | instid1(VALU_DEP_1)
	v_lshlrev_b64_e32 v[16:17], v17, v[16:17]
	v_dual_sub_nc_u32 v17, 30, v19 :: v_dual_bitop2_b32 v19, 3, v16 bitop3:0x40
; %bb.1772:                             ;   in Loop: Header=BB6_357 Depth=4
	s_or_b32 exec_lo, exec_lo, s73
	v_and_b32_e32 v16, 0x80000000, v4
	s_delay_alu instid0(VALU_DEP_1) | instskip(NEXT) | instid1(VALU_DEP_1)
	v_lshl_add_u32 v16, v17, 23, v16
	v_lshl_or_b32 v16, v19, 21, v16
                                        ; implicit-def: $vgpr19
	s_delay_alu instid0(VALU_DEP_1)
	v_add_nc_u32_e32 v17, 0x38000000, v16
.LBB6_1773:                             ;   in Loop: Header=BB6_357 Depth=4
	s_and_not1_saveexec_b32 s73, s13
; %bb.1774:                             ;   in Loop: Header=BB6_357 Depth=4
	v_cmp_lt_i32_e64 s13, -1, v4
	v_mov_b32_e32 v16, 0x7f800000
	v_cmp_eq_u32_e32 vcc_lo, 0, v19
	s_delay_alu instid0(VALU_DEP_2) | instskip(NEXT) | instid1(VALU_DEP_1)
	v_cndmask_b32_e64 v16, 0xff800000, v16, s13
	v_cndmask_b32_e32 v17, 0x7f800001, v16, vcc_lo
; %bb.1775:                             ;   in Loop: Header=BB6_357 Depth=4
	s_or_b32 exec_lo, exec_lo, s73
.LBB6_1776:                             ;   in Loop: Header=BB6_357 Depth=4
	s_delay_alu instid0(SALU_CYCLE_1)
	s_or_b32 exec_lo, exec_lo, s72
.LBB6_1777:                             ;   in Loop: Header=BB6_357 Depth=4
	s_delay_alu instid0(SALU_CYCLE_1) | instskip(NEXT) | instid1(VALU_DEP_1)
	s_or_b32 exec_lo, exec_lo, s63
	v_dual_mul_f32 v16, v18, v17 :: v_dual_mov_b32 v19, v21
                                        ; implicit-def: $vgpr83
	s_mov_b32 s13, exec_lo
	s_delay_alu instid0(VALU_DEP_1) | instskip(SKIP_2) | instid1(VALU_DEP_3)
	v_and_b32_e32 v18, 0x7f800000, v16
	v_and_b32_e32 v20, 0x7fffff, v16
	v_lshrrev_b32_e32 v17, 24, v16
	v_cmpx_ne_u64_e32 0x7f800000, v[18:19]
	s_xor_b32 s63, exec_lo, s13
	s_cbranch_execz .LBB6_1791
; %bb.1778:                             ;   in Loop: Header=BB6_357 Depth=4
	v_and_b32_e32 v18, 0x7fffffff, v16
	v_mov_b32_e32 v19, v21
	v_and_b32_e32 v84, 0x80, v17
                                        ; implicit-def: $vgpr83
	s_mov_b32 s13, exec_lo
	s_delay_alu instid0(VALU_DEP_2)
	v_cmpx_gt_u64_e32 0x47600001, v[18:19]
	s_xor_b32 s72, exec_lo, s13
	s_cbranch_execz .LBB6_1788
; %bb.1779:                             ;   in Loop: Header=BB6_357 Depth=4
	v_mov_b32_e32 v83, 0
	s_mov_b32 s73, exec_lo
	v_cmpx_ne_u32_e32 0, v16
	s_cbranch_execz .LBB6_1787
; %bb.1780:                             ;   in Loop: Header=BB6_357 Depth=4
	v_bfe_u32 v83, v16, 23, 8
	v_or_b32_e32 v17, 0x800000, v20
	s_delay_alu instid0(VALU_DEP_2) | instskip(SKIP_2) | instid1(VALU_DEP_2)
	v_cmp_gt_u32_e64 s13, 0x72, v83
	v_sub_nc_u32_e32 v16, 0x71, v83
	v_cmp_eq_u32_e32 vcc_lo, 0, v83
	v_cndmask_b32_e64 v16, 0, v16, s13
	s_delay_alu instid0(VALU_DEP_1) | instskip(SKIP_1) | instid1(VALU_DEP_2)
	v_cndmask_b32_e64 v85, v16, 0x70, vcc_lo
	v_cndmask_b32_e32 v16, v17, v20, vcc_lo
	v_dual_mov_b32 v17, v21 :: v_dual_add_nc_u32 v18, 21, v85
	v_add_nc_u32_e32 v20, 20, v85
	s_delay_alu instid0(VALU_DEP_2) | instskip(NEXT) | instid1(VALU_DEP_2)
	v_lshlrev_b64_e64 v[18:19], v18, -1
	v_lshlrev_b64_e64 v[86:87], v20, 1
	s_delay_alu instid0(VALU_DEP_2) | instskip(SKIP_1) | instid1(VALU_DEP_4)
	v_bfi_b32 v18, v18, 0, v16
	v_lshrrev_b64 v[16:17], v85, v[16:17]
	v_bfi_b32 v19, v19, 0, 0
	s_delay_alu instid0(VALU_DEP_1) | instskip(NEXT) | instid1(VALU_DEP_3)
	v_cmp_eq_u64_e64 s13, v[18:19], v[86:87]
	v_mov_b64_e32 v[18:19], v[16:17]
	s_and_saveexec_b32 s74, s13
; %bb.1781:                             ;   in Loop: Header=BB6_357 Depth=4
	v_bfe_u32 v18, v16, 21, 1
	v_mov_b32_e32 v19, v21
	s_delay_alu instid0(VALU_DEP_1) | instskip(NEXT) | instid1(VALU_DEP_1)
	v_add_nc_u64_e32 v[18:19], v[16:17], v[18:19]
	v_add_nc_u64_e32 v[18:19], -1, v[18:19]
; %bb.1782:                             ;   in Loop: Header=BB6_357 Depth=4
	s_or_b32 exec_lo, exec_lo, s74
	v_add_nc_u32_e32 v17, 0xffffff81, v83
	v_lshrrev_b32_e32 v19, 23, v16
	s_mov_b32 s13, exec_lo
	s_delay_alu instid0(VALU_DEP_2) | instskip(NEXT) | instid1(VALU_DEP_1)
	v_cndmask_b32_e64 v17, v17, 0xffffff82, vcc_lo
	v_add3_u32 v83, v85, v17, v19
	v_and_b32_e32 v17, 0x1fffff, v18
                                        ; implicit-def: $vgpr18
	s_delay_alu instid0(VALU_DEP_1) | instskip(NEXT) | instid1(VALU_DEP_1)
	v_dual_add_nc_u32 v19, 14, v83 :: v_dual_add_nc_u32 v20, v17, v16
                                        ; implicit-def: $vgpr16_vgpr17
	v_cmpx_ne_u32_e32 0, v19
	s_xor_b32 s13, exec_lo, s13
; %bb.1783:                             ;   in Loop: Header=BB6_357 Depth=4
	s_delay_alu instid0(VALU_DEP_2) | instskip(SKIP_1) | instid1(VALU_DEP_1)
	v_cmp_lt_u64_e32 vcc_lo, 0xffffff, v[20:21]
	v_add_nc_u32_e32 v16, 15, v83
	v_cndmask_b32_e32 v18, v19, v16, vcc_lo
	v_cndmask_b32_e64 v16, 0, 1, vcc_lo
	s_delay_alu instid0(VALU_DEP_1)
	v_lshrrev_b64 v[16:17], v16, v[20:21]
; %bb.1784:                             ;   in Loop: Header=BB6_357 Depth=4
	s_and_not1_saveexec_b32 s13, s13
; %bb.1785:                             ;   in Loop: Header=BB6_357 Depth=4
	v_mov_b64_e32 v[16:17], v[20:21]
	v_bfe_u32 v18, v20, 23, 1
; %bb.1786:                             ;   in Loop: Header=BB6_357 Depth=4
	s_or_b32 exec_lo, exec_lo, s13
	s_delay_alu instid0(VALU_DEP_2) | instskip(NEXT) | instid1(VALU_DEP_2)
	v_lshrrev_b64 v[16:17], 21, v[16:17]
	v_cmp_gt_i32_e32 vcc_lo, 32, v18
	v_min_i32_e32 v19, 31, v18
	v_cmp_eq_u32_e64 s13, 0, v18
	s_delay_alu instid0(VALU_DEP_2) | instskip(SKIP_1) | instid1(VALU_DEP_2)
	v_dual_cndmask_b32 v17, 0, v17, vcc_lo :: v_dual_lshlrev_b32 v19, 2, v19
	v_cndmask_b32_e32 v16, 3, v16, vcc_lo
	v_and_b32_e32 v19, 0xfc, v19
	s_delay_alu instid0(VALU_DEP_2) | instskip(NEXT) | instid1(VALU_DEP_2)
	v_cmp_eq_u64_e32 vcc_lo, 0, v[16:17]
	v_and_or_b32 v16, v16, 3, v19
	s_and_b32 s13, s13, vcc_lo
	s_delay_alu instid0(VALU_DEP_1) | instid1(SALU_CYCLE_1)
	v_cndmask_b32_e64 v16, v16, 0, s13
	s_delay_alu instid0(VALU_DEP_1)
	v_or_b32_e32 v83, v16, v84
.LBB6_1787:                             ;   in Loop: Header=BB6_357 Depth=4
	s_or_b32 exec_lo, exec_lo, s73
                                        ; implicit-def: $vgpr84
.LBB6_1788:                             ;   in Loop: Header=BB6_357 Depth=4
	s_and_not1_saveexec_b32 s13, s72
; %bb.1789:                             ;   in Loop: Header=BB6_357 Depth=4
	v_or_b32_e32 v83, 0x7b, v84
; %bb.1790:                             ;   in Loop: Header=BB6_357 Depth=4
	s_or_b32 exec_lo, exec_lo, s13
                                        ; implicit-def: $vgpr16
                                        ; implicit-def: $vgpr17
.LBB6_1791:                             ;   in Loop: Header=BB6_357 Depth=4
	s_and_not1_saveexec_b32 s13, s63
	s_cbranch_execz .LBB6_1797
; %bb.1792:                             ;   in Loop: Header=BB6_357 Depth=4
	s_mov_b32 s63, exec_lo
                                        ; implicit-def: $vgpr83
	v_cmpx_ne_u64_e32 0, v[20:21]
	s_xor_b32 s63, exec_lo, s63
; %bb.1793:                             ;   in Loop: Header=BB6_357 Depth=4
	v_or_b32_e32 v83, 0x7f, v17
                                        ; implicit-def: $vgpr16
; %bb.1794:                             ;   in Loop: Header=BB6_357 Depth=4
	s_and_not1_saveexec_b32 s63, s63
; %bb.1795:                             ;   in Loop: Header=BB6_357 Depth=4
	v_cmp_lt_i32_e32 vcc_lo, -1, v16
	v_mov_b32_e32 v16, 0x7c
	s_delay_alu instid0(VALU_DEP_1)
	v_cndmask_b32_e32 v83, 0xfc, v16, vcc_lo
; %bb.1796:                             ;   in Loop: Header=BB6_357 Depth=4
	s_or_b32 exec_lo, exec_lo, s63
.LBB6_1797:                             ;   in Loop: Header=BB6_357 Depth=4
	s_delay_alu instid0(SALU_CYCLE_1) | instskip(SKIP_4) | instid1(VALU_DEP_3)
	s_or_b32 exec_lo, exec_lo, s13
	v_and_b32_e32 v18, 0xff, v13
	v_dual_mov_b32 v20, v13 :: v_dual_mov_b32 v17, 0
	v_mov_b32_e32 v16, 0
	s_mov_b32 s63, exec_lo
	v_cmpx_ne_u16_e32 0, v18
	s_cbranch_execz .LBB6_1807
; %bb.1798:                             ;   in Loop: Header=BB6_357 Depth=4
	v_bfrev_b32_e32 v16, 1
	s_mov_b32 s72, exec_lo
	v_cmpx_ne_u16_e32 0x80, v18
	s_cbranch_execz .LBB6_1806
; %bb.1799:                             ;   in Loop: Header=BB6_357 Depth=4
	v_and_b32_e32 v16, 0x7c, v13
	v_and_b32_e32 v18, 3, v13
	s_delay_alu instid0(VALU_DEP_2) | instskip(SKIP_1) | instid1(SALU_CYCLE_1)
	v_cmp_ne_u32_e32 vcc_lo, 0x7c, v16
                                        ; implicit-def: $vgpr16
	s_and_saveexec_b32 s13, vcc_lo
	s_xor_b32 s13, exec_lo, s13
	s_cbranch_execz .LBB6_1803
; %bb.1800:                             ;   in Loop: Header=BB6_357 Depth=4
	v_bfe_u32 v16, v13, 2, 5
	s_mov_b32 s73, exec_lo
	s_delay_alu instid0(VALU_DEP_1)
	v_cmpx_eq_u32_e32 0, v16
; %bb.1801:                             ;   in Loop: Header=BB6_357 Depth=4
	v_clz_i32_u32_e32 v16, v18
	s_delay_alu instid0(VALU_DEP_1) | instskip(NEXT) | instid1(VALU_DEP_1)
	v_min_u32_e32 v16, 32, v16
	v_subrev_nc_u32_e32 v18, 29, v16
	s_delay_alu instid0(VALU_DEP_1) | instskip(NEXT) | instid1(VALU_DEP_1)
	v_lshlrev_b64_e32 v[18:19], v18, v[20:21]
	v_dual_sub_nc_u32 v16, 30, v16 :: v_dual_bitop2_b32 v18, 3, v18 bitop3:0x40
; %bb.1802:                             ;   in Loop: Header=BB6_357 Depth=4
	s_or_b32 exec_lo, exec_lo, s73
	v_lshlrev_b32_e32 v19, 24, v13
	s_delay_alu instid0(VALU_DEP_1) | instskip(NEXT) | instid1(VALU_DEP_1)
	v_and_b32_e32 v19, 0x80000000, v19
	v_lshl_add_u32 v16, v16, 23, v19
	s_delay_alu instid0(VALU_DEP_1) | instskip(NEXT) | instid1(VALU_DEP_1)
	v_lshl_or_b32 v16, v18, 21, v16
                                        ; implicit-def: $vgpr18
	v_add_nc_u32_e32 v16, 0x38000000, v16
.LBB6_1803:                             ;   in Loop: Header=BB6_357 Depth=4
	s_and_not1_saveexec_b32 s73, s13
; %bb.1804:                             ;   in Loop: Header=BB6_357 Depth=4
	v_bfe_i32 v16, v13, 0, 8
	v_cmp_eq_u32_e32 vcc_lo, 0, v18
	s_delay_alu instid0(VALU_DEP_2) | instskip(SKIP_1) | instid1(VALU_DEP_1)
	v_cmp_lt_i16_e64 s13, -1, v16
	v_mov_b32_e32 v16, 0x7f800000
	v_cndmask_b32_e64 v16, 0xff800000, v16, s13
	s_delay_alu instid0(VALU_DEP_1)
	v_cndmask_b32_e32 v16, 0x7f800001, v16, vcc_lo
; %bb.1805:                             ;   in Loop: Header=BB6_357 Depth=4
	s_or_b32 exec_lo, exec_lo, s73
.LBB6_1806:                             ;   in Loop: Header=BB6_357 Depth=4
	s_delay_alu instid0(SALU_CYCLE_1)
	s_or_b32 exec_lo, exec_lo, s72
.LBB6_1807:                             ;   in Loop: Header=BB6_357 Depth=4
	s_delay_alu instid0(SALU_CYCLE_1) | instskip(SKIP_2) | instid1(VALU_DEP_1)
	s_or_b32 exec_lo, exec_lo, s63
	v_and_b32_e32 v18, 0xff, v5
	s_mov_b32 s63, exec_lo
	v_cmpx_ne_u16_e32 0, v18
	s_cbranch_execz .LBB6_1817
; %bb.1808:                             ;   in Loop: Header=BB6_357 Depth=4
	v_bfrev_b32_e32 v17, 1
	s_mov_b32 s72, exec_lo
	v_cmpx_ne_u16_e32 0x80, v18
	s_cbranch_execz .LBB6_1816
; %bb.1809:                             ;   in Loop: Header=BB6_357 Depth=4
	v_and_b32_e32 v17, 0x7c, v5
	v_and_b32_e32 v18, 3, v5
	s_delay_alu instid0(VALU_DEP_2) | instskip(SKIP_1) | instid1(SALU_CYCLE_1)
	v_cmp_ne_u32_e32 vcc_lo, 0x7c, v17
                                        ; implicit-def: $vgpr17
	s_and_saveexec_b32 s13, vcc_lo
	s_xor_b32 s13, exec_lo, s13
	s_cbranch_execz .LBB6_1813
; %bb.1810:                             ;   in Loop: Header=BB6_357 Depth=4
	v_bfe_u32 v17, v5, 2, 5
	s_mov_b32 s73, exec_lo
	s_delay_alu instid0(VALU_DEP_1)
	v_cmpx_eq_u32_e32 0, v17
; %bb.1811:                             ;   in Loop: Header=BB6_357 Depth=4
	v_clz_i32_u32_e32 v17, v18
	v_dual_mov_b32 v18, v5 :: v_dual_mov_b32 v19, v21
	s_delay_alu instid0(VALU_DEP_2) | instskip(NEXT) | instid1(VALU_DEP_1)
	v_min_u32_e32 v17, 32, v17
	v_subrev_nc_u32_e32 v84, 29, v17
	s_delay_alu instid0(VALU_DEP_1) | instskip(NEXT) | instid1(VALU_DEP_1)
	v_lshlrev_b64_e32 v[18:19], v84, v[18:19]
	v_dual_sub_nc_u32 v17, 30, v17 :: v_dual_bitop2_b32 v18, 3, v18 bitop3:0x40
; %bb.1812:                             ;   in Loop: Header=BB6_357 Depth=4
	s_or_b32 exec_lo, exec_lo, s73
	v_lshlrev_b32_e32 v19, 24, v5
	s_delay_alu instid0(VALU_DEP_1) | instskip(NEXT) | instid1(VALU_DEP_1)
	v_and_b32_e32 v19, 0x80000000, v19
	v_lshl_add_u32 v17, v17, 23, v19
	s_delay_alu instid0(VALU_DEP_1) | instskip(NEXT) | instid1(VALU_DEP_1)
	v_lshl_or_b32 v17, v18, 21, v17
                                        ; implicit-def: $vgpr18
	v_add_nc_u32_e32 v17, 0x38000000, v17
.LBB6_1813:                             ;   in Loop: Header=BB6_357 Depth=4
	s_and_not1_saveexec_b32 s73, s13
; %bb.1814:                             ;   in Loop: Header=BB6_357 Depth=4
	v_bfe_i32 v17, v5, 0, 8
	v_cmp_eq_u32_e32 vcc_lo, 0, v18
	s_delay_alu instid0(VALU_DEP_2) | instskip(SKIP_1) | instid1(VALU_DEP_1)
	v_cmp_lt_i16_e64 s13, -1, v17
	v_mov_b32_e32 v17, 0x7f800000
	v_cndmask_b32_e64 v17, 0xff800000, v17, s13
	s_delay_alu instid0(VALU_DEP_1)
	v_cndmask_b32_e32 v17, 0x7f800001, v17, vcc_lo
; %bb.1815:                             ;   in Loop: Header=BB6_357 Depth=4
	s_or_b32 exec_lo, exec_lo, s73
.LBB6_1816:                             ;   in Loop: Header=BB6_357 Depth=4
	s_delay_alu instid0(SALU_CYCLE_1)
	s_or_b32 exec_lo, exec_lo, s72
.LBB6_1817:                             ;   in Loop: Header=BB6_357 Depth=4
	s_delay_alu instid0(SALU_CYCLE_1) | instskip(NEXT) | instid1(VALU_DEP_1)
	s_or_b32 exec_lo, exec_lo, s63
	v_dual_mul_f32 v18, v16, v17 :: v_dual_mov_b32 v85, v21
	s_delay_alu instid0(VALU_DEP_1) | instskip(SKIP_2) | instid1(VALU_DEP_2)
	v_dual_mov_b32 v17, v21 :: v_dual_lshrrev_b32 v19, 24, v18
	v_and_b32_e32 v84, 0x7f800000, v18
	v_and_b32_e32 v16, 0x7fffff, v18
	v_cmp_ne_u64_e32 vcc_lo, 0x7f800000, v[84:85]
                                        ; implicit-def: $vgpr84
	s_and_saveexec_b32 s13, vcc_lo
	s_delay_alu instid0(SALU_CYCLE_1)
	s_xor_b32 s63, exec_lo, s13
	s_cbranch_execz .LBB6_1831
; %bb.1818:                             ;   in Loop: Header=BB6_357 Depth=4
	v_and_b32_e32 v84, 0x7fffffff, v18
	v_mov_b32_e32 v85, v21
	s_delay_alu instid0(VALU_DEP_1) | instskip(SKIP_2) | instid1(SALU_CYCLE_1)
	v_cmp_gt_u64_e32 vcc_lo, 0x47600001, v[84:85]
	v_and_b32_e32 v85, 0x80, v19
                                        ; implicit-def: $vgpr84
	s_and_saveexec_b32 s13, vcc_lo
	s_xor_b32 s72, exec_lo, s13
	s_cbranch_execz .LBB6_1828
; %bb.1819:                             ;   in Loop: Header=BB6_357 Depth=4
	v_mov_b32_e32 v84, 0
	s_mov_b32 s73, exec_lo
	v_cmpx_ne_u32_e32 0, v18
	s_cbranch_execz .LBB6_1827
; %bb.1820:                             ;   in Loop: Header=BB6_357 Depth=4
	v_bfe_u32 v84, v18, 23, 8
	v_or_b32_e32 v19, 0x800000, v16
	s_delay_alu instid0(VALU_DEP_2) | instskip(SKIP_2) | instid1(VALU_DEP_2)
	v_cmp_gt_u32_e64 s13, 0x72, v84
	v_sub_nc_u32_e32 v18, 0x71, v84
	v_cmp_eq_u32_e32 vcc_lo, 0, v84
	v_dual_cndmask_b32 v18, 0, v18, s13 :: v_dual_cndmask_b32 v16, v19, v16, vcc_lo
	s_delay_alu instid0(VALU_DEP_1) | instskip(NEXT) | instid1(VALU_DEP_1)
	v_cndmask_b32_e64 v86, v18, 0x70, vcc_lo
	v_dual_add_nc_u32 v18, 21, v86 :: v_dual_add_nc_u32 v87, 20, v86
	s_delay_alu instid0(VALU_DEP_1) | instskip(NEXT) | instid1(VALU_DEP_2)
	v_lshlrev_b64_e64 v[18:19], v18, -1
	v_lshlrev_b64_e64 v[96:97], v87, 1
	s_delay_alu instid0(VALU_DEP_2) | instskip(SKIP_1) | instid1(VALU_DEP_4)
	v_bfi_b32 v18, v18, 0, v16
	v_lshrrev_b64 v[16:17], v86, v[16:17]
	v_bfi_b32 v19, v19, 0, 0
	s_delay_alu instid0(VALU_DEP_1) | instskip(NEXT) | instid1(VALU_DEP_3)
	v_cmp_eq_u64_e64 s13, v[18:19], v[96:97]
	v_mov_b64_e32 v[18:19], v[16:17]
	s_and_saveexec_b32 s74, s13
; %bb.1821:                             ;   in Loop: Header=BB6_357 Depth=4
	v_bfe_u32 v18, v16, 21, 1
	v_mov_b32_e32 v19, v21
	s_delay_alu instid0(VALU_DEP_1) | instskip(NEXT) | instid1(VALU_DEP_1)
	v_add_nc_u64_e32 v[18:19], v[16:17], v[18:19]
	v_add_nc_u64_e32 v[18:19], -1, v[18:19]
; %bb.1822:                             ;   in Loop: Header=BB6_357 Depth=4
	s_or_b32 exec_lo, exec_lo, s74
	v_add_nc_u32_e32 v17, 0xffffff81, v84
	v_lshrrev_b32_e32 v19, 23, v16
	s_mov_b32 s13, exec_lo
	s_delay_alu instid0(VALU_DEP_2) | instskip(NEXT) | instid1(VALU_DEP_1)
	v_cndmask_b32_e64 v17, v17, 0xffffff82, vcc_lo
	v_add3_u32 v84, v86, v17, v19
	v_and_b32_e32 v17, 0x1fffff, v18
                                        ; implicit-def: $vgpr18
	s_delay_alu instid0(VALU_DEP_2) | instskip(NEXT) | instid1(VALU_DEP_2)
	v_add_nc_u32_e32 v19, 14, v84
	v_add_nc_u32_e32 v16, v17, v16
	v_mov_b32_e32 v17, v21
	s_delay_alu instid0(VALU_DEP_3)
	v_cmpx_ne_u32_e32 0, v19
	s_xor_b32 s13, exec_lo, s13
; %bb.1823:                             ;   in Loop: Header=BB6_357 Depth=4
	s_delay_alu instid0(VALU_DEP_2) | instskip(SKIP_1) | instid1(VALU_DEP_1)
	v_cmp_lt_u64_e32 vcc_lo, 0xffffff, v[16:17]
	v_add_nc_u32_e32 v18, 15, v84
	v_cndmask_b32_e32 v18, v19, v18, vcc_lo
	v_cndmask_b32_e64 v19, 0, 1, vcc_lo
	s_delay_alu instid0(VALU_DEP_1)
	v_lshrrev_b64 v[16:17], v19, v[16:17]
; %bb.1824:                             ;   in Loop: Header=BB6_357 Depth=4
	s_and_not1_saveexec_b32 s13, s13
; %bb.1825:                             ;   in Loop: Header=BB6_357 Depth=4
	s_delay_alu instid0(VALU_DEP_1)
	v_bfe_u32 v18, v16, 23, 1
; %bb.1826:                             ;   in Loop: Header=BB6_357 Depth=4
	s_or_b32 exec_lo, exec_lo, s13
	s_delay_alu instid0(VALU_DEP_2) | instskip(NEXT) | instid1(VALU_DEP_2)
	v_lshrrev_b64 v[16:17], 21, v[16:17]
	v_cmp_gt_i32_e32 vcc_lo, 32, v18
	v_min_i32_e32 v19, 31, v18
	v_cmp_eq_u32_e64 s13, 0, v18
	s_delay_alu instid0(VALU_DEP_2) | instskip(SKIP_1) | instid1(VALU_DEP_2)
	v_dual_cndmask_b32 v17, 0, v17, vcc_lo :: v_dual_lshlrev_b32 v19, 2, v19
	v_cndmask_b32_e32 v16, 3, v16, vcc_lo
	v_and_b32_e32 v19, 0xfc, v19
	s_delay_alu instid0(VALU_DEP_2) | instskip(NEXT) | instid1(VALU_DEP_2)
	v_cmp_eq_u64_e32 vcc_lo, 0, v[16:17]
	v_and_or_b32 v16, v16, 3, v19
	s_and_b32 s13, s13, vcc_lo
	s_delay_alu instid0(VALU_DEP_1) | instid1(SALU_CYCLE_1)
	v_cndmask_b32_e64 v16, v16, 0, s13
	s_delay_alu instid0(VALU_DEP_1)
	v_or_b32_e32 v84, v16, v85
.LBB6_1827:                             ;   in Loop: Header=BB6_357 Depth=4
	s_or_b32 exec_lo, exec_lo, s73
                                        ; implicit-def: $vgpr85
.LBB6_1828:                             ;   in Loop: Header=BB6_357 Depth=4
	s_and_not1_saveexec_b32 s13, s72
; %bb.1829:                             ;   in Loop: Header=BB6_357 Depth=4
	v_or_b32_e32 v84, 0x7b, v85
; %bb.1830:                             ;   in Loop: Header=BB6_357 Depth=4
	s_or_b32 exec_lo, exec_lo, s13
                                        ; implicit-def: $vgpr18
                                        ; implicit-def: $vgpr16_vgpr17
                                        ; implicit-def: $vgpr19
.LBB6_1831:                             ;   in Loop: Header=BB6_357 Depth=4
	s_and_not1_saveexec_b32 s13, s63
	s_cbranch_execz .LBB6_1837
; %bb.1832:                             ;   in Loop: Header=BB6_357 Depth=4
	s_mov_b32 s63, exec_lo
                                        ; implicit-def: $vgpr84
	v_cmpx_ne_u64_e32 0, v[16:17]
	s_xor_b32 s63, exec_lo, s63
; %bb.1833:                             ;   in Loop: Header=BB6_357 Depth=4
	v_or_b32_e32 v84, 0x7f, v19
                                        ; implicit-def: $vgpr18
; %bb.1834:                             ;   in Loop: Header=BB6_357 Depth=4
	s_and_not1_saveexec_b32 s63, s63
; %bb.1835:                             ;   in Loop: Header=BB6_357 Depth=4
	v_cmp_lt_i32_e32 vcc_lo, -1, v18
	v_mov_b32_e32 v16, 0x7c
	s_delay_alu instid0(VALU_DEP_1)
	v_cndmask_b32_e32 v84, 0xfc, v16, vcc_lo
; %bb.1836:                             ;   in Loop: Header=BB6_357 Depth=4
	s_or_b32 exec_lo, exec_lo, s63
.LBB6_1837:                             ;   in Loop: Header=BB6_357 Depth=4
	s_delay_alu instid0(SALU_CYCLE_1) | instskip(SKIP_3) | instid1(VALU_DEP_2)
	s_or_b32 exec_lo, exec_lo, s13
	v_lshrrev_b16 v16, 8, v20
	v_dual_mov_b32 v18, 0 :: v_dual_mov_b32 v19, 0
	s_mov_b32 s63, exec_lo
	v_cmpx_ne_u16_e32 0, v16
	s_cbranch_execz .LBB6_1847
; %bb.1838:                             ;   in Loop: Header=BB6_357 Depth=4
	v_bfrev_b32_e32 v19, 1
	s_mov_b32 s72, exec_lo
	v_cmpx_ne_u16_e32 0x80, v16
	s_cbranch_execz .LBB6_1846
; %bb.1839:                             ;   in Loop: Header=BB6_357 Depth=4
	v_and_b32_e32 v85, 0xffff, v16
	s_delay_alu instid0(VALU_DEP_1) | instskip(SKIP_1) | instid1(VALU_DEP_2)
	v_and_b32_e32 v19, 0x7c, v85
	v_and_b32_e32 v17, 3, v85
	v_cmp_ne_u32_e32 vcc_lo, 0x7c, v19
                                        ; implicit-def: $vgpr19
	s_and_saveexec_b32 s13, vcc_lo
	s_delay_alu instid0(SALU_CYCLE_1)
	s_xor_b32 s13, exec_lo, s13
	s_cbranch_execz .LBB6_1843
; %bb.1840:                             ;   in Loop: Header=BB6_357 Depth=4
	v_bfe_u32 v19, v85, 2, 5
	s_mov_b32 s73, exec_lo
	s_delay_alu instid0(VALU_DEP_1)
	v_cmpx_eq_u32_e32 0, v19
	s_cbranch_execz .LBB6_1842
; %bb.1841:                             ;   in Loop: Header=BB6_357 Depth=4
	v_clz_i32_u32_e32 v17, v17
	s_delay_alu instid0(VALU_DEP_1) | instskip(SKIP_1) | instid1(VALU_DEP_2)
	v_min_u32_e32 v19, 32, v17
	v_mov_b32_e32 v17, v21
	v_subrev_nc_u32_e32 v85, 29, v19
	v_sub_nc_u32_e32 v19, 30, v19
	s_delay_alu instid0(VALU_DEP_2) | instskip(NEXT) | instid1(VALU_DEP_1)
	v_lshlrev_b64_e32 v[16:17], v85, v[16:17]
	v_and_b32_e32 v17, 3, v16
.LBB6_1842:                             ;   in Loop: Header=BB6_357 Depth=4
	s_or_b32 exec_lo, exec_lo, s73
	v_lshlrev_b32_e32 v16, 16, v20
	s_delay_alu instid0(VALU_DEP_1) | instskip(NEXT) | instid1(VALU_DEP_1)
	v_and_b32_e32 v16, 0x80000000, v16
	v_lshl_add_u32 v16, v19, 23, v16
	s_delay_alu instid0(VALU_DEP_1) | instskip(NEXT) | instid1(VALU_DEP_1)
	v_lshl_or_b32 v16, v17, 21, v16
                                        ; implicit-def: $vgpr17
	v_add_nc_u32_e32 v19, 0x38000000, v16
.LBB6_1843:                             ;   in Loop: Header=BB6_357 Depth=4
	s_and_not1_saveexec_b32 s73, s13
; %bb.1844:                             ;   in Loop: Header=BB6_357 Depth=4
	v_cmp_lt_i16_e64 s13, -1, v20
	v_mov_b32_e32 v16, 0x7f800000
	v_cmp_eq_u32_e32 vcc_lo, 0, v17
	s_delay_alu instid0(VALU_DEP_2) | instskip(NEXT) | instid1(VALU_DEP_1)
	v_cndmask_b32_e64 v16, 0xff800000, v16, s13
	v_cndmask_b32_e32 v19, 0x7f800001, v16, vcc_lo
; %bb.1845:                             ;   in Loop: Header=BB6_357 Depth=4
	s_or_b32 exec_lo, exec_lo, s73
.LBB6_1846:                             ;   in Loop: Header=BB6_357 Depth=4
	s_delay_alu instid0(SALU_CYCLE_1)
	s_or_b32 exec_lo, exec_lo, s72
.LBB6_1847:                             ;   in Loop: Header=BB6_357 Depth=4
	s_delay_alu instid0(SALU_CYCLE_1) | instskip(SKIP_2) | instid1(VALU_DEP_1)
	s_or_b32 exec_lo, exec_lo, s63
	v_lshrrev_b16 v16, 8, v5
	s_mov_b32 s63, exec_lo
	v_cmpx_ne_u16_e32 0, v16
	s_cbranch_execz .LBB6_1857
; %bb.1848:                             ;   in Loop: Header=BB6_357 Depth=4
	v_bfrev_b32_e32 v18, 1
	s_mov_b32 s72, exec_lo
	v_cmpx_ne_u16_e32 0x80, v16
	s_cbranch_execz .LBB6_1856
; %bb.1849:                             ;   in Loop: Header=BB6_357 Depth=4
	v_and_b32_e32 v20, 0xffff, v16
	s_delay_alu instid0(VALU_DEP_1) | instskip(SKIP_1) | instid1(VALU_DEP_2)
	v_and_b32_e32 v18, 0x7c, v20
	v_and_b32_e32 v17, 3, v20
	v_cmp_ne_u32_e32 vcc_lo, 0x7c, v18
                                        ; implicit-def: $vgpr18
	s_and_saveexec_b32 s13, vcc_lo
	s_delay_alu instid0(SALU_CYCLE_1)
	s_xor_b32 s13, exec_lo, s13
	s_cbranch_execz .LBB6_1853
; %bb.1850:                             ;   in Loop: Header=BB6_357 Depth=4
	v_bfe_u32 v18, v20, 2, 5
	s_mov_b32 s73, exec_lo
	s_delay_alu instid0(VALU_DEP_1)
	v_cmpx_eq_u32_e32 0, v18
	s_cbranch_execz .LBB6_1852
; %bb.1851:                             ;   in Loop: Header=BB6_357 Depth=4
	v_clz_i32_u32_e32 v17, v17
	s_delay_alu instid0(VALU_DEP_1) | instskip(SKIP_1) | instid1(VALU_DEP_2)
	v_min_u32_e32 v18, 32, v17
	v_mov_b32_e32 v17, v21
	v_subrev_nc_u32_e32 v20, 29, v18
	v_sub_nc_u32_e32 v18, 30, v18
	s_delay_alu instid0(VALU_DEP_2) | instskip(NEXT) | instid1(VALU_DEP_1)
	v_lshlrev_b64_e32 v[16:17], v20, v[16:17]
	v_and_b32_e32 v17, 3, v16
.LBB6_1852:                             ;   in Loop: Header=BB6_357 Depth=4
	s_or_b32 exec_lo, exec_lo, s73
	v_lshlrev_b32_e32 v16, 16, v5
	s_delay_alu instid0(VALU_DEP_1) | instskip(NEXT) | instid1(VALU_DEP_1)
	v_and_b32_e32 v16, 0x80000000, v16
	v_lshl_add_u32 v16, v18, 23, v16
	s_delay_alu instid0(VALU_DEP_1) | instskip(NEXT) | instid1(VALU_DEP_1)
	v_lshl_or_b32 v16, v17, 21, v16
                                        ; implicit-def: $vgpr17
	v_add_nc_u32_e32 v18, 0x38000000, v16
.LBB6_1853:                             ;   in Loop: Header=BB6_357 Depth=4
	s_and_not1_saveexec_b32 s73, s13
; %bb.1854:                             ;   in Loop: Header=BB6_357 Depth=4
	v_cmp_lt_i16_e64 s13, -1, v5
	v_mov_b32_e32 v16, 0x7f800000
	v_cmp_eq_u32_e32 vcc_lo, 0, v17
	s_delay_alu instid0(VALU_DEP_2) | instskip(NEXT) | instid1(VALU_DEP_1)
	v_cndmask_b32_e64 v16, 0xff800000, v16, s13
	v_cndmask_b32_e32 v18, 0x7f800001, v16, vcc_lo
; %bb.1855:                             ;   in Loop: Header=BB6_357 Depth=4
	s_or_b32 exec_lo, exec_lo, s73
.LBB6_1856:                             ;   in Loop: Header=BB6_357 Depth=4
	s_delay_alu instid0(SALU_CYCLE_1)
	s_or_b32 exec_lo, exec_lo, s72
.LBB6_1857:                             ;   in Loop: Header=BB6_357 Depth=4
	s_delay_alu instid0(SALU_CYCLE_1) | instskip(NEXT) | instid1(VALU_DEP_1)
	s_or_b32 exec_lo, exec_lo, s63
	v_dual_mul_f32 v16, v19, v18 :: v_dual_mov_b32 v19, v21
                                        ; implicit-def: $vgpr85
	s_mov_b32 s13, exec_lo
	s_delay_alu instid0(VALU_DEP_1) | instskip(SKIP_2) | instid1(VALU_DEP_3)
	v_and_b32_e32 v18, 0x7f800000, v16
	v_and_b32_e32 v20, 0x7fffff, v16
	v_lshrrev_b32_e32 v17, 24, v16
	v_cmpx_ne_u64_e32 0x7f800000, v[18:19]
	s_xor_b32 s63, exec_lo, s13
	s_cbranch_execz .LBB6_1871
; %bb.1858:                             ;   in Loop: Header=BB6_357 Depth=4
	v_and_b32_e32 v18, 0x7fffffff, v16
	v_mov_b32_e32 v19, v21
	v_and_b32_e32 v86, 0x80, v17
                                        ; implicit-def: $vgpr85
	s_mov_b32 s13, exec_lo
	s_delay_alu instid0(VALU_DEP_2)
	v_cmpx_gt_u64_e32 0x47600001, v[18:19]
	s_xor_b32 s72, exec_lo, s13
	s_cbranch_execz .LBB6_1868
; %bb.1859:                             ;   in Loop: Header=BB6_357 Depth=4
	v_mov_b32_e32 v85, 0
	s_mov_b32 s73, exec_lo
	v_cmpx_ne_u32_e32 0, v16
	s_cbranch_execz .LBB6_1867
; %bb.1860:                             ;   in Loop: Header=BB6_357 Depth=4
	v_bfe_u32 v85, v16, 23, 8
	v_or_b32_e32 v17, 0x800000, v20
	s_delay_alu instid0(VALU_DEP_2) | instskip(SKIP_2) | instid1(VALU_DEP_2)
	v_cmp_gt_u32_e64 s13, 0x72, v85
	v_sub_nc_u32_e32 v16, 0x71, v85
	v_cmp_eq_u32_e32 vcc_lo, 0, v85
	v_cndmask_b32_e64 v16, 0, v16, s13
	s_delay_alu instid0(VALU_DEP_1) | instskip(SKIP_1) | instid1(VALU_DEP_2)
	v_cndmask_b32_e64 v87, v16, 0x70, vcc_lo
	v_cndmask_b32_e32 v16, v17, v20, vcc_lo
	v_dual_mov_b32 v17, v21 :: v_dual_add_nc_u32 v18, 21, v87
	v_add_nc_u32_e32 v20, 20, v87
	s_delay_alu instid0(VALU_DEP_2) | instskip(NEXT) | instid1(VALU_DEP_2)
	v_lshlrev_b64_e64 v[18:19], v18, -1
	v_lshlrev_b64_e64 v[96:97], v20, 1
	s_delay_alu instid0(VALU_DEP_2) | instskip(SKIP_1) | instid1(VALU_DEP_4)
	v_bfi_b32 v18, v18, 0, v16
	v_lshrrev_b64 v[16:17], v87, v[16:17]
	v_bfi_b32 v19, v19, 0, 0
	s_delay_alu instid0(VALU_DEP_1) | instskip(NEXT) | instid1(VALU_DEP_3)
	v_cmp_eq_u64_e64 s13, v[18:19], v[96:97]
	v_mov_b64_e32 v[18:19], v[16:17]
	s_and_saveexec_b32 s74, s13
; %bb.1861:                             ;   in Loop: Header=BB6_357 Depth=4
	v_bfe_u32 v18, v16, 21, 1
	v_mov_b32_e32 v19, v21
	s_delay_alu instid0(VALU_DEP_1) | instskip(NEXT) | instid1(VALU_DEP_1)
	v_add_nc_u64_e32 v[18:19], v[16:17], v[18:19]
	v_add_nc_u64_e32 v[18:19], -1, v[18:19]
; %bb.1862:                             ;   in Loop: Header=BB6_357 Depth=4
	s_or_b32 exec_lo, exec_lo, s74
	v_add_nc_u32_e32 v17, 0xffffff81, v85
	v_lshrrev_b32_e32 v19, 23, v16
	s_mov_b32 s13, exec_lo
	s_delay_alu instid0(VALU_DEP_2) | instskip(NEXT) | instid1(VALU_DEP_1)
	v_cndmask_b32_e64 v17, v17, 0xffffff82, vcc_lo
	v_add3_u32 v85, v87, v17, v19
	v_and_b32_e32 v17, 0x1fffff, v18
                                        ; implicit-def: $vgpr18
	s_delay_alu instid0(VALU_DEP_1) | instskip(NEXT) | instid1(VALU_DEP_1)
	v_dual_add_nc_u32 v19, 14, v85 :: v_dual_add_nc_u32 v20, v17, v16
                                        ; implicit-def: $vgpr16_vgpr17
	v_cmpx_ne_u32_e32 0, v19
	s_xor_b32 s13, exec_lo, s13
; %bb.1863:                             ;   in Loop: Header=BB6_357 Depth=4
	s_delay_alu instid0(VALU_DEP_2) | instskip(SKIP_1) | instid1(VALU_DEP_1)
	v_cmp_lt_u64_e32 vcc_lo, 0xffffff, v[20:21]
	v_add_nc_u32_e32 v16, 15, v85
	v_cndmask_b32_e32 v18, v19, v16, vcc_lo
	v_cndmask_b32_e64 v16, 0, 1, vcc_lo
	s_delay_alu instid0(VALU_DEP_1)
	v_lshrrev_b64 v[16:17], v16, v[20:21]
; %bb.1864:                             ;   in Loop: Header=BB6_357 Depth=4
	s_and_not1_saveexec_b32 s13, s13
; %bb.1865:                             ;   in Loop: Header=BB6_357 Depth=4
	v_mov_b64_e32 v[16:17], v[20:21]
	v_bfe_u32 v18, v20, 23, 1
; %bb.1866:                             ;   in Loop: Header=BB6_357 Depth=4
	s_or_b32 exec_lo, exec_lo, s13
	s_delay_alu instid0(VALU_DEP_2) | instskip(NEXT) | instid1(VALU_DEP_2)
	v_lshrrev_b64 v[16:17], 21, v[16:17]
	v_cmp_gt_i32_e32 vcc_lo, 32, v18
	v_min_i32_e32 v19, 31, v18
	v_cmp_eq_u32_e64 s13, 0, v18
	s_delay_alu instid0(VALU_DEP_2) | instskip(SKIP_1) | instid1(VALU_DEP_2)
	v_dual_cndmask_b32 v17, 0, v17, vcc_lo :: v_dual_lshlrev_b32 v19, 2, v19
	v_cndmask_b32_e32 v16, 3, v16, vcc_lo
	v_and_b32_e32 v19, 0xfc, v19
	s_delay_alu instid0(VALU_DEP_2) | instskip(NEXT) | instid1(VALU_DEP_2)
	v_cmp_eq_u64_e32 vcc_lo, 0, v[16:17]
	v_and_or_b32 v16, v16, 3, v19
	s_and_b32 s13, s13, vcc_lo
	s_delay_alu instid0(VALU_DEP_1) | instid1(SALU_CYCLE_1)
	v_cndmask_b32_e64 v16, v16, 0, s13
	s_delay_alu instid0(VALU_DEP_1)
	v_or_b32_e32 v85, v16, v86
.LBB6_1867:                             ;   in Loop: Header=BB6_357 Depth=4
	s_or_b32 exec_lo, exec_lo, s73
                                        ; implicit-def: $vgpr86
.LBB6_1868:                             ;   in Loop: Header=BB6_357 Depth=4
	s_and_not1_saveexec_b32 s13, s72
; %bb.1869:                             ;   in Loop: Header=BB6_357 Depth=4
	v_or_b32_e32 v85, 0x7b, v86
; %bb.1870:                             ;   in Loop: Header=BB6_357 Depth=4
	s_or_b32 exec_lo, exec_lo, s13
                                        ; implicit-def: $vgpr16
                                        ; implicit-def: $vgpr17
.LBB6_1871:                             ;   in Loop: Header=BB6_357 Depth=4
	s_and_not1_saveexec_b32 s13, s63
	s_cbranch_execz .LBB6_1877
; %bb.1872:                             ;   in Loop: Header=BB6_357 Depth=4
	s_mov_b32 s63, exec_lo
                                        ; implicit-def: $vgpr85
	v_cmpx_ne_u64_e32 0, v[20:21]
	s_xor_b32 s63, exec_lo, s63
; %bb.1873:                             ;   in Loop: Header=BB6_357 Depth=4
	v_or_b32_e32 v85, 0x7f, v17
                                        ; implicit-def: $vgpr16
; %bb.1874:                             ;   in Loop: Header=BB6_357 Depth=4
	s_and_not1_saveexec_b32 s63, s63
; %bb.1875:                             ;   in Loop: Header=BB6_357 Depth=4
	v_cmp_lt_i32_e32 vcc_lo, -1, v16
	v_mov_b32_e32 v16, 0x7c
	s_delay_alu instid0(VALU_DEP_1)
	v_cndmask_b32_e32 v85, 0xfc, v16, vcc_lo
; %bb.1876:                             ;   in Loop: Header=BB6_357 Depth=4
	s_or_b32 exec_lo, exec_lo, s63
.LBB6_1877:                             ;   in Loop: Header=BB6_357 Depth=4
	s_delay_alu instid0(SALU_CYCLE_1) | instskip(SKIP_3) | instid1(VALU_DEP_2)
	s_or_b32 exec_lo, exec_lo, s13
	v_dual_mov_b32 v17, 0 :: v_dual_lshrrev_b32 v16, 16, v13
	v_mov_b32_e32 v18, 0
	s_mov_b32 s63, exec_lo
	v_and_b32_e32 v19, 0xff, v16
	s_delay_alu instid0(VALU_DEP_1)
	v_cmpx_ne_u16_e32 0, v19
	s_cbranch_execz .LBB6_1887
; %bb.1878:                             ;   in Loop: Header=BB6_357 Depth=4
	v_bfrev_b32_e32 v18, 1
	s_mov_b32 s72, exec_lo
	v_cmpx_ne_u16_e32 0x80, v19
	s_cbranch_execz .LBB6_1886
; %bb.1879:                             ;   in Loop: Header=BB6_357 Depth=4
	v_and_b32_e32 v18, 0x7c0000, v13
	v_bfe_u32 v19, v13, 16, 2
	s_delay_alu instid0(VALU_DEP_2) | instskip(SKIP_1) | instid1(SALU_CYCLE_1)
	v_cmp_ne_u32_e32 vcc_lo, 0x7c0000, v18
                                        ; implicit-def: $vgpr18
	s_and_saveexec_b32 s13, vcc_lo
	s_xor_b32 s13, exec_lo, s13
	s_cbranch_execz .LBB6_1883
; %bb.1880:                             ;   in Loop: Header=BB6_357 Depth=4
	v_bfe_u32 v18, v13, 18, 5
	s_mov_b32 s73, exec_lo
	s_delay_alu instid0(VALU_DEP_1)
	v_cmpx_eq_u32_e32 0, v18
; %bb.1881:                             ;   in Loop: Header=BB6_357 Depth=4
	v_clz_i32_u32_e32 v18, v19
	s_delay_alu instid0(VALU_DEP_1) | instskip(NEXT) | instid1(VALU_DEP_1)
	v_min_u32_e32 v18, 32, v18
	v_subrev_nc_u32_e32 v19, 29, v18
	v_sub_nc_u32_e32 v18, 30, v18
	s_delay_alu instid0(VALU_DEP_2) | instskip(NEXT) | instid1(VALU_DEP_1)
	v_lshlrev_b64_e32 v[86:87], v19, v[16:17]
	v_and_b32_e32 v19, 3, v86
; %bb.1882:                             ;   in Loop: Header=BB6_357 Depth=4
	s_or_b32 exec_lo, exec_lo, s73
	v_lshlrev_b32_e32 v16, 24, v16
	s_delay_alu instid0(VALU_DEP_1) | instskip(NEXT) | instid1(VALU_DEP_1)
	v_and_b32_e32 v16, 0x80000000, v16
	v_lshl_add_u32 v16, v18, 23, v16
	s_delay_alu instid0(VALU_DEP_1) | instskip(NEXT) | instid1(VALU_DEP_1)
	v_lshl_or_b32 v16, v19, 21, v16
                                        ; implicit-def: $vgpr19
	v_add_nc_u32_e32 v18, 0x38000000, v16
                                        ; implicit-def: $vgpr16
.LBB6_1883:                             ;   in Loop: Header=BB6_357 Depth=4
	s_and_not1_saveexec_b32 s73, s13
; %bb.1884:                             ;   in Loop: Header=BB6_357 Depth=4
	v_bfe_i32 v16, v16, 0, 8
	v_cmp_eq_u32_e32 vcc_lo, 0, v19
	s_delay_alu instid0(VALU_DEP_2) | instskip(SKIP_1) | instid1(VALU_DEP_1)
	v_cmp_lt_i16_e64 s13, -1, v16
	v_mov_b32_e32 v16, 0x7f800000
	v_cndmask_b32_e64 v16, 0xff800000, v16, s13
	s_delay_alu instid0(VALU_DEP_1)
	v_cndmask_b32_e32 v18, 0x7f800001, v16, vcc_lo
; %bb.1885:                             ;   in Loop: Header=BB6_357 Depth=4
	s_or_b32 exec_lo, exec_lo, s73
.LBB6_1886:                             ;   in Loop: Header=BB6_357 Depth=4
	s_delay_alu instid0(SALU_CYCLE_1)
	s_or_b32 exec_lo, exec_lo, s72
.LBB6_1887:                             ;   in Loop: Header=BB6_357 Depth=4
	s_delay_alu instid0(SALU_CYCLE_1) | instskip(SKIP_2) | instid1(VALU_DEP_1)
	s_or_b32 exec_lo, exec_lo, s63
	v_lshrrev_b32_e32 v16, 16, v5
	s_mov_b32 s63, exec_lo
	v_and_b32_e32 v19, 0xff, v16
	s_delay_alu instid0(VALU_DEP_1)
	v_cmpx_ne_u16_e32 0, v19
	s_cbranch_execz .LBB6_1897
; %bb.1888:                             ;   in Loop: Header=BB6_357 Depth=4
	v_bfrev_b32_e32 v17, 1
	s_mov_b32 s72, exec_lo
	v_cmpx_ne_u16_e32 0x80, v19
	s_cbranch_execz .LBB6_1896
; %bb.1889:                             ;   in Loop: Header=BB6_357 Depth=4
	v_and_b32_e32 v17, 0x7c0000, v5
	v_bfe_u32 v19, v5, 16, 2
	s_delay_alu instid0(VALU_DEP_2) | instskip(SKIP_1) | instid1(SALU_CYCLE_1)
	v_cmp_ne_u32_e32 vcc_lo, 0x7c0000, v17
                                        ; implicit-def: $vgpr17
	s_and_saveexec_b32 s13, vcc_lo
	s_xor_b32 s13, exec_lo, s13
	s_cbranch_execz .LBB6_1893
; %bb.1890:                             ;   in Loop: Header=BB6_357 Depth=4
	v_bfe_u32 v17, v5, 18, 5
	s_mov_b32 s73, exec_lo
	s_delay_alu instid0(VALU_DEP_1)
	v_cmpx_eq_u32_e32 0, v17
; %bb.1891:                             ;   in Loop: Header=BB6_357 Depth=4
	v_clz_i32_u32_e32 v17, v19
	s_delay_alu instid0(VALU_DEP_1) | instskip(NEXT) | instid1(VALU_DEP_1)
	v_min_u32_e32 v17, 32, v17
	v_subrev_nc_u32_e32 v19, 29, v17
	s_delay_alu instid0(VALU_DEP_1) | instskip(NEXT) | instid1(VALU_DEP_1)
	v_lshlrev_b64_e32 v[86:87], v19, v[16:17]
	v_dual_sub_nc_u32 v17, 30, v17 :: v_dual_bitop2_b32 v19, 3, v86 bitop3:0x40
; %bb.1892:                             ;   in Loop: Header=BB6_357 Depth=4
	s_or_b32 exec_lo, exec_lo, s73
	v_lshlrev_b32_e32 v16, 24, v16
	s_delay_alu instid0(VALU_DEP_1) | instskip(NEXT) | instid1(VALU_DEP_1)
	v_and_b32_e32 v16, 0x80000000, v16
	v_lshl_add_u32 v16, v17, 23, v16
	s_delay_alu instid0(VALU_DEP_1) | instskip(NEXT) | instid1(VALU_DEP_1)
	v_lshl_or_b32 v16, v19, 21, v16
                                        ; implicit-def: $vgpr19
	v_add_nc_u32_e32 v17, 0x38000000, v16
                                        ; implicit-def: $vgpr16
.LBB6_1893:                             ;   in Loop: Header=BB6_357 Depth=4
	s_and_not1_saveexec_b32 s73, s13
; %bb.1894:                             ;   in Loop: Header=BB6_357 Depth=4
	v_bfe_i32 v16, v16, 0, 8
	v_cmp_eq_u32_e32 vcc_lo, 0, v19
	s_delay_alu instid0(VALU_DEP_2) | instskip(SKIP_1) | instid1(VALU_DEP_1)
	v_cmp_lt_i16_e64 s13, -1, v16
	v_mov_b32_e32 v16, 0x7f800000
	v_cndmask_b32_e64 v16, 0xff800000, v16, s13
	s_delay_alu instid0(VALU_DEP_1)
	v_cndmask_b32_e32 v17, 0x7f800001, v16, vcc_lo
; %bb.1895:                             ;   in Loop: Header=BB6_357 Depth=4
	s_or_b32 exec_lo, exec_lo, s73
.LBB6_1896:                             ;   in Loop: Header=BB6_357 Depth=4
	s_delay_alu instid0(SALU_CYCLE_1)
	s_or_b32 exec_lo, exec_lo, s72
.LBB6_1897:                             ;   in Loop: Header=BB6_357 Depth=4
	s_delay_alu instid0(SALU_CYCLE_1) | instskip(NEXT) | instid1(VALU_DEP_1)
	s_or_b32 exec_lo, exec_lo, s63
	v_dual_mul_f32 v16, v18, v17 :: v_dual_mov_b32 v19, v21
                                        ; implicit-def: $vgpr17
	s_delay_alu instid0(VALU_DEP_1) | instskip(SKIP_1) | instid1(VALU_DEP_2)
	v_and_b32_e32 v18, 0x7f800000, v16
	v_and_b32_e32 v20, 0x7fffff, v16
	v_cmp_ne_u64_e32 vcc_lo, 0x7f800000, v[18:19]
	v_lshrrev_b32_e32 v18, 24, v16
	s_and_saveexec_b32 s13, vcc_lo
	s_delay_alu instid0(SALU_CYCLE_1)
	s_xor_b32 s63, exec_lo, s13
	s_cbranch_execz .LBB6_1911
; %bb.1898:                             ;   in Loop: Header=BB6_357 Depth=4
	v_and_b32_e32 v86, 0x7fffffff, v16
	v_mov_b32_e32 v87, v21
                                        ; implicit-def: $vgpr17
	s_delay_alu instid0(VALU_DEP_1) | instskip(SKIP_2) | instid1(SALU_CYCLE_1)
	v_cmp_gt_u64_e32 vcc_lo, 0x47600001, v[86:87]
	v_and_b32_e32 v86, 0x80, v18
	s_and_saveexec_b32 s13, vcc_lo
	s_xor_b32 s72, exec_lo, s13
	s_cbranch_execz .LBB6_1908
; %bb.1899:                             ;   in Loop: Header=BB6_357 Depth=4
	v_mov_b32_e32 v17, 0
	s_mov_b32 s73, exec_lo
	v_cmpx_ne_u32_e32 0, v16
	s_cbranch_execz .LBB6_1907
; %bb.1900:                             ;   in Loop: Header=BB6_357 Depth=4
	v_bfe_u32 v87, v16, 23, 8
	v_or_b32_e32 v17, 0x800000, v20
	s_delay_alu instid0(VALU_DEP_2) | instskip(SKIP_2) | instid1(VALU_DEP_2)
	v_cmp_gt_u32_e64 s13, 0x72, v87
	v_sub_nc_u32_e32 v16, 0x71, v87
	v_cmp_eq_u32_e32 vcc_lo, 0, v87
	v_cndmask_b32_e64 v16, 0, v16, s13
	s_delay_alu instid0(VALU_DEP_1) | instskip(SKIP_1) | instid1(VALU_DEP_2)
	v_cndmask_b32_e64 v96, v16, 0x70, vcc_lo
	v_cndmask_b32_e32 v16, v17, v20, vcc_lo
	v_dual_mov_b32 v17, v21 :: v_dual_add_nc_u32 v18, 21, v96
	v_add_nc_u32_e32 v20, 20, v96
	s_delay_alu instid0(VALU_DEP_2) | instskip(NEXT) | instid1(VALU_DEP_2)
	v_lshlrev_b64_e64 v[18:19], v18, -1
	v_lshlrev_b64_e64 v[98:99], v20, 1
	s_delay_alu instid0(VALU_DEP_2) | instskip(SKIP_1) | instid1(VALU_DEP_4)
	v_bfi_b32 v18, v18, 0, v16
	v_lshrrev_b64 v[16:17], v96, v[16:17]
	v_bfi_b32 v19, v19, 0, 0
	s_delay_alu instid0(VALU_DEP_1) | instskip(NEXT) | instid1(VALU_DEP_3)
	v_cmp_eq_u64_e64 s13, v[18:19], v[98:99]
	v_mov_b64_e32 v[18:19], v[16:17]
	s_and_saveexec_b32 s74, s13
; %bb.1901:                             ;   in Loop: Header=BB6_357 Depth=4
	v_bfe_u32 v18, v16, 21, 1
	v_mov_b32_e32 v19, v21
	s_delay_alu instid0(VALU_DEP_1) | instskip(NEXT) | instid1(VALU_DEP_1)
	v_add_nc_u64_e32 v[18:19], v[16:17], v[18:19]
	v_add_nc_u64_e32 v[18:19], -1, v[18:19]
; %bb.1902:                             ;   in Loop: Header=BB6_357 Depth=4
	s_or_b32 exec_lo, exec_lo, s74
	v_add_nc_u32_e32 v17, 0xffffff81, v87
	v_lshrrev_b32_e32 v19, 23, v16
	s_mov_b32 s13, exec_lo
	s_delay_alu instid0(VALU_DEP_2) | instskip(NEXT) | instid1(VALU_DEP_1)
	v_cndmask_b32_e64 v17, v17, 0xffffff82, vcc_lo
	v_add3_u32 v87, v96, v17, v19
	v_and_b32_e32 v17, 0x1fffff, v18
                                        ; implicit-def: $vgpr18
	s_delay_alu instid0(VALU_DEP_1) | instskip(NEXT) | instid1(VALU_DEP_1)
	v_dual_add_nc_u32 v19, 14, v87 :: v_dual_add_nc_u32 v20, v17, v16
                                        ; implicit-def: $vgpr16_vgpr17
	v_cmpx_ne_u32_e32 0, v19
	s_xor_b32 s13, exec_lo, s13
; %bb.1903:                             ;   in Loop: Header=BB6_357 Depth=4
	s_delay_alu instid0(VALU_DEP_2) | instskip(SKIP_1) | instid1(VALU_DEP_1)
	v_cmp_lt_u64_e32 vcc_lo, 0xffffff, v[20:21]
	v_add_nc_u32_e32 v16, 15, v87
	v_cndmask_b32_e32 v18, v19, v16, vcc_lo
	v_cndmask_b32_e64 v16, 0, 1, vcc_lo
	s_delay_alu instid0(VALU_DEP_1)
	v_lshrrev_b64 v[16:17], v16, v[20:21]
; %bb.1904:                             ;   in Loop: Header=BB6_357 Depth=4
	s_and_not1_saveexec_b32 s13, s13
; %bb.1905:                             ;   in Loop: Header=BB6_357 Depth=4
	v_mov_b64_e32 v[16:17], v[20:21]
	v_bfe_u32 v18, v20, 23, 1
; %bb.1906:                             ;   in Loop: Header=BB6_357 Depth=4
	s_or_b32 exec_lo, exec_lo, s13
	s_delay_alu instid0(VALU_DEP_2) | instskip(NEXT) | instid1(VALU_DEP_2)
	v_lshrrev_b64 v[16:17], 21, v[16:17]
	v_cmp_gt_i32_e32 vcc_lo, 32, v18
	v_min_i32_e32 v19, 31, v18
	v_cmp_eq_u32_e64 s13, 0, v18
	s_delay_alu instid0(VALU_DEP_2) | instskip(SKIP_1) | instid1(VALU_DEP_2)
	v_dual_cndmask_b32 v17, 0, v17, vcc_lo :: v_dual_lshlrev_b32 v19, 2, v19
	v_cndmask_b32_e32 v16, 3, v16, vcc_lo
	v_and_b32_e32 v19, 0xfc, v19
	s_delay_alu instid0(VALU_DEP_2) | instskip(NEXT) | instid1(VALU_DEP_2)
	v_cmp_eq_u64_e32 vcc_lo, 0, v[16:17]
	v_and_or_b32 v16, v16, 3, v19
	s_and_b32 s13, s13, vcc_lo
	s_delay_alu instid0(VALU_DEP_1) | instid1(SALU_CYCLE_1)
	v_cndmask_b32_e64 v16, v16, 0, s13
	s_delay_alu instid0(VALU_DEP_1)
	v_or_b32_e32 v17, v16, v86
.LBB6_1907:                             ;   in Loop: Header=BB6_357 Depth=4
	s_or_b32 exec_lo, exec_lo, s73
                                        ; implicit-def: $vgpr86
.LBB6_1908:                             ;   in Loop: Header=BB6_357 Depth=4
	s_and_not1_saveexec_b32 s13, s72
; %bb.1909:                             ;   in Loop: Header=BB6_357 Depth=4
	v_or_b32_e32 v17, 0x7b, v86
; %bb.1910:                             ;   in Loop: Header=BB6_357 Depth=4
	s_or_b32 exec_lo, exec_lo, s13
                                        ; implicit-def: $vgpr16
                                        ; implicit-def: $vgpr18
.LBB6_1911:                             ;   in Loop: Header=BB6_357 Depth=4
	s_and_not1_saveexec_b32 s13, s63
	s_cbranch_execz .LBB6_1917
; %bb.1912:                             ;   in Loop: Header=BB6_357 Depth=4
	s_mov_b32 s63, exec_lo
                                        ; implicit-def: $vgpr17
	v_cmpx_ne_u64_e32 0, v[20:21]
	s_xor_b32 s63, exec_lo, s63
; %bb.1913:                             ;   in Loop: Header=BB6_357 Depth=4
	v_or_b32_e32 v17, 0x7f, v18
                                        ; implicit-def: $vgpr16
; %bb.1914:                             ;   in Loop: Header=BB6_357 Depth=4
	s_and_not1_saveexec_b32 s63, s63
; %bb.1915:                             ;   in Loop: Header=BB6_357 Depth=4
	v_cmp_lt_i32_e32 vcc_lo, -1, v16
	v_mov_b32_e32 v16, 0x7c
	s_delay_alu instid0(VALU_DEP_1)
	v_cndmask_b32_e32 v17, 0xfc, v16, vcc_lo
; %bb.1916:                             ;   in Loop: Header=BB6_357 Depth=4
	s_or_b32 exec_lo, exec_lo, s63
.LBB6_1917:                             ;   in Loop: Header=BB6_357 Depth=4
	s_delay_alu instid0(SALU_CYCLE_1)
	s_or_b32 exec_lo, exec_lo, s13
	v_dual_mov_b32 v18, 0 :: v_dual_mov_b32 v19, 0
	s_mov_b32 s63, exec_lo
	v_cmpx_lt_u64_e64 s[22:23], v[12:13]
	s_cbranch_execz .LBB6_1927
; %bb.1918:                             ;   in Loop: Header=BB6_357 Depth=4
	v_lshrrev_b32_e32 v16, 24, v13
	v_bfrev_b32_e32 v19, 1
	s_mov_b32 s72, exec_lo
	s_delay_alu instid0(VALU_DEP_2)
	v_cmpx_ne_u32_e32 0x80, v16
	s_cbranch_execz .LBB6_1926
; %bb.1919:                             ;   in Loop: Header=BB6_357 Depth=4
	v_and_b32_e32 v19, 0x7c000000, v13
	v_bfe_u32 v20, v13, 24, 2
	s_delay_alu instid0(VALU_DEP_2) | instskip(SKIP_1) | instid1(SALU_CYCLE_1)
	v_cmp_ne_u32_e32 vcc_lo, 0x7c000000, v19
                                        ; implicit-def: $vgpr19
	s_and_saveexec_b32 s13, vcc_lo
	s_xor_b32 s13, exec_lo, s13
	s_cbranch_execz .LBB6_1923
; %bb.1920:                             ;   in Loop: Header=BB6_357 Depth=4
	v_bfe_u32 v19, v13, 26, 5
	s_mov_b32 s73, exec_lo
	s_delay_alu instid0(VALU_DEP_1)
	v_cmpx_eq_u32_e32 0, v19
; %bb.1921:                             ;   in Loop: Header=BB6_357 Depth=4
	v_clz_i32_u32_e32 v19, v20
	s_delay_alu instid0(VALU_DEP_1) | instskip(NEXT) | instid1(VALU_DEP_1)
	v_min_u32_e32 v19, 32, v19
	v_subrev_nc_u32_e32 v20, 29, v19
	s_delay_alu instid0(VALU_DEP_1) | instskip(NEXT) | instid1(VALU_DEP_1)
	v_lshlrev_b64_e32 v[86:87], v20, v[16:17]
	v_dual_sub_nc_u32 v19, 30, v19 :: v_dual_bitop2_b32 v20, 3, v86 bitop3:0x40
; %bb.1922:                             ;   in Loop: Header=BB6_357 Depth=4
	s_or_b32 exec_lo, exec_lo, s73
	v_and_b32_e32 v16, 0x80000000, v13
	s_delay_alu instid0(VALU_DEP_1) | instskip(NEXT) | instid1(VALU_DEP_1)
	v_lshl_add_u32 v16, v19, 23, v16
	v_lshl_or_b32 v16, v20, 21, v16
                                        ; implicit-def: $vgpr20
	s_delay_alu instid0(VALU_DEP_1)
	v_add_nc_u32_e32 v19, 0x38000000, v16
.LBB6_1923:                             ;   in Loop: Header=BB6_357 Depth=4
	s_and_not1_saveexec_b32 s73, s13
; %bb.1924:                             ;   in Loop: Header=BB6_357 Depth=4
	v_cmp_lt_i64_e64 s13, -1, v[12:13]
	v_mov_b32_e32 v12, 0x7f800000
	v_cmp_eq_u32_e32 vcc_lo, 0, v20
	s_delay_alu instid0(VALU_DEP_2) | instskip(NEXT) | instid1(VALU_DEP_1)
	v_cndmask_b32_e64 v12, 0xff800000, v12, s13
	v_cndmask_b32_e32 v19, 0x7f800001, v12, vcc_lo
; %bb.1925:                             ;   in Loop: Header=BB6_357 Depth=4
	s_or_b32 exec_lo, exec_lo, s73
.LBB6_1926:                             ;   in Loop: Header=BB6_357 Depth=4
	s_delay_alu instid0(SALU_CYCLE_1)
	s_or_b32 exec_lo, exec_lo, s72
.LBB6_1927:                             ;   in Loop: Header=BB6_357 Depth=4
	s_delay_alu instid0(SALU_CYCLE_1) | instskip(NEXT) | instid1(SALU_CYCLE_1)
	s_or_b32 exec_lo, exec_lo, s63
	s_mov_b32 s63, exec_lo
	v_cmpx_lt_u64_e64 s[22:23], v[4:5]
	s_cbranch_execz .LBB6_1937
; %bb.1928:                             ;   in Loop: Header=BB6_357 Depth=4
	v_lshrrev_b32_e32 v12, 24, v5
	v_bfrev_b32_e32 v18, 1
	s_mov_b32 s72, exec_lo
	s_delay_alu instid0(VALU_DEP_2)
	v_cmpx_ne_u32_e32 0x80, v12
	s_cbranch_execz .LBB6_1936
; %bb.1929:                             ;   in Loop: Header=BB6_357 Depth=4
	v_and_b32_e32 v16, 0x7c000000, v5
	v_bfe_u32 v13, v5, 24, 2
	s_mov_b32 s13, exec_lo
                                        ; implicit-def: $vgpr18
	s_delay_alu instid0(VALU_DEP_2)
	v_cmpx_ne_u32_e32 0x7c000000, v16
	s_xor_b32 s13, exec_lo, s13
	s_cbranch_execz .LBB6_1933
; %bb.1930:                             ;   in Loop: Header=BB6_357 Depth=4
	v_bfe_u32 v16, v5, 26, 5
	s_mov_b32 s73, exec_lo
	s_delay_alu instid0(VALU_DEP_1)
	v_cmpx_eq_u32_e32 0, v16
; %bb.1931:                             ;   in Loop: Header=BB6_357 Depth=4
	v_clz_i32_u32_e32 v13, v13
	s_delay_alu instid0(VALU_DEP_1) | instskip(NEXT) | instid1(VALU_DEP_1)
	v_min_u32_e32 v16, 32, v13
	v_subrev_nc_u32_e32 v13, 29, v16
	v_sub_nc_u32_e32 v16, 30, v16
	s_delay_alu instid0(VALU_DEP_2) | instskip(NEXT) | instid1(VALU_DEP_1)
	v_lshlrev_b64_e32 v[12:13], v13, v[12:13]
	v_and_b32_e32 v13, 3, v12
; %bb.1932:                             ;   in Loop: Header=BB6_357 Depth=4
	s_or_b32 exec_lo, exec_lo, s73
	v_and_b32_e32 v12, 0x80000000, v5
	s_delay_alu instid0(VALU_DEP_1) | instskip(NEXT) | instid1(VALU_DEP_1)
	v_lshl_add_u32 v12, v16, 23, v12
	v_lshl_or_b32 v12, v13, 21, v12
                                        ; implicit-def: $vgpr13
	s_delay_alu instid0(VALU_DEP_1)
	v_add_nc_u32_e32 v18, 0x38000000, v12
.LBB6_1933:                             ;   in Loop: Header=BB6_357 Depth=4
	s_and_not1_saveexec_b32 s73, s13
; %bb.1934:                             ;   in Loop: Header=BB6_357 Depth=4
	v_cmp_lt_i64_e64 s13, -1, v[4:5]
	v_mov_b32_e32 v4, 0x7f800000
	v_cmp_eq_u32_e32 vcc_lo, 0, v13
	s_delay_alu instid0(VALU_DEP_2) | instskip(NEXT) | instid1(VALU_DEP_1)
	v_cndmask_b32_e64 v4, 0xff800000, v4, s13
	v_cndmask_b32_e32 v18, 0x7f800001, v4, vcc_lo
; %bb.1935:                             ;   in Loop: Header=BB6_357 Depth=4
	s_or_b32 exec_lo, exec_lo, s73
.LBB6_1936:                             ;   in Loop: Header=BB6_357 Depth=4
	s_delay_alu instid0(SALU_CYCLE_1)
	s_or_b32 exec_lo, exec_lo, s72
.LBB6_1937:                             ;   in Loop: Header=BB6_357 Depth=4
	s_delay_alu instid0(SALU_CYCLE_1) | instskip(NEXT) | instid1(VALU_DEP_1)
	s_or_b32 exec_lo, exec_lo, s63
	v_dual_mul_f32 v4, v19, v18 :: v_dual_mov_b32 v13, v21
                                        ; implicit-def: $vgpr16
	s_mov_b32 s13, exec_lo
	s_delay_alu instid0(VALU_DEP_1) | instskip(SKIP_2) | instid1(VALU_DEP_3)
	v_and_b32_e32 v12, 0x7f800000, v4
	v_and_b32_e32 v20, 0x7fffff, v4
	v_lshrrev_b32_e32 v5, 24, v4
	v_cmpx_ne_u64_e32 0x7f800000, v[12:13]
	s_xor_b32 s63, exec_lo, s13
	s_cbranch_execz .LBB6_1951
; %bb.1938:                             ;   in Loop: Header=BB6_357 Depth=4
	v_and_b32_e32 v12, 0x7fffffff, v4
	v_mov_b32_e32 v13, v21
	v_and_b32_e32 v18, 0x80, v5
                                        ; implicit-def: $vgpr16
	s_mov_b32 s13, exec_lo
	s_delay_alu instid0(VALU_DEP_2)
	v_cmpx_gt_u64_e32 0x47600001, v[12:13]
	s_xor_b32 s72, exec_lo, s13
	s_cbranch_execz .LBB6_1948
; %bb.1939:                             ;   in Loop: Header=BB6_357 Depth=4
	v_mov_b32_e32 v16, 0
	s_mov_b32 s73, exec_lo
	v_cmpx_ne_u32_e32 0, v4
	s_cbranch_execz .LBB6_1947
; %bb.1940:                             ;   in Loop: Header=BB6_357 Depth=4
	v_bfe_u32 v16, v4, 23, 8
	v_or_b32_e32 v5, 0x800000, v20
	s_delay_alu instid0(VALU_DEP_2) | instskip(SKIP_2) | instid1(VALU_DEP_2)
	v_cmp_gt_u32_e64 s13, 0x72, v16
	v_sub_nc_u32_e32 v4, 0x71, v16
	v_cmp_eq_u32_e32 vcc_lo, 0, v16
	v_cndmask_b32_e64 v4, 0, v4, s13
	s_delay_alu instid0(VALU_DEP_1) | instskip(SKIP_1) | instid1(VALU_DEP_2)
	v_cndmask_b32_e64 v19, v4, 0x70, vcc_lo
	v_cndmask_b32_e32 v4, v5, v20, vcc_lo
	v_dual_mov_b32 v5, v21 :: v_dual_add_nc_u32 v12, 21, v19
	v_add_nc_u32_e32 v20, 20, v19
	s_delay_alu instid0(VALU_DEP_2) | instskip(NEXT) | instid1(VALU_DEP_2)
	v_lshlrev_b64_e64 v[12:13], v12, -1
	v_lshlrev_b64_e64 v[86:87], v20, 1
	s_delay_alu instid0(VALU_DEP_2) | instskip(SKIP_1) | instid1(VALU_DEP_4)
	v_bfi_b32 v12, v12, 0, v4
	v_lshrrev_b64 v[4:5], v19, v[4:5]
	v_bfi_b32 v13, v13, 0, 0
	s_delay_alu instid0(VALU_DEP_1) | instskip(NEXT) | instid1(VALU_DEP_3)
	v_cmp_eq_u64_e64 s13, v[12:13], v[86:87]
	v_mov_b64_e32 v[12:13], v[4:5]
	s_and_saveexec_b32 s74, s13
; %bb.1941:                             ;   in Loop: Header=BB6_357 Depth=4
	v_bfe_u32 v12, v4, 21, 1
	v_mov_b32_e32 v13, v21
	s_delay_alu instid0(VALU_DEP_1) | instskip(NEXT) | instid1(VALU_DEP_1)
	v_add_nc_u64_e32 v[12:13], v[4:5], v[12:13]
	v_add_nc_u64_e32 v[12:13], -1, v[12:13]
; %bb.1942:                             ;   in Loop: Header=BB6_357 Depth=4
	s_or_b32 exec_lo, exec_lo, s74
	v_add_nc_u32_e32 v5, 0xffffff81, v16
	v_lshrrev_b32_e32 v13, 23, v4
	s_mov_b32 s13, exec_lo
	s_delay_alu instid0(VALU_DEP_2) | instskip(NEXT) | instid1(VALU_DEP_1)
	v_cndmask_b32_e64 v5, v5, 0xffffff82, vcc_lo
	v_add3_u32 v16, v19, v5, v13
	v_and_b32_e32 v5, 0x1fffff, v12
                                        ; implicit-def: $vgpr12
	s_delay_alu instid0(VALU_DEP_2) | instskip(NEXT) | instid1(VALU_DEP_2)
	v_add_nc_u32_e32 v13, 14, v16
	v_add_nc_u32_e32 v20, v5, v4
                                        ; implicit-def: $vgpr4_vgpr5
	s_delay_alu instid0(VALU_DEP_2)
	v_cmpx_ne_u32_e32 0, v13
	s_xor_b32 s13, exec_lo, s13
; %bb.1943:                             ;   in Loop: Header=BB6_357 Depth=4
	s_delay_alu instid0(VALU_DEP_2) | instskip(SKIP_1) | instid1(VALU_DEP_1)
	v_cmp_lt_u64_e32 vcc_lo, 0xffffff, v[20:21]
	v_add_nc_u32_e32 v4, 15, v16
	v_cndmask_b32_e32 v12, v13, v4, vcc_lo
	v_cndmask_b32_e64 v4, 0, 1, vcc_lo
	s_delay_alu instid0(VALU_DEP_1)
	v_lshrrev_b64 v[4:5], v4, v[20:21]
; %bb.1944:                             ;   in Loop: Header=BB6_357 Depth=4
	s_and_not1_saveexec_b32 s13, s13
; %bb.1945:                             ;   in Loop: Header=BB6_357 Depth=4
	v_mov_b64_e32 v[4:5], v[20:21]
	v_bfe_u32 v12, v20, 23, 1
; %bb.1946:                             ;   in Loop: Header=BB6_357 Depth=4
	s_or_b32 exec_lo, exec_lo, s13
	s_delay_alu instid0(VALU_DEP_2) | instskip(NEXT) | instid1(VALU_DEP_2)
	v_lshrrev_b64 v[4:5], 21, v[4:5]
	v_cmp_gt_i32_e32 vcc_lo, 32, v12
	v_min_i32_e32 v13, 31, v12
	v_cmp_eq_u32_e64 s13, 0, v12
	s_delay_alu instid0(VALU_DEP_4) | instskip(NEXT) | instid1(VALU_DEP_3)
	v_cndmask_b32_e32 v5, 0, v5, vcc_lo
	v_dual_cndmask_b32 v4, 3, v4 :: v_dual_lshlrev_b32 v13, 2, v13
	s_delay_alu instid0(VALU_DEP_1) | instskip(NEXT) | instid1(VALU_DEP_2)
	v_and_b32_e32 v13, 0xfc, v13
	v_cmp_eq_u64_e32 vcc_lo, 0, v[4:5]
	s_delay_alu instid0(VALU_DEP_2)
	v_and_or_b32 v4, v4, 3, v13
	s_and_b32 s13, s13, vcc_lo
	s_delay_alu instid0(VALU_DEP_1) | instid1(SALU_CYCLE_1)
	v_cndmask_b32_e64 v4, v4, 0, s13
	s_delay_alu instid0(VALU_DEP_1)
	v_or_b32_e32 v16, v4, v18
.LBB6_1947:                             ;   in Loop: Header=BB6_357 Depth=4
	s_or_b32 exec_lo, exec_lo, s73
                                        ; implicit-def: $vgpr18
.LBB6_1948:                             ;   in Loop: Header=BB6_357 Depth=4
	s_and_not1_saveexec_b32 s13, s72
; %bb.1949:                             ;   in Loop: Header=BB6_357 Depth=4
	v_or_b32_e32 v16, 0x7b, v18
; %bb.1950:                             ;   in Loop: Header=BB6_357 Depth=4
	s_or_b32 exec_lo, exec_lo, s13
                                        ; implicit-def: $vgpr4
                                        ; implicit-def: $vgpr5
.LBB6_1951:                             ;   in Loop: Header=BB6_357 Depth=4
	s_and_not1_saveexec_b32 s13, s63
	s_cbranch_execz .LBB6_1957
; %bb.1952:                             ;   in Loop: Header=BB6_357 Depth=4
	s_mov_b32 s63, exec_lo
                                        ; implicit-def: $vgpr16
	v_cmpx_ne_u64_e32 0, v[20:21]
	s_xor_b32 s63, exec_lo, s63
; %bb.1953:                             ;   in Loop: Header=BB6_357 Depth=4
	v_or_b32_e32 v16, 0x7f, v5
                                        ; implicit-def: $vgpr4
; %bb.1954:                             ;   in Loop: Header=BB6_357 Depth=4
	s_and_not1_saveexec_b32 s63, s63
; %bb.1955:                             ;   in Loop: Header=BB6_357 Depth=4
	v_cmp_lt_i32_e32 vcc_lo, -1, v4
	v_mov_b32_e32 v4, 0x7c
	s_delay_alu instid0(VALU_DEP_1)
	v_cndmask_b32_e32 v16, 0xfc, v4, vcc_lo
; %bb.1956:                             ;   in Loop: Header=BB6_357 Depth=4
	s_or_b32 exec_lo, exec_lo, s63
.LBB6_1957:                             ;   in Loop: Header=BB6_357 Depth=4
	s_delay_alu instid0(SALU_CYCLE_1) | instskip(SKIP_2) | instid1(VALU_DEP_2)
	s_or_b32 exec_lo, exec_lo, s13
	v_and_b32_e32 v5, 0xff, v14
	v_mov_b32_e32 v4, 0
	v_cmp_ne_u16_e32 vcc_lo, 0, v5
	v_mov_b32_e32 v5, 0
	s_and_saveexec_b32 s63, vcc_lo
	s_cbranch_execz .LBB6_1967
; %bb.1958:                             ;   in Loop: Header=BB6_357 Depth=4
	v_bfe_i32 v13, v14, 0, 8
	v_bfrev_b32_e32 v5, 1
	s_mov_b32 s72, exec_lo
	s_delay_alu instid0(VALU_DEP_2)
	v_cmpx_ne_u16_e32 0xff80, v13
	s_cbranch_execz .LBB6_1966
; %bb.1959:                             ;   in Loop: Header=BB6_357 Depth=4
	v_and_b32_e32 v5, 0x7c, v14
	v_and_b32_e32 v12, 3, v14
	s_delay_alu instid0(VALU_DEP_2) | instskip(SKIP_1) | instid1(SALU_CYCLE_1)
	v_cmp_ne_u32_e32 vcc_lo, 0x7c, v5
                                        ; implicit-def: $vgpr5
	s_and_saveexec_b32 s13, vcc_lo
	s_xor_b32 s13, exec_lo, s13
	s_cbranch_execz .LBB6_1963
; %bb.1960:                             ;   in Loop: Header=BB6_357 Depth=4
	v_bfe_u32 v5, v14, 2, 5
	s_mov_b32 s73, exec_lo
	s_delay_alu instid0(VALU_DEP_1)
	v_cmpx_eq_u32_e32 0, v5
; %bb.1961:                             ;   in Loop: Header=BB6_357 Depth=4
	v_clz_i32_u32_e32 v5, v12
	s_delay_alu instid0(VALU_DEP_1) | instskip(NEXT) | instid1(VALU_DEP_1)
	v_min_u32_e32 v5, 32, v5
	v_subrev_nc_u32_e32 v12, 29, v5
	s_delay_alu instid0(VALU_DEP_1) | instskip(NEXT) | instid1(VALU_DEP_1)
	v_lshlrev_b64_e32 v[12:13], v12, v[14:15]
	v_dual_sub_nc_u32 v5, 30, v5 :: v_dual_bitop2_b32 v12, 3, v12 bitop3:0x40
; %bb.1962:                             ;   in Loop: Header=BB6_357 Depth=4
	s_or_b32 exec_lo, exec_lo, s73
	v_lshlrev_b32_e32 v13, 24, v14
	s_delay_alu instid0(VALU_DEP_1) | instskip(NEXT) | instid1(VALU_DEP_1)
	v_and_b32_e32 v13, 0x80000000, v13
	v_lshl_add_u32 v5, v5, 23, v13
                                        ; implicit-def: $vgpr13
	s_delay_alu instid0(VALU_DEP_1) | instskip(NEXT) | instid1(VALU_DEP_1)
	v_lshl_or_b32 v5, v12, 21, v5
                                        ; implicit-def: $vgpr12
	v_add_nc_u32_e32 v5, 0x38000000, v5
.LBB6_1963:                             ;   in Loop: Header=BB6_357 Depth=4
	s_and_not1_saveexec_b32 s73, s13
; %bb.1964:                             ;   in Loop: Header=BB6_357 Depth=4
	v_cmp_lt_i16_e64 s13, -1, v13
	v_mov_b32_e32 v5, 0x7f800000
	v_cmp_eq_u32_e32 vcc_lo, 0, v12
	s_delay_alu instid0(VALU_DEP_2) | instskip(NEXT) | instid1(VALU_DEP_1)
	v_cndmask_b32_e64 v5, 0xff800000, v5, s13
	v_cndmask_b32_e32 v5, 0x7f800001, v5, vcc_lo
; %bb.1965:                             ;   in Loop: Header=BB6_357 Depth=4
	s_or_b32 exec_lo, exec_lo, s73
.LBB6_1966:                             ;   in Loop: Header=BB6_357 Depth=4
	s_delay_alu instid0(SALU_CYCLE_1)
	s_or_b32 exec_lo, exec_lo, s72
.LBB6_1967:                             ;   in Loop: Header=BB6_357 Depth=4
	s_delay_alu instid0(SALU_CYCLE_1) | instskip(SKIP_2) | instid1(VALU_DEP_1)
	s_or_b32 exec_lo, exec_lo, s63
	v_and_b32_e32 v12, 0xff, v6
	s_mov_b32 s63, exec_lo
	v_cmpx_ne_u16_e32 0, v12
	s_cbranch_execz .LBB6_1977
; %bb.1968:                             ;   in Loop: Header=BB6_357 Depth=4
	v_bfe_i32 v13, v6, 0, 8
	v_bfrev_b32_e32 v4, 1
	s_mov_b32 s72, exec_lo
	s_delay_alu instid0(VALU_DEP_2)
	v_cmpx_ne_u16_e32 0xff80, v13
	s_cbranch_execz .LBB6_1976
; %bb.1969:                             ;   in Loop: Header=BB6_357 Depth=4
	v_and_b32_e32 v4, 0x7c, v6
	v_and_b32_e32 v12, 3, v6
	s_delay_alu instid0(VALU_DEP_2) | instskip(SKIP_1) | instid1(SALU_CYCLE_1)
	v_cmp_ne_u32_e32 vcc_lo, 0x7c, v4
                                        ; implicit-def: $vgpr4
	s_and_saveexec_b32 s13, vcc_lo
	s_xor_b32 s13, exec_lo, s13
	s_cbranch_execz .LBB6_1973
; %bb.1970:                             ;   in Loop: Header=BB6_357 Depth=4
	v_bfe_u32 v4, v6, 2, 5
	s_mov_b32 s73, exec_lo
	s_delay_alu instid0(VALU_DEP_1)
	v_cmpx_eq_u32_e32 0, v4
; %bb.1971:                             ;   in Loop: Header=BB6_357 Depth=4
	v_clz_i32_u32_e32 v4, v12
	s_delay_alu instid0(VALU_DEP_1) | instskip(NEXT) | instid1(VALU_DEP_1)
	v_min_u32_e32 v4, 32, v4
	v_subrev_nc_u32_e32 v12, 29, v4
	v_sub_nc_u32_e32 v4, 30, v4
	s_delay_alu instid0(VALU_DEP_2) | instskip(NEXT) | instid1(VALU_DEP_1)
	v_lshlrev_b64_e32 v[12:13], v12, v[6:7]
	v_and_b32_e32 v12, 3, v12
; %bb.1972:                             ;   in Loop: Header=BB6_357 Depth=4
	s_or_b32 exec_lo, exec_lo, s73
	v_lshlrev_b32_e32 v13, 24, v6
	s_delay_alu instid0(VALU_DEP_1) | instskip(NEXT) | instid1(VALU_DEP_1)
	v_and_b32_e32 v13, 0x80000000, v13
	v_lshl_add_u32 v4, v4, 23, v13
                                        ; implicit-def: $vgpr13
	s_delay_alu instid0(VALU_DEP_1) | instskip(NEXT) | instid1(VALU_DEP_1)
	v_lshl_or_b32 v4, v12, 21, v4
                                        ; implicit-def: $vgpr12
	v_add_nc_u32_e32 v4, 0x38000000, v4
.LBB6_1973:                             ;   in Loop: Header=BB6_357 Depth=4
	s_and_not1_saveexec_b32 s73, s13
; %bb.1974:                             ;   in Loop: Header=BB6_357 Depth=4
	v_cmp_lt_i16_e64 s13, -1, v13
	v_mov_b32_e32 v4, 0x7f800000
	v_cmp_eq_u32_e32 vcc_lo, 0, v12
	s_delay_alu instid0(VALU_DEP_2) | instskip(NEXT) | instid1(VALU_DEP_1)
	v_cndmask_b32_e64 v4, 0xff800000, v4, s13
	v_cndmask_b32_e32 v4, 0x7f800001, v4, vcc_lo
; %bb.1975:                             ;   in Loop: Header=BB6_357 Depth=4
	s_or_b32 exec_lo, exec_lo, s73
.LBB6_1976:                             ;   in Loop: Header=BB6_357 Depth=4
	s_delay_alu instid0(SALU_CYCLE_1)
	s_or_b32 exec_lo, exec_lo, s72
.LBB6_1977:                             ;   in Loop: Header=BB6_357 Depth=4
	s_delay_alu instid0(SALU_CYCLE_1) | instskip(NEXT) | instid1(VALU_DEP_1)
	s_or_b32 exec_lo, exec_lo, s63
	v_mul_f32_e32 v4, v5, v4
	v_mov_b32_e32 v13, v21
                                        ; implicit-def: $vgpr18
	s_mov_b32 s13, exec_lo
	s_delay_alu instid0(VALU_DEP_2) | instskip(SKIP_2) | instid1(VALU_DEP_3)
	v_and_b32_e32 v12, 0x7f800000, v4
	v_and_b32_e32 v20, 0x7fffff, v4
	v_lshrrev_b32_e32 v5, 24, v4
	v_cmpx_ne_u64_e32 0x7f800000, v[12:13]
	s_xor_b32 s63, exec_lo, s13
	s_cbranch_execz .LBB6_1991
; %bb.1978:                             ;   in Loop: Header=BB6_357 Depth=4
	v_and_b32_e32 v12, 0x7fffffff, v4
	v_mov_b32_e32 v13, v21
	v_and_b32_e32 v19, 0x80, v5
                                        ; implicit-def: $vgpr18
	s_mov_b32 s13, exec_lo
	s_delay_alu instid0(VALU_DEP_2)
	v_cmpx_gt_u64_e32 0x47600001, v[12:13]
	s_xor_b32 s72, exec_lo, s13
	s_cbranch_execz .LBB6_1988
; %bb.1979:                             ;   in Loop: Header=BB6_357 Depth=4
	v_mov_b32_e32 v18, 0
	s_mov_b32 s73, exec_lo
	v_cmpx_ne_u32_e32 0, v4
	s_cbranch_execz .LBB6_1987
; %bb.1980:                             ;   in Loop: Header=BB6_357 Depth=4
	v_bfe_u32 v18, v4, 23, 8
	v_or_b32_e32 v5, 0x800000, v20
	s_delay_alu instid0(VALU_DEP_2) | instskip(SKIP_2) | instid1(VALU_DEP_2)
	v_cmp_gt_u32_e64 s13, 0x72, v18
	v_sub_nc_u32_e32 v4, 0x71, v18
	v_cmp_eq_u32_e32 vcc_lo, 0, v18
	v_cndmask_b32_e64 v4, 0, v4, s13
	s_delay_alu instid0(VALU_DEP_1) | instskip(SKIP_1) | instid1(VALU_DEP_2)
	v_cndmask_b32_e64 v86, v4, 0x70, vcc_lo
	v_cndmask_b32_e32 v4, v5, v20, vcc_lo
	v_dual_mov_b32 v5, v21 :: v_dual_add_nc_u32 v12, 21, v86
	v_add_nc_u32_e32 v20, 20, v86
	s_delay_alu instid0(VALU_DEP_2) | instskip(NEXT) | instid1(VALU_DEP_2)
	v_lshlrev_b64_e64 v[12:13], v12, -1
	v_lshlrev_b64_e64 v[96:97], v20, 1
	s_delay_alu instid0(VALU_DEP_2) | instskip(SKIP_1) | instid1(VALU_DEP_4)
	v_bfi_b32 v12, v12, 0, v4
	v_lshrrev_b64 v[4:5], v86, v[4:5]
	v_bfi_b32 v13, v13, 0, 0
	s_delay_alu instid0(VALU_DEP_1) | instskip(NEXT) | instid1(VALU_DEP_3)
	v_cmp_eq_u64_e64 s13, v[12:13], v[96:97]
	v_mov_b64_e32 v[12:13], v[4:5]
	s_and_saveexec_b32 s74, s13
; %bb.1981:                             ;   in Loop: Header=BB6_357 Depth=4
	v_bfe_u32 v12, v4, 21, 1
	v_mov_b32_e32 v13, v21
	s_delay_alu instid0(VALU_DEP_1) | instskip(NEXT) | instid1(VALU_DEP_1)
	v_add_nc_u64_e32 v[12:13], v[4:5], v[12:13]
	v_add_nc_u64_e32 v[12:13], -1, v[12:13]
; %bb.1982:                             ;   in Loop: Header=BB6_357 Depth=4
	s_or_b32 exec_lo, exec_lo, s74
	v_add_nc_u32_e32 v5, 0xffffff81, v18
	v_lshrrev_b32_e32 v13, 23, v4
	s_mov_b32 s13, exec_lo
	s_delay_alu instid0(VALU_DEP_2) | instskip(NEXT) | instid1(VALU_DEP_1)
	v_cndmask_b32_e64 v5, v5, 0xffffff82, vcc_lo
	v_add3_u32 v18, v86, v5, v13
	v_and_b32_e32 v5, 0x1fffff, v12
                                        ; implicit-def: $vgpr12
	s_delay_alu instid0(VALU_DEP_1) | instskip(NEXT) | instid1(VALU_DEP_1)
	v_dual_add_nc_u32 v13, 14, v18 :: v_dual_add_nc_u32 v20, v5, v4
                                        ; implicit-def: $vgpr4_vgpr5
	v_cmpx_ne_u32_e32 0, v13
	s_xor_b32 s13, exec_lo, s13
; %bb.1983:                             ;   in Loop: Header=BB6_357 Depth=4
	s_delay_alu instid0(VALU_DEP_2) | instskip(SKIP_1) | instid1(VALU_DEP_1)
	v_cmp_lt_u64_e32 vcc_lo, 0xffffff, v[20:21]
	v_add_nc_u32_e32 v4, 15, v18
	v_cndmask_b32_e32 v12, v13, v4, vcc_lo
	v_cndmask_b32_e64 v4, 0, 1, vcc_lo
	s_delay_alu instid0(VALU_DEP_1)
	v_lshrrev_b64 v[4:5], v4, v[20:21]
; %bb.1984:                             ;   in Loop: Header=BB6_357 Depth=4
	s_and_not1_saveexec_b32 s13, s13
; %bb.1985:                             ;   in Loop: Header=BB6_357 Depth=4
	v_mov_b64_e32 v[4:5], v[20:21]
	v_bfe_u32 v12, v20, 23, 1
; %bb.1986:                             ;   in Loop: Header=BB6_357 Depth=4
	s_or_b32 exec_lo, exec_lo, s13
	s_delay_alu instid0(VALU_DEP_2) | instskip(NEXT) | instid1(VALU_DEP_2)
	v_lshrrev_b64 v[4:5], 21, v[4:5]
	v_cmp_gt_i32_e32 vcc_lo, 32, v12
	v_min_i32_e32 v13, 31, v12
	v_cmp_eq_u32_e64 s13, 0, v12
	s_delay_alu instid0(VALU_DEP_4) | instskip(NEXT) | instid1(VALU_DEP_3)
	v_cndmask_b32_e32 v5, 0, v5, vcc_lo
	v_dual_cndmask_b32 v4, 3, v4 :: v_dual_lshlrev_b32 v13, 2, v13
	s_delay_alu instid0(VALU_DEP_1) | instskip(NEXT) | instid1(VALU_DEP_2)
	v_and_b32_e32 v13, 0xfc, v13
	v_cmp_eq_u64_e32 vcc_lo, 0, v[4:5]
	s_delay_alu instid0(VALU_DEP_2)
	v_and_or_b32 v4, v4, 3, v13
	s_and_b32 s13, s13, vcc_lo
	s_delay_alu instid0(VALU_DEP_1) | instid1(SALU_CYCLE_1)
	v_cndmask_b32_e64 v4, v4, 0, s13
	s_delay_alu instid0(VALU_DEP_1)
	v_or_b32_e32 v18, v4, v19
.LBB6_1987:                             ;   in Loop: Header=BB6_357 Depth=4
	s_or_b32 exec_lo, exec_lo, s73
                                        ; implicit-def: $vgpr19
.LBB6_1988:                             ;   in Loop: Header=BB6_357 Depth=4
	s_and_not1_saveexec_b32 s13, s72
; %bb.1989:                             ;   in Loop: Header=BB6_357 Depth=4
	v_or_b32_e32 v18, 0x7b, v19
; %bb.1990:                             ;   in Loop: Header=BB6_357 Depth=4
	s_or_b32 exec_lo, exec_lo, s13
                                        ; implicit-def: $vgpr4
                                        ; implicit-def: $vgpr5
.LBB6_1991:                             ;   in Loop: Header=BB6_357 Depth=4
	s_and_not1_saveexec_b32 s13, s63
	s_cbranch_execz .LBB6_1997
; %bb.1992:                             ;   in Loop: Header=BB6_357 Depth=4
	s_mov_b32 s63, exec_lo
                                        ; implicit-def: $vgpr18
	v_cmpx_ne_u64_e32 0, v[20:21]
	s_xor_b32 s63, exec_lo, s63
; %bb.1993:                             ;   in Loop: Header=BB6_357 Depth=4
	v_or_b32_e32 v18, 0x7f, v5
                                        ; implicit-def: $vgpr4
; %bb.1994:                             ;   in Loop: Header=BB6_357 Depth=4
	s_and_not1_saveexec_b32 s63, s63
; %bb.1995:                             ;   in Loop: Header=BB6_357 Depth=4
	v_cmp_lt_i32_e32 vcc_lo, -1, v4
	v_mov_b32_e32 v4, 0x7c
	s_delay_alu instid0(VALU_DEP_1)
	v_cndmask_b32_e32 v18, 0xfc, v4, vcc_lo
; %bb.1996:                             ;   in Loop: Header=BB6_357 Depth=4
	s_or_b32 exec_lo, exec_lo, s63
.LBB6_1997:                             ;   in Loop: Header=BB6_357 Depth=4
	s_delay_alu instid0(SALU_CYCLE_1) | instskip(SKIP_3) | instid1(VALU_DEP_2)
	s_or_b32 exec_lo, exec_lo, s13
	v_lshrrev_b16 v4, 8, v14
	v_dual_mov_b32 v12, 0 :: v_dual_mov_b32 v13, 0
	s_mov_b32 s63, exec_lo
	v_cmpx_ne_u16_e32 0, v4
	s_cbranch_execz .LBB6_2007
; %bb.1998:                             ;   in Loop: Header=BB6_357 Depth=4
	v_bfrev_b32_e32 v13, 1
	s_mov_b32 s72, exec_lo
	v_cmpx_ne_u16_e32 0x80, v4
	s_cbranch_execz .LBB6_2006
; %bb.1999:                             ;   in Loop: Header=BB6_357 Depth=4
	v_and_b32_e32 v19, 0xffff, v4
	s_delay_alu instid0(VALU_DEP_1) | instskip(SKIP_1) | instid1(VALU_DEP_2)
	v_and_b32_e32 v13, 0x7c, v19
	v_and_b32_e32 v5, 3, v19
	v_cmp_ne_u32_e32 vcc_lo, 0x7c, v13
                                        ; implicit-def: $vgpr13
	s_and_saveexec_b32 s13, vcc_lo
	s_delay_alu instid0(SALU_CYCLE_1)
	s_xor_b32 s13, exec_lo, s13
	s_cbranch_execz .LBB6_2003
; %bb.2000:                             ;   in Loop: Header=BB6_357 Depth=4
	v_bfe_u32 v13, v19, 2, 5
	s_mov_b32 s73, exec_lo
	s_delay_alu instid0(VALU_DEP_1)
	v_cmpx_eq_u32_e32 0, v13
	s_cbranch_execz .LBB6_2002
; %bb.2001:                             ;   in Loop: Header=BB6_357 Depth=4
	v_clz_i32_u32_e32 v5, v5
	s_delay_alu instid0(VALU_DEP_1) | instskip(SKIP_1) | instid1(VALU_DEP_2)
	v_min_u32_e32 v13, 32, v5
	v_mov_b32_e32 v5, v21
	v_subrev_nc_u32_e32 v19, 29, v13
	v_sub_nc_u32_e32 v13, 30, v13
	s_delay_alu instid0(VALU_DEP_2) | instskip(NEXT) | instid1(VALU_DEP_1)
	v_lshlrev_b64_e32 v[4:5], v19, v[4:5]
	v_and_b32_e32 v5, 3, v4
.LBB6_2002:                             ;   in Loop: Header=BB6_357 Depth=4
	s_or_b32 exec_lo, exec_lo, s73
	v_lshlrev_b32_e32 v4, 16, v14
	s_delay_alu instid0(VALU_DEP_1) | instskip(NEXT) | instid1(VALU_DEP_1)
	v_and_b32_e32 v4, 0x80000000, v4
	v_lshl_add_u32 v4, v13, 23, v4
	s_delay_alu instid0(VALU_DEP_1) | instskip(NEXT) | instid1(VALU_DEP_1)
	v_lshl_or_b32 v4, v5, 21, v4
                                        ; implicit-def: $vgpr5
	v_add_nc_u32_e32 v13, 0x38000000, v4
.LBB6_2003:                             ;   in Loop: Header=BB6_357 Depth=4
	s_and_not1_saveexec_b32 s73, s13
; %bb.2004:                             ;   in Loop: Header=BB6_357 Depth=4
	v_cmp_lt_i16_e64 s13, -1, v14
	v_mov_b32_e32 v4, 0x7f800000
	v_cmp_eq_u32_e32 vcc_lo, 0, v5
	s_delay_alu instid0(VALU_DEP_2) | instskip(NEXT) | instid1(VALU_DEP_1)
	v_cndmask_b32_e64 v4, 0xff800000, v4, s13
	v_cndmask_b32_e32 v13, 0x7f800001, v4, vcc_lo
; %bb.2005:                             ;   in Loop: Header=BB6_357 Depth=4
	s_or_b32 exec_lo, exec_lo, s73
.LBB6_2006:                             ;   in Loop: Header=BB6_357 Depth=4
	s_delay_alu instid0(SALU_CYCLE_1)
	s_or_b32 exec_lo, exec_lo, s72
.LBB6_2007:                             ;   in Loop: Header=BB6_357 Depth=4
	s_delay_alu instid0(SALU_CYCLE_1) | instskip(SKIP_2) | instid1(VALU_DEP_1)
	s_or_b32 exec_lo, exec_lo, s63
	v_lshrrev_b16 v4, 8, v6
	s_mov_b32 s63, exec_lo
	v_cmpx_ne_u16_e32 0, v4
	s_cbranch_execz .LBB6_2017
; %bb.2008:                             ;   in Loop: Header=BB6_357 Depth=4
	v_bfrev_b32_e32 v12, 1
	s_mov_b32 s72, exec_lo
	v_cmpx_ne_u16_e32 0x80, v4
	s_cbranch_execz .LBB6_2016
; %bb.2009:                             ;   in Loop: Header=BB6_357 Depth=4
	v_and_b32_e32 v19, 0xffff, v4
	s_delay_alu instid0(VALU_DEP_1) | instskip(SKIP_1) | instid1(VALU_DEP_2)
	v_and_b32_e32 v12, 0x7c, v19
	v_and_b32_e32 v5, 3, v19
	v_cmp_ne_u32_e32 vcc_lo, 0x7c, v12
                                        ; implicit-def: $vgpr12
	s_and_saveexec_b32 s13, vcc_lo
	s_delay_alu instid0(SALU_CYCLE_1)
	s_xor_b32 s13, exec_lo, s13
	s_cbranch_execz .LBB6_2013
; %bb.2010:                             ;   in Loop: Header=BB6_357 Depth=4
	v_bfe_u32 v12, v19, 2, 5
	s_mov_b32 s73, exec_lo
	s_delay_alu instid0(VALU_DEP_1)
	v_cmpx_eq_u32_e32 0, v12
	s_cbranch_execz .LBB6_2012
; %bb.2011:                             ;   in Loop: Header=BB6_357 Depth=4
	v_clz_i32_u32_e32 v5, v5
	s_delay_alu instid0(VALU_DEP_1) | instskip(SKIP_1) | instid1(VALU_DEP_2)
	v_min_u32_e32 v12, 32, v5
	v_mov_b32_e32 v5, v21
	v_subrev_nc_u32_e32 v19, 29, v12
	v_sub_nc_u32_e32 v12, 30, v12
	s_delay_alu instid0(VALU_DEP_2) | instskip(NEXT) | instid1(VALU_DEP_1)
	v_lshlrev_b64_e32 v[4:5], v19, v[4:5]
	v_and_b32_e32 v5, 3, v4
.LBB6_2012:                             ;   in Loop: Header=BB6_357 Depth=4
	s_or_b32 exec_lo, exec_lo, s73
	v_lshlrev_b32_e32 v4, 16, v6
	s_delay_alu instid0(VALU_DEP_1) | instskip(NEXT) | instid1(VALU_DEP_1)
	v_and_b32_e32 v4, 0x80000000, v4
	v_lshl_add_u32 v4, v12, 23, v4
	s_delay_alu instid0(VALU_DEP_1) | instskip(NEXT) | instid1(VALU_DEP_1)
	v_lshl_or_b32 v4, v5, 21, v4
                                        ; implicit-def: $vgpr5
	v_add_nc_u32_e32 v12, 0x38000000, v4
.LBB6_2013:                             ;   in Loop: Header=BB6_357 Depth=4
	s_and_not1_saveexec_b32 s73, s13
; %bb.2014:                             ;   in Loop: Header=BB6_357 Depth=4
	v_cmp_lt_i16_e64 s13, -1, v6
	v_mov_b32_e32 v4, 0x7f800000
	v_cmp_eq_u32_e32 vcc_lo, 0, v5
	s_delay_alu instid0(VALU_DEP_2) | instskip(NEXT) | instid1(VALU_DEP_1)
	v_cndmask_b32_e64 v4, 0xff800000, v4, s13
	v_cndmask_b32_e32 v12, 0x7f800001, v4, vcc_lo
; %bb.2015:                             ;   in Loop: Header=BB6_357 Depth=4
	s_or_b32 exec_lo, exec_lo, s73
.LBB6_2016:                             ;   in Loop: Header=BB6_357 Depth=4
	s_delay_alu instid0(SALU_CYCLE_1)
	s_or_b32 exec_lo, exec_lo, s72
.LBB6_2017:                             ;   in Loop: Header=BB6_357 Depth=4
	s_delay_alu instid0(SALU_CYCLE_1) | instskip(NEXT) | instid1(VALU_DEP_1)
	s_or_b32 exec_lo, exec_lo, s63
	v_mul_f32_e32 v4, v13, v12
	v_mov_b32_e32 v13, v21
                                        ; implicit-def: $vgpr19
	s_mov_b32 s13, exec_lo
	s_delay_alu instid0(VALU_DEP_2) | instskip(SKIP_2) | instid1(VALU_DEP_3)
	v_and_b32_e32 v12, 0x7f800000, v4
	v_and_b32_e32 v20, 0x7fffff, v4
	v_lshrrev_b32_e32 v5, 24, v4
	v_cmpx_ne_u64_e32 0x7f800000, v[12:13]
	s_xor_b32 s63, exec_lo, s13
	s_cbranch_execz .LBB6_2031
; %bb.2018:                             ;   in Loop: Header=BB6_357 Depth=4
	v_and_b32_e32 v12, 0x7fffffff, v4
	v_mov_b32_e32 v13, v21
	v_and_b32_e32 v86, 0x80, v5
                                        ; implicit-def: $vgpr19
	s_mov_b32 s13, exec_lo
	s_delay_alu instid0(VALU_DEP_2)
	v_cmpx_gt_u64_e32 0x47600001, v[12:13]
	s_xor_b32 s72, exec_lo, s13
	s_cbranch_execz .LBB6_2028
; %bb.2019:                             ;   in Loop: Header=BB6_357 Depth=4
	v_mov_b32_e32 v19, 0
	s_mov_b32 s73, exec_lo
	v_cmpx_ne_u32_e32 0, v4
	s_cbranch_execz .LBB6_2027
; %bb.2020:                             ;   in Loop: Header=BB6_357 Depth=4
	v_bfe_u32 v19, v4, 23, 8
	v_or_b32_e32 v5, 0x800000, v20
	s_delay_alu instid0(VALU_DEP_2) | instskip(SKIP_2) | instid1(VALU_DEP_2)
	v_cmp_gt_u32_e64 s13, 0x72, v19
	v_sub_nc_u32_e32 v4, 0x71, v19
	v_cmp_eq_u32_e32 vcc_lo, 0, v19
	v_cndmask_b32_e64 v4, 0, v4, s13
	s_delay_alu instid0(VALU_DEP_1) | instskip(SKIP_1) | instid1(VALU_DEP_2)
	v_cndmask_b32_e64 v87, v4, 0x70, vcc_lo
	v_cndmask_b32_e32 v4, v5, v20, vcc_lo
	v_dual_mov_b32 v5, v21 :: v_dual_add_nc_u32 v12, 21, v87
	v_add_nc_u32_e32 v20, 20, v87
	s_delay_alu instid0(VALU_DEP_2) | instskip(NEXT) | instid1(VALU_DEP_2)
	v_lshlrev_b64_e64 v[12:13], v12, -1
	v_lshlrev_b64_e64 v[96:97], v20, 1
	s_delay_alu instid0(VALU_DEP_2) | instskip(SKIP_1) | instid1(VALU_DEP_4)
	v_bfi_b32 v12, v12, 0, v4
	v_lshrrev_b64 v[4:5], v87, v[4:5]
	v_bfi_b32 v13, v13, 0, 0
	s_delay_alu instid0(VALU_DEP_1) | instskip(NEXT) | instid1(VALU_DEP_3)
	v_cmp_eq_u64_e64 s13, v[12:13], v[96:97]
	v_mov_b64_e32 v[12:13], v[4:5]
	s_and_saveexec_b32 s74, s13
; %bb.2021:                             ;   in Loop: Header=BB6_357 Depth=4
	v_bfe_u32 v12, v4, 21, 1
	v_mov_b32_e32 v13, v21
	s_delay_alu instid0(VALU_DEP_1) | instskip(NEXT) | instid1(VALU_DEP_1)
	v_add_nc_u64_e32 v[12:13], v[4:5], v[12:13]
	v_add_nc_u64_e32 v[12:13], -1, v[12:13]
; %bb.2022:                             ;   in Loop: Header=BB6_357 Depth=4
	s_or_b32 exec_lo, exec_lo, s74
	v_add_nc_u32_e32 v5, 0xffffff81, v19
	v_lshrrev_b32_e32 v13, 23, v4
	s_mov_b32 s13, exec_lo
	s_delay_alu instid0(VALU_DEP_2) | instskip(NEXT) | instid1(VALU_DEP_1)
	v_cndmask_b32_e64 v5, v5, 0xffffff82, vcc_lo
	v_add3_u32 v19, v87, v5, v13
	v_and_b32_e32 v5, 0x1fffff, v12
                                        ; implicit-def: $vgpr12
	s_delay_alu instid0(VALU_DEP_1) | instskip(NEXT) | instid1(VALU_DEP_1)
	v_dual_add_nc_u32 v13, 14, v19 :: v_dual_add_nc_u32 v20, v5, v4
                                        ; implicit-def: $vgpr4_vgpr5
	v_cmpx_ne_u32_e32 0, v13
	s_xor_b32 s13, exec_lo, s13
; %bb.2023:                             ;   in Loop: Header=BB6_357 Depth=4
	s_delay_alu instid0(VALU_DEP_2) | instskip(SKIP_1) | instid1(VALU_DEP_1)
	v_cmp_lt_u64_e32 vcc_lo, 0xffffff, v[20:21]
	v_add_nc_u32_e32 v4, 15, v19
	v_cndmask_b32_e32 v12, v13, v4, vcc_lo
	v_cndmask_b32_e64 v4, 0, 1, vcc_lo
	s_delay_alu instid0(VALU_DEP_1)
	v_lshrrev_b64 v[4:5], v4, v[20:21]
; %bb.2024:                             ;   in Loop: Header=BB6_357 Depth=4
	s_and_not1_saveexec_b32 s13, s13
; %bb.2025:                             ;   in Loop: Header=BB6_357 Depth=4
	v_mov_b64_e32 v[4:5], v[20:21]
	v_bfe_u32 v12, v20, 23, 1
; %bb.2026:                             ;   in Loop: Header=BB6_357 Depth=4
	s_or_b32 exec_lo, exec_lo, s13
	s_delay_alu instid0(VALU_DEP_2) | instskip(NEXT) | instid1(VALU_DEP_2)
	v_lshrrev_b64 v[4:5], 21, v[4:5]
	v_cmp_gt_i32_e32 vcc_lo, 32, v12
	v_min_i32_e32 v13, 31, v12
	v_cmp_eq_u32_e64 s13, 0, v12
	s_delay_alu instid0(VALU_DEP_4) | instskip(NEXT) | instid1(VALU_DEP_3)
	v_cndmask_b32_e32 v5, 0, v5, vcc_lo
	v_dual_cndmask_b32 v4, 3, v4 :: v_dual_lshlrev_b32 v13, 2, v13
	s_delay_alu instid0(VALU_DEP_1) | instskip(NEXT) | instid1(VALU_DEP_2)
	v_and_b32_e32 v13, 0xfc, v13
	v_cmp_eq_u64_e32 vcc_lo, 0, v[4:5]
	s_delay_alu instid0(VALU_DEP_2)
	v_and_or_b32 v4, v4, 3, v13
	s_and_b32 s13, s13, vcc_lo
	s_delay_alu instid0(VALU_DEP_1) | instid1(SALU_CYCLE_1)
	v_cndmask_b32_e64 v4, v4, 0, s13
	s_delay_alu instid0(VALU_DEP_1)
	v_or_b32_e32 v19, v4, v86
.LBB6_2027:                             ;   in Loop: Header=BB6_357 Depth=4
	s_or_b32 exec_lo, exec_lo, s73
                                        ; implicit-def: $vgpr86
.LBB6_2028:                             ;   in Loop: Header=BB6_357 Depth=4
	s_and_not1_saveexec_b32 s13, s72
; %bb.2029:                             ;   in Loop: Header=BB6_357 Depth=4
	v_or_b32_e32 v19, 0x7b, v86
; %bb.2030:                             ;   in Loop: Header=BB6_357 Depth=4
	s_or_b32 exec_lo, exec_lo, s13
                                        ; implicit-def: $vgpr4
                                        ; implicit-def: $vgpr5
.LBB6_2031:                             ;   in Loop: Header=BB6_357 Depth=4
	s_and_not1_saveexec_b32 s13, s63
	s_cbranch_execz .LBB6_2037
; %bb.2032:                             ;   in Loop: Header=BB6_357 Depth=4
	s_mov_b32 s63, exec_lo
                                        ; implicit-def: $vgpr19
	v_cmpx_ne_u64_e32 0, v[20:21]
	s_xor_b32 s63, exec_lo, s63
; %bb.2033:                             ;   in Loop: Header=BB6_357 Depth=4
	v_or_b32_e32 v19, 0x7f, v5
                                        ; implicit-def: $vgpr4
; %bb.2034:                             ;   in Loop: Header=BB6_357 Depth=4
	s_and_not1_saveexec_b32 s63, s63
; %bb.2035:                             ;   in Loop: Header=BB6_357 Depth=4
	v_cmp_lt_i32_e32 vcc_lo, -1, v4
	v_mov_b32_e32 v4, 0x7c
	s_delay_alu instid0(VALU_DEP_1)
	v_cndmask_b32_e32 v19, 0xfc, v4, vcc_lo
; %bb.2036:                             ;   in Loop: Header=BB6_357 Depth=4
	s_or_b32 exec_lo, exec_lo, s63
.LBB6_2037:                             ;   in Loop: Header=BB6_357 Depth=4
	s_delay_alu instid0(SALU_CYCLE_1) | instskip(SKIP_3) | instid1(VALU_DEP_2)
	s_or_b32 exec_lo, exec_lo, s13
	v_dual_mov_b32 v5, 0 :: v_dual_lshrrev_b32 v4, 16, v14
	v_mov_b32_e32 v12, 0
	s_mov_b32 s63, exec_lo
	v_and_b32_e32 v13, 0xff, v4
	s_delay_alu instid0(VALU_DEP_1)
	v_cmpx_ne_u16_e32 0, v13
	s_cbranch_execz .LBB6_2047
; %bb.2038:                             ;   in Loop: Header=BB6_357 Depth=4
	v_bfrev_b32_e32 v12, 1
	s_mov_b32 s72, exec_lo
	v_cmpx_ne_u16_e32 0x80, v13
	s_cbranch_execz .LBB6_2046
; %bb.2039:                             ;   in Loop: Header=BB6_357 Depth=4
	v_and_b32_e32 v12, 0x7c0000, v14
	v_bfe_u32 v13, v14, 16, 2
	s_delay_alu instid0(VALU_DEP_2) | instskip(SKIP_1) | instid1(SALU_CYCLE_1)
	v_cmp_ne_u32_e32 vcc_lo, 0x7c0000, v12
                                        ; implicit-def: $vgpr12
	s_and_saveexec_b32 s13, vcc_lo
	s_xor_b32 s13, exec_lo, s13
	s_cbranch_execz .LBB6_2043
; %bb.2040:                             ;   in Loop: Header=BB6_357 Depth=4
	v_bfe_u32 v12, v14, 18, 5
	s_mov_b32 s73, exec_lo
	s_delay_alu instid0(VALU_DEP_1)
	v_cmpx_eq_u32_e32 0, v12
; %bb.2041:                             ;   in Loop: Header=BB6_357 Depth=4
	v_clz_i32_u32_e32 v12, v13
	s_delay_alu instid0(VALU_DEP_1) | instskip(NEXT) | instid1(VALU_DEP_1)
	v_min_u32_e32 v12, 32, v12
	v_subrev_nc_u32_e32 v13, 29, v12
	s_delay_alu instid0(VALU_DEP_1) | instskip(NEXT) | instid1(VALU_DEP_1)
	v_lshlrev_b64_e32 v[86:87], v13, v[4:5]
	v_dual_sub_nc_u32 v12, 30, v12 :: v_dual_bitop2_b32 v13, 3, v86 bitop3:0x40
; %bb.2042:                             ;   in Loop: Header=BB6_357 Depth=4
	s_or_b32 exec_lo, exec_lo, s73
	v_lshlrev_b32_e32 v4, 24, v4
	s_delay_alu instid0(VALU_DEP_1) | instskip(NEXT) | instid1(VALU_DEP_1)
	v_and_b32_e32 v4, 0x80000000, v4
	v_lshl_add_u32 v4, v12, 23, v4
	s_delay_alu instid0(VALU_DEP_1) | instskip(NEXT) | instid1(VALU_DEP_1)
	v_lshl_or_b32 v4, v13, 21, v4
                                        ; implicit-def: $vgpr13
	v_add_nc_u32_e32 v12, 0x38000000, v4
                                        ; implicit-def: $vgpr4
.LBB6_2043:                             ;   in Loop: Header=BB6_357 Depth=4
	s_and_not1_saveexec_b32 s73, s13
; %bb.2044:                             ;   in Loop: Header=BB6_357 Depth=4
	v_bfe_i32 v4, v4, 0, 8
	v_cmp_eq_u32_e32 vcc_lo, 0, v13
	s_delay_alu instid0(VALU_DEP_2) | instskip(SKIP_1) | instid1(VALU_DEP_1)
	v_cmp_lt_i16_e64 s13, -1, v4
	v_mov_b32_e32 v4, 0x7f800000
	v_cndmask_b32_e64 v4, 0xff800000, v4, s13
	s_delay_alu instid0(VALU_DEP_1)
	v_cndmask_b32_e32 v12, 0x7f800001, v4, vcc_lo
; %bb.2045:                             ;   in Loop: Header=BB6_357 Depth=4
	s_or_b32 exec_lo, exec_lo, s73
.LBB6_2046:                             ;   in Loop: Header=BB6_357 Depth=4
	s_delay_alu instid0(SALU_CYCLE_1)
	s_or_b32 exec_lo, exec_lo, s72
.LBB6_2047:                             ;   in Loop: Header=BB6_357 Depth=4
	s_delay_alu instid0(SALU_CYCLE_1) | instskip(SKIP_2) | instid1(VALU_DEP_1)
	s_or_b32 exec_lo, exec_lo, s63
	v_lshrrev_b32_e32 v4, 16, v6
	s_mov_b32 s63, exec_lo
	v_and_b32_e32 v13, 0xff, v4
	s_delay_alu instid0(VALU_DEP_1)
	v_cmpx_ne_u16_e32 0, v13
	s_cbranch_execz .LBB6_2057
; %bb.2048:                             ;   in Loop: Header=BB6_357 Depth=4
	v_bfrev_b32_e32 v5, 1
	s_mov_b32 s72, exec_lo
	v_cmpx_ne_u16_e32 0x80, v13
	s_cbranch_execz .LBB6_2056
; %bb.2049:                             ;   in Loop: Header=BB6_357 Depth=4
	v_and_b32_e32 v5, 0x7c0000, v6
	v_bfe_u32 v13, v6, 16, 2
	s_delay_alu instid0(VALU_DEP_2) | instskip(SKIP_1) | instid1(SALU_CYCLE_1)
	v_cmp_ne_u32_e32 vcc_lo, 0x7c0000, v5
                                        ; implicit-def: $vgpr5
	s_and_saveexec_b32 s13, vcc_lo
	s_xor_b32 s13, exec_lo, s13
	s_cbranch_execz .LBB6_2053
; %bb.2050:                             ;   in Loop: Header=BB6_357 Depth=4
	v_bfe_u32 v5, v6, 18, 5
	s_mov_b32 s73, exec_lo
	s_delay_alu instid0(VALU_DEP_1)
	v_cmpx_eq_u32_e32 0, v5
; %bb.2051:                             ;   in Loop: Header=BB6_357 Depth=4
	v_clz_i32_u32_e32 v5, v13
	s_delay_alu instid0(VALU_DEP_1) | instskip(NEXT) | instid1(VALU_DEP_1)
	v_min_u32_e32 v5, 32, v5
	v_subrev_nc_u32_e32 v13, 29, v5
	s_delay_alu instid0(VALU_DEP_1) | instskip(NEXT) | instid1(VALU_DEP_1)
	v_lshlrev_b64_e32 v[86:87], v13, v[4:5]
	v_dual_sub_nc_u32 v5, 30, v5 :: v_dual_bitop2_b32 v13, 3, v86 bitop3:0x40
; %bb.2052:                             ;   in Loop: Header=BB6_357 Depth=4
	s_or_b32 exec_lo, exec_lo, s73
	v_lshlrev_b32_e32 v4, 24, v4
	s_delay_alu instid0(VALU_DEP_1) | instskip(NEXT) | instid1(VALU_DEP_1)
	v_and_b32_e32 v4, 0x80000000, v4
	v_lshl_add_u32 v4, v5, 23, v4
	s_delay_alu instid0(VALU_DEP_1) | instskip(NEXT) | instid1(VALU_DEP_1)
	v_lshl_or_b32 v4, v13, 21, v4
                                        ; implicit-def: $vgpr13
	v_add_nc_u32_e32 v5, 0x38000000, v4
                                        ; implicit-def: $vgpr4
.LBB6_2053:                             ;   in Loop: Header=BB6_357 Depth=4
	s_and_not1_saveexec_b32 s73, s13
; %bb.2054:                             ;   in Loop: Header=BB6_357 Depth=4
	v_bfe_i32 v4, v4, 0, 8
	v_cmp_eq_u32_e32 vcc_lo, 0, v13
	s_delay_alu instid0(VALU_DEP_2) | instskip(SKIP_1) | instid1(VALU_DEP_1)
	v_cmp_lt_i16_e64 s13, -1, v4
	v_mov_b32_e32 v4, 0x7f800000
	v_cndmask_b32_e64 v4, 0xff800000, v4, s13
	s_delay_alu instid0(VALU_DEP_1)
	v_cndmask_b32_e32 v5, 0x7f800001, v4, vcc_lo
; %bb.2055:                             ;   in Loop: Header=BB6_357 Depth=4
	s_or_b32 exec_lo, exec_lo, s73
.LBB6_2056:                             ;   in Loop: Header=BB6_357 Depth=4
	s_delay_alu instid0(SALU_CYCLE_1)
	s_or_b32 exec_lo, exec_lo, s72
.LBB6_2057:                             ;   in Loop: Header=BB6_357 Depth=4
	s_delay_alu instid0(SALU_CYCLE_1) | instskip(NEXT) | instid1(VALU_DEP_1)
	s_or_b32 exec_lo, exec_lo, s63
	v_dual_mul_f32 v4, v12, v5 :: v_dual_mov_b32 v13, v21
                                        ; implicit-def: $vgpr86
	s_mov_b32 s13, exec_lo
	s_delay_alu instid0(VALU_DEP_1) | instskip(SKIP_2) | instid1(VALU_DEP_3)
	v_and_b32_e32 v12, 0x7f800000, v4
	v_and_b32_e32 v20, 0x7fffff, v4
	v_lshrrev_b32_e32 v5, 24, v4
	v_cmpx_ne_u64_e32 0x7f800000, v[12:13]
	s_xor_b32 s63, exec_lo, s13
	s_cbranch_execz .LBB6_2071
; %bb.2058:                             ;   in Loop: Header=BB6_357 Depth=4
	v_and_b32_e32 v12, 0x7fffffff, v4
	v_mov_b32_e32 v13, v21
	v_and_b32_e32 v87, 0x80, v5
                                        ; implicit-def: $vgpr86
	s_mov_b32 s13, exec_lo
	s_delay_alu instid0(VALU_DEP_2)
	v_cmpx_gt_u64_e32 0x47600001, v[12:13]
	s_xor_b32 s72, exec_lo, s13
	s_cbranch_execz .LBB6_2068
; %bb.2059:                             ;   in Loop: Header=BB6_357 Depth=4
	v_mov_b32_e32 v86, 0
	s_mov_b32 s73, exec_lo
	v_cmpx_ne_u32_e32 0, v4
	s_cbranch_execz .LBB6_2067
; %bb.2060:                             ;   in Loop: Header=BB6_357 Depth=4
	v_bfe_u32 v86, v4, 23, 8
	v_or_b32_e32 v5, 0x800000, v20
	s_delay_alu instid0(VALU_DEP_2) | instskip(SKIP_2) | instid1(VALU_DEP_2)
	v_cmp_gt_u32_e64 s13, 0x72, v86
	v_sub_nc_u32_e32 v4, 0x71, v86
	v_cmp_eq_u32_e32 vcc_lo, 0, v86
	v_cndmask_b32_e64 v4, 0, v4, s13
	s_delay_alu instid0(VALU_DEP_1) | instskip(SKIP_1) | instid1(VALU_DEP_2)
	v_cndmask_b32_e64 v96, v4, 0x70, vcc_lo
	v_cndmask_b32_e32 v4, v5, v20, vcc_lo
	v_dual_mov_b32 v5, v21 :: v_dual_add_nc_u32 v12, 21, v96
	v_add_nc_u32_e32 v20, 20, v96
	s_delay_alu instid0(VALU_DEP_2) | instskip(NEXT) | instid1(VALU_DEP_2)
	v_lshlrev_b64_e64 v[12:13], v12, -1
	v_lshlrev_b64_e64 v[98:99], v20, 1
	s_delay_alu instid0(VALU_DEP_2) | instskip(SKIP_1) | instid1(VALU_DEP_4)
	v_bfi_b32 v12, v12, 0, v4
	v_lshrrev_b64 v[4:5], v96, v[4:5]
	v_bfi_b32 v13, v13, 0, 0
	s_delay_alu instid0(VALU_DEP_1) | instskip(NEXT) | instid1(VALU_DEP_3)
	v_cmp_eq_u64_e64 s13, v[12:13], v[98:99]
	v_mov_b64_e32 v[12:13], v[4:5]
	s_and_saveexec_b32 s74, s13
; %bb.2061:                             ;   in Loop: Header=BB6_357 Depth=4
	v_bfe_u32 v12, v4, 21, 1
	v_mov_b32_e32 v13, v21
	s_delay_alu instid0(VALU_DEP_1) | instskip(NEXT) | instid1(VALU_DEP_1)
	v_add_nc_u64_e32 v[12:13], v[4:5], v[12:13]
	v_add_nc_u64_e32 v[12:13], -1, v[12:13]
; %bb.2062:                             ;   in Loop: Header=BB6_357 Depth=4
	s_or_b32 exec_lo, exec_lo, s74
	v_add_nc_u32_e32 v5, 0xffffff81, v86
	v_lshrrev_b32_e32 v13, 23, v4
	s_mov_b32 s13, exec_lo
	s_delay_alu instid0(VALU_DEP_2) | instskip(NEXT) | instid1(VALU_DEP_1)
	v_cndmask_b32_e64 v5, v5, 0xffffff82, vcc_lo
	v_add3_u32 v86, v96, v5, v13
	v_and_b32_e32 v5, 0x1fffff, v12
                                        ; implicit-def: $vgpr12
	s_delay_alu instid0(VALU_DEP_1) | instskip(NEXT) | instid1(VALU_DEP_1)
	v_dual_add_nc_u32 v13, 14, v86 :: v_dual_add_nc_u32 v20, v5, v4
                                        ; implicit-def: $vgpr4_vgpr5
	v_cmpx_ne_u32_e32 0, v13
	s_xor_b32 s13, exec_lo, s13
; %bb.2063:                             ;   in Loop: Header=BB6_357 Depth=4
	s_delay_alu instid0(VALU_DEP_2) | instskip(SKIP_1) | instid1(VALU_DEP_1)
	v_cmp_lt_u64_e32 vcc_lo, 0xffffff, v[20:21]
	v_add_nc_u32_e32 v4, 15, v86
	v_cndmask_b32_e32 v12, v13, v4, vcc_lo
	v_cndmask_b32_e64 v4, 0, 1, vcc_lo
	s_delay_alu instid0(VALU_DEP_1)
	v_lshrrev_b64 v[4:5], v4, v[20:21]
; %bb.2064:                             ;   in Loop: Header=BB6_357 Depth=4
	s_and_not1_saveexec_b32 s13, s13
; %bb.2065:                             ;   in Loop: Header=BB6_357 Depth=4
	v_mov_b64_e32 v[4:5], v[20:21]
	v_bfe_u32 v12, v20, 23, 1
; %bb.2066:                             ;   in Loop: Header=BB6_357 Depth=4
	s_or_b32 exec_lo, exec_lo, s13
	s_delay_alu instid0(VALU_DEP_2) | instskip(NEXT) | instid1(VALU_DEP_2)
	v_lshrrev_b64 v[4:5], 21, v[4:5]
	v_cmp_gt_i32_e32 vcc_lo, 32, v12
	v_min_i32_e32 v13, 31, v12
	v_cmp_eq_u32_e64 s13, 0, v12
	s_delay_alu instid0(VALU_DEP_4) | instskip(NEXT) | instid1(VALU_DEP_3)
	v_cndmask_b32_e32 v5, 0, v5, vcc_lo
	v_dual_cndmask_b32 v4, 3, v4 :: v_dual_lshlrev_b32 v13, 2, v13
	s_delay_alu instid0(VALU_DEP_1) | instskip(NEXT) | instid1(VALU_DEP_2)
	v_and_b32_e32 v13, 0xfc, v13
	v_cmp_eq_u64_e32 vcc_lo, 0, v[4:5]
	s_delay_alu instid0(VALU_DEP_2)
	v_and_or_b32 v4, v4, 3, v13
	s_and_b32 s13, s13, vcc_lo
	s_delay_alu instid0(VALU_DEP_1) | instid1(SALU_CYCLE_1)
	v_cndmask_b32_e64 v4, v4, 0, s13
	s_delay_alu instid0(VALU_DEP_1)
	v_or_b32_e32 v86, v4, v87
.LBB6_2067:                             ;   in Loop: Header=BB6_357 Depth=4
	s_or_b32 exec_lo, exec_lo, s73
                                        ; implicit-def: $vgpr87
.LBB6_2068:                             ;   in Loop: Header=BB6_357 Depth=4
	s_and_not1_saveexec_b32 s13, s72
; %bb.2069:                             ;   in Loop: Header=BB6_357 Depth=4
	v_or_b32_e32 v86, 0x7b, v87
; %bb.2070:                             ;   in Loop: Header=BB6_357 Depth=4
	s_or_b32 exec_lo, exec_lo, s13
                                        ; implicit-def: $vgpr4
                                        ; implicit-def: $vgpr5
.LBB6_2071:                             ;   in Loop: Header=BB6_357 Depth=4
	s_and_not1_saveexec_b32 s13, s63
	s_cbranch_execz .LBB6_2077
; %bb.2072:                             ;   in Loop: Header=BB6_357 Depth=4
	s_mov_b32 s63, exec_lo
                                        ; implicit-def: $vgpr86
	v_cmpx_ne_u64_e32 0, v[20:21]
	s_xor_b32 s63, exec_lo, s63
; %bb.2073:                             ;   in Loop: Header=BB6_357 Depth=4
	v_or_b32_e32 v86, 0x7f, v5
                                        ; implicit-def: $vgpr4
; %bb.2074:                             ;   in Loop: Header=BB6_357 Depth=4
	s_and_not1_saveexec_b32 s63, s63
; %bb.2075:                             ;   in Loop: Header=BB6_357 Depth=4
	v_cmp_lt_i32_e32 vcc_lo, -1, v4
	v_mov_b32_e32 v4, 0x7c
	s_delay_alu instid0(VALU_DEP_1)
	v_cndmask_b32_e32 v86, 0xfc, v4, vcc_lo
; %bb.2076:                             ;   in Loop: Header=BB6_357 Depth=4
	s_or_b32 exec_lo, exec_lo, s63
.LBB6_2077:                             ;   in Loop: Header=BB6_357 Depth=4
	s_delay_alu instid0(SALU_CYCLE_1)
	s_or_b32 exec_lo, exec_lo, s13
	v_dual_mov_b32 v5, 0 :: v_dual_mov_b32 v12, 0
	s_mov_b32 s63, exec_lo
	v_cmpx_lt_u32_e32 0xffffff, v14
	s_cbranch_execz .LBB6_2087
; %bb.2078:                             ;   in Loop: Header=BB6_357 Depth=4
	v_lshrrev_b32_e32 v4, 24, v14
	v_bfrev_b32_e32 v12, 1
	s_mov_b32 s72, exec_lo
	s_delay_alu instid0(VALU_DEP_2)
	v_cmpx_ne_u32_e32 0x80, v4
	s_cbranch_execz .LBB6_2086
; %bb.2079:                             ;   in Loop: Header=BB6_357 Depth=4
	v_and_b32_e32 v12, 0x7c000000, v14
	v_bfe_u32 v13, v14, 24, 2
	s_delay_alu instid0(VALU_DEP_2) | instskip(SKIP_1) | instid1(SALU_CYCLE_1)
	v_cmp_ne_u32_e32 vcc_lo, 0x7c000000, v12
                                        ; implicit-def: $vgpr12
	s_and_saveexec_b32 s13, vcc_lo
	s_xor_b32 s13, exec_lo, s13
	s_cbranch_execz .LBB6_2083
; %bb.2080:                             ;   in Loop: Header=BB6_357 Depth=4
	v_bfe_u32 v12, v14, 26, 5
	s_mov_b32 s73, exec_lo
	s_delay_alu instid0(VALU_DEP_1)
	v_cmpx_eq_u32_e32 0, v12
; %bb.2081:                             ;   in Loop: Header=BB6_357 Depth=4
	v_clz_i32_u32_e32 v12, v13
	s_delay_alu instid0(VALU_DEP_1) | instskip(NEXT) | instid1(VALU_DEP_1)
	v_min_u32_e32 v12, 32, v12
	v_subrev_nc_u32_e32 v13, 29, v12
	v_sub_nc_u32_e32 v12, 30, v12
	s_delay_alu instid0(VALU_DEP_2) | instskip(NEXT) | instid1(VALU_DEP_1)
	v_lshlrev_b64_e32 v[96:97], v13, v[4:5]
	v_and_b32_e32 v13, 3, v96
; %bb.2082:                             ;   in Loop: Header=BB6_357 Depth=4
	s_or_b32 exec_lo, exec_lo, s73
	v_and_b32_e32 v4, 0x80000000, v14
	s_delay_alu instid0(VALU_DEP_1) | instskip(NEXT) | instid1(VALU_DEP_1)
	v_lshl_add_u32 v4, v12, 23, v4
	v_lshl_or_b32 v4, v13, 21, v4
                                        ; implicit-def: $vgpr13
	s_delay_alu instid0(VALU_DEP_1)
	v_add_nc_u32_e32 v12, 0x38000000, v4
.LBB6_2083:                             ;   in Loop: Header=BB6_357 Depth=4
	s_and_not1_saveexec_b32 s73, s13
; %bb.2084:                             ;   in Loop: Header=BB6_357 Depth=4
	v_cmp_lt_i32_e64 s13, -1, v14
	v_mov_b32_e32 v4, 0x7f800000
	v_cmp_eq_u32_e32 vcc_lo, 0, v13
	s_delay_alu instid0(VALU_DEP_2) | instskip(NEXT) | instid1(VALU_DEP_1)
	v_cndmask_b32_e64 v4, 0xff800000, v4, s13
	v_cndmask_b32_e32 v12, 0x7f800001, v4, vcc_lo
; %bb.2085:                             ;   in Loop: Header=BB6_357 Depth=4
	s_or_b32 exec_lo, exec_lo, s73
.LBB6_2086:                             ;   in Loop: Header=BB6_357 Depth=4
	s_delay_alu instid0(SALU_CYCLE_1)
	s_or_b32 exec_lo, exec_lo, s72
.LBB6_2087:                             ;   in Loop: Header=BB6_357 Depth=4
	s_delay_alu instid0(SALU_CYCLE_1) | instskip(NEXT) | instid1(SALU_CYCLE_1)
	s_or_b32 exec_lo, exec_lo, s63
	s_mov_b32 s63, exec_lo
	v_cmpx_lt_u32_e32 0xffffff, v6
	s_cbranch_execz .LBB6_2097
; %bb.2088:                             ;   in Loop: Header=BB6_357 Depth=4
	v_lshrrev_b32_e32 v4, 24, v6
	v_bfrev_b32_e32 v5, 1
	s_mov_b32 s72, exec_lo
	s_delay_alu instid0(VALU_DEP_2)
	v_cmpx_ne_u32_e32 0x80, v4
	s_cbranch_execz .LBB6_2096
; %bb.2089:                             ;   in Loop: Header=BB6_357 Depth=4
	v_and_b32_e32 v5, 0x7c000000, v6
	v_bfe_u32 v13, v6, 24, 2
	s_delay_alu instid0(VALU_DEP_2) | instskip(SKIP_1) | instid1(SALU_CYCLE_1)
	v_cmp_ne_u32_e32 vcc_lo, 0x7c000000, v5
                                        ; implicit-def: $vgpr5
	s_and_saveexec_b32 s13, vcc_lo
	s_xor_b32 s13, exec_lo, s13
	s_cbranch_execz .LBB6_2093
; %bb.2090:                             ;   in Loop: Header=BB6_357 Depth=4
	v_bfe_u32 v5, v6, 26, 5
	s_mov_b32 s73, exec_lo
	s_delay_alu instid0(VALU_DEP_1)
	v_cmpx_eq_u32_e32 0, v5
; %bb.2091:                             ;   in Loop: Header=BB6_357 Depth=4
	v_clz_i32_u32_e32 v5, v13
	s_delay_alu instid0(VALU_DEP_1) | instskip(NEXT) | instid1(VALU_DEP_1)
	v_min_u32_e32 v13, 32, v5
	v_subrev_nc_u32_e32 v5, 29, v13
	s_delay_alu instid0(VALU_DEP_1) | instskip(NEXT) | instid1(VALU_DEP_1)
	v_lshlrev_b64_e32 v[4:5], v5, v[4:5]
	v_dual_sub_nc_u32 v5, 30, v13 :: v_dual_bitop2_b32 v13, 3, v4 bitop3:0x40
; %bb.2092:                             ;   in Loop: Header=BB6_357 Depth=4
	s_or_b32 exec_lo, exec_lo, s73
	v_and_b32_e32 v4, 0x80000000, v6
	s_delay_alu instid0(VALU_DEP_1) | instskip(NEXT) | instid1(VALU_DEP_1)
	v_lshl_add_u32 v4, v5, 23, v4
	v_lshl_or_b32 v4, v13, 21, v4
                                        ; implicit-def: $vgpr13
	s_delay_alu instid0(VALU_DEP_1)
	v_add_nc_u32_e32 v5, 0x38000000, v4
.LBB6_2093:                             ;   in Loop: Header=BB6_357 Depth=4
	s_and_not1_saveexec_b32 s73, s13
; %bb.2094:                             ;   in Loop: Header=BB6_357 Depth=4
	v_cmp_lt_i32_e64 s13, -1, v6
	v_mov_b32_e32 v4, 0x7f800000
	v_cmp_eq_u32_e32 vcc_lo, 0, v13
	s_delay_alu instid0(VALU_DEP_2) | instskip(NEXT) | instid1(VALU_DEP_1)
	v_cndmask_b32_e64 v4, 0xff800000, v4, s13
	v_cndmask_b32_e32 v5, 0x7f800001, v4, vcc_lo
; %bb.2095:                             ;   in Loop: Header=BB6_357 Depth=4
	s_or_b32 exec_lo, exec_lo, s73
.LBB6_2096:                             ;   in Loop: Header=BB6_357 Depth=4
	s_delay_alu instid0(SALU_CYCLE_1)
	s_or_b32 exec_lo, exec_lo, s72
.LBB6_2097:                             ;   in Loop: Header=BB6_357 Depth=4
	s_delay_alu instid0(SALU_CYCLE_1) | instskip(NEXT) | instid1(VALU_DEP_1)
	s_or_b32 exec_lo, exec_lo, s63
	v_dual_mul_f32 v4, v12, v5 :: v_dual_mov_b32 v13, v21
                                        ; implicit-def: $vgpr87
	s_mov_b32 s13, exec_lo
	s_delay_alu instid0(VALU_DEP_1) | instskip(SKIP_2) | instid1(VALU_DEP_3)
	v_and_b32_e32 v12, 0x7f800000, v4
	v_and_b32_e32 v20, 0x7fffff, v4
	v_lshrrev_b32_e32 v5, 24, v4
	v_cmpx_ne_u64_e32 0x7f800000, v[12:13]
	s_xor_b32 s63, exec_lo, s13
	s_cbranch_execz .LBB6_2111
; %bb.2098:                             ;   in Loop: Header=BB6_357 Depth=4
	v_and_b32_e32 v12, 0x7fffffff, v4
	v_mov_b32_e32 v13, v21
	v_and_b32_e32 v96, 0x80, v5
                                        ; implicit-def: $vgpr87
	s_mov_b32 s13, exec_lo
	s_delay_alu instid0(VALU_DEP_2)
	v_cmpx_gt_u64_e32 0x47600001, v[12:13]
	s_xor_b32 s72, exec_lo, s13
	s_cbranch_execz .LBB6_2108
; %bb.2099:                             ;   in Loop: Header=BB6_357 Depth=4
	v_mov_b32_e32 v87, 0
	s_mov_b32 s73, exec_lo
	v_cmpx_ne_u32_e32 0, v4
	s_cbranch_execz .LBB6_2107
; %bb.2100:                             ;   in Loop: Header=BB6_357 Depth=4
	v_bfe_u32 v87, v4, 23, 8
	v_or_b32_e32 v5, 0x800000, v20
	s_delay_alu instid0(VALU_DEP_2) | instskip(SKIP_2) | instid1(VALU_DEP_2)
	v_cmp_gt_u32_e64 s13, 0x72, v87
	v_sub_nc_u32_e32 v4, 0x71, v87
	v_cmp_eq_u32_e32 vcc_lo, 0, v87
	v_cndmask_b32_e64 v4, 0, v4, s13
	s_delay_alu instid0(VALU_DEP_1) | instskip(SKIP_1) | instid1(VALU_DEP_2)
	v_cndmask_b32_e64 v97, v4, 0x70, vcc_lo
	v_cndmask_b32_e32 v4, v5, v20, vcc_lo
	v_dual_mov_b32 v5, v21 :: v_dual_add_nc_u32 v12, 21, v97
	v_add_nc_u32_e32 v20, 20, v97
	s_delay_alu instid0(VALU_DEP_2) | instskip(NEXT) | instid1(VALU_DEP_2)
	v_lshlrev_b64_e64 v[12:13], v12, -1
	v_lshlrev_b64_e64 v[98:99], v20, 1
	s_delay_alu instid0(VALU_DEP_2) | instskip(SKIP_1) | instid1(VALU_DEP_4)
	v_bfi_b32 v12, v12, 0, v4
	v_lshrrev_b64 v[4:5], v97, v[4:5]
	v_bfi_b32 v13, v13, 0, 0
	s_delay_alu instid0(VALU_DEP_1) | instskip(NEXT) | instid1(VALU_DEP_3)
	v_cmp_eq_u64_e64 s13, v[12:13], v[98:99]
	v_mov_b64_e32 v[12:13], v[4:5]
	s_and_saveexec_b32 s74, s13
; %bb.2101:                             ;   in Loop: Header=BB6_357 Depth=4
	v_bfe_u32 v12, v4, 21, 1
	v_mov_b32_e32 v13, v21
	s_delay_alu instid0(VALU_DEP_1) | instskip(NEXT) | instid1(VALU_DEP_1)
	v_add_nc_u64_e32 v[12:13], v[4:5], v[12:13]
	v_add_nc_u64_e32 v[12:13], -1, v[12:13]
; %bb.2102:                             ;   in Loop: Header=BB6_357 Depth=4
	s_or_b32 exec_lo, exec_lo, s74
	v_add_nc_u32_e32 v5, 0xffffff81, v87
	v_lshrrev_b32_e32 v13, 23, v4
	s_mov_b32 s13, exec_lo
	s_delay_alu instid0(VALU_DEP_2) | instskip(NEXT) | instid1(VALU_DEP_1)
	v_cndmask_b32_e64 v5, v5, 0xffffff82, vcc_lo
	v_add3_u32 v87, v97, v5, v13
	v_and_b32_e32 v5, 0x1fffff, v12
                                        ; implicit-def: $vgpr12
	s_delay_alu instid0(VALU_DEP_1) | instskip(NEXT) | instid1(VALU_DEP_1)
	v_dual_add_nc_u32 v13, 14, v87 :: v_dual_add_nc_u32 v20, v5, v4
                                        ; implicit-def: $vgpr4_vgpr5
	v_cmpx_ne_u32_e32 0, v13
	s_xor_b32 s13, exec_lo, s13
; %bb.2103:                             ;   in Loop: Header=BB6_357 Depth=4
	s_delay_alu instid0(VALU_DEP_2) | instskip(SKIP_1) | instid1(VALU_DEP_1)
	v_cmp_lt_u64_e32 vcc_lo, 0xffffff, v[20:21]
	v_add_nc_u32_e32 v4, 15, v87
	v_cndmask_b32_e32 v12, v13, v4, vcc_lo
	v_cndmask_b32_e64 v4, 0, 1, vcc_lo
	s_delay_alu instid0(VALU_DEP_1)
	v_lshrrev_b64 v[4:5], v4, v[20:21]
; %bb.2104:                             ;   in Loop: Header=BB6_357 Depth=4
	s_and_not1_saveexec_b32 s13, s13
; %bb.2105:                             ;   in Loop: Header=BB6_357 Depth=4
	v_mov_b64_e32 v[4:5], v[20:21]
	v_bfe_u32 v12, v20, 23, 1
; %bb.2106:                             ;   in Loop: Header=BB6_357 Depth=4
	s_or_b32 exec_lo, exec_lo, s13
	s_delay_alu instid0(VALU_DEP_2) | instskip(NEXT) | instid1(VALU_DEP_2)
	v_lshrrev_b64 v[4:5], 21, v[4:5]
	v_cmp_gt_i32_e32 vcc_lo, 32, v12
	v_min_i32_e32 v13, 31, v12
	v_cmp_eq_u32_e64 s13, 0, v12
	s_delay_alu instid0(VALU_DEP_4) | instskip(NEXT) | instid1(VALU_DEP_3)
	v_cndmask_b32_e32 v5, 0, v5, vcc_lo
	v_dual_cndmask_b32 v4, 3, v4 :: v_dual_lshlrev_b32 v13, 2, v13
	s_delay_alu instid0(VALU_DEP_1) | instskip(NEXT) | instid1(VALU_DEP_2)
	v_and_b32_e32 v13, 0xfc, v13
	v_cmp_eq_u64_e32 vcc_lo, 0, v[4:5]
	s_delay_alu instid0(VALU_DEP_2)
	v_and_or_b32 v4, v4, 3, v13
	s_and_b32 s13, s13, vcc_lo
	s_delay_alu instid0(VALU_DEP_1) | instid1(SALU_CYCLE_1)
	v_cndmask_b32_e64 v4, v4, 0, s13
	s_delay_alu instid0(VALU_DEP_1)
	v_or_b32_e32 v87, v4, v96
.LBB6_2107:                             ;   in Loop: Header=BB6_357 Depth=4
	s_or_b32 exec_lo, exec_lo, s73
                                        ; implicit-def: $vgpr96
.LBB6_2108:                             ;   in Loop: Header=BB6_357 Depth=4
	s_and_not1_saveexec_b32 s13, s72
; %bb.2109:                             ;   in Loop: Header=BB6_357 Depth=4
	v_or_b32_e32 v87, 0x7b, v96
; %bb.2110:                             ;   in Loop: Header=BB6_357 Depth=4
	s_or_b32 exec_lo, exec_lo, s13
                                        ; implicit-def: $vgpr4
                                        ; implicit-def: $vgpr5
.LBB6_2111:                             ;   in Loop: Header=BB6_357 Depth=4
	s_and_not1_saveexec_b32 s13, s63
	s_cbranch_execz .LBB6_2117
; %bb.2112:                             ;   in Loop: Header=BB6_357 Depth=4
	s_mov_b32 s63, exec_lo
                                        ; implicit-def: $vgpr87
	v_cmpx_ne_u64_e32 0, v[20:21]
	s_xor_b32 s63, exec_lo, s63
; %bb.2113:                             ;   in Loop: Header=BB6_357 Depth=4
	v_or_b32_e32 v87, 0x7f, v5
                                        ; implicit-def: $vgpr4
; %bb.2114:                             ;   in Loop: Header=BB6_357 Depth=4
	s_and_not1_saveexec_b32 s63, s63
; %bb.2115:                             ;   in Loop: Header=BB6_357 Depth=4
	v_cmp_lt_i32_e32 vcc_lo, -1, v4
	v_mov_b32_e32 v4, 0x7c
	s_delay_alu instid0(VALU_DEP_1)
	v_cndmask_b32_e32 v87, 0xfc, v4, vcc_lo
; %bb.2116:                             ;   in Loop: Header=BB6_357 Depth=4
	s_or_b32 exec_lo, exec_lo, s63
.LBB6_2117:                             ;   in Loop: Header=BB6_357 Depth=4
	s_delay_alu instid0(SALU_CYCLE_1) | instskip(SKIP_4) | instid1(VALU_DEP_3)
	s_or_b32 exec_lo, exec_lo, s13
	v_and_b32_e32 v12, 0xff, v15
	v_dual_mov_b32 v20, v15 :: v_dual_mov_b32 v5, 0
	v_mov_b32_e32 v4, 0
	s_mov_b32 s63, exec_lo
	v_cmpx_ne_u16_e32 0, v12
	s_cbranch_execz .LBB6_2127
; %bb.2118:                             ;   in Loop: Header=BB6_357 Depth=4
	v_bfrev_b32_e32 v4, 1
	s_mov_b32 s72, exec_lo
	v_cmpx_ne_u16_e32 0x80, v12
	s_cbranch_execz .LBB6_2126
; %bb.2119:                             ;   in Loop: Header=BB6_357 Depth=4
	v_and_b32_e32 v4, 0x7c, v15
	v_and_b32_e32 v12, 3, v15
	s_delay_alu instid0(VALU_DEP_2) | instskip(SKIP_1) | instid1(SALU_CYCLE_1)
	v_cmp_ne_u32_e32 vcc_lo, 0x7c, v4
                                        ; implicit-def: $vgpr4
	s_and_saveexec_b32 s13, vcc_lo
	s_xor_b32 s13, exec_lo, s13
	s_cbranch_execz .LBB6_2123
; %bb.2120:                             ;   in Loop: Header=BB6_357 Depth=4
	v_bfe_u32 v4, v15, 2, 5
	s_mov_b32 s73, exec_lo
	s_delay_alu instid0(VALU_DEP_1)
	v_cmpx_eq_u32_e32 0, v4
; %bb.2121:                             ;   in Loop: Header=BB6_357 Depth=4
	v_clz_i32_u32_e32 v4, v12
	s_delay_alu instid0(VALU_DEP_1) | instskip(NEXT) | instid1(VALU_DEP_1)
	v_min_u32_e32 v4, 32, v4
	v_subrev_nc_u32_e32 v12, 29, v4
	v_sub_nc_u32_e32 v4, 30, v4
	s_delay_alu instid0(VALU_DEP_2) | instskip(NEXT) | instid1(VALU_DEP_1)
	v_lshlrev_b64_e32 v[12:13], v12, v[20:21]
	v_and_b32_e32 v12, 3, v12
; %bb.2122:                             ;   in Loop: Header=BB6_357 Depth=4
	s_or_b32 exec_lo, exec_lo, s73
	v_lshlrev_b32_e32 v13, 24, v15
	s_delay_alu instid0(VALU_DEP_1) | instskip(NEXT) | instid1(VALU_DEP_1)
	v_and_b32_e32 v13, 0x80000000, v13
	v_lshl_add_u32 v4, v4, 23, v13
	s_delay_alu instid0(VALU_DEP_1) | instskip(NEXT) | instid1(VALU_DEP_1)
	v_lshl_or_b32 v4, v12, 21, v4
                                        ; implicit-def: $vgpr12
	v_add_nc_u32_e32 v4, 0x38000000, v4
.LBB6_2123:                             ;   in Loop: Header=BB6_357 Depth=4
	s_and_not1_saveexec_b32 s73, s13
; %bb.2124:                             ;   in Loop: Header=BB6_357 Depth=4
	v_bfe_i32 v4, v15, 0, 8
	v_cmp_eq_u32_e32 vcc_lo, 0, v12
	s_delay_alu instid0(VALU_DEP_2) | instskip(SKIP_1) | instid1(VALU_DEP_1)
	v_cmp_lt_i16_e64 s13, -1, v4
	v_mov_b32_e32 v4, 0x7f800000
	v_cndmask_b32_e64 v4, 0xff800000, v4, s13
	s_delay_alu instid0(VALU_DEP_1)
	v_cndmask_b32_e32 v4, 0x7f800001, v4, vcc_lo
; %bb.2125:                             ;   in Loop: Header=BB6_357 Depth=4
	s_or_b32 exec_lo, exec_lo, s73
.LBB6_2126:                             ;   in Loop: Header=BB6_357 Depth=4
	s_delay_alu instid0(SALU_CYCLE_1)
	s_or_b32 exec_lo, exec_lo, s72
.LBB6_2127:                             ;   in Loop: Header=BB6_357 Depth=4
	s_delay_alu instid0(SALU_CYCLE_1) | instskip(SKIP_2) | instid1(VALU_DEP_1)
	s_or_b32 exec_lo, exec_lo, s63
	v_and_b32_e32 v12, 0xff, v7
	s_mov_b32 s63, exec_lo
	v_cmpx_ne_u16_e32 0, v12
	s_cbranch_execz .LBB6_2137
; %bb.2128:                             ;   in Loop: Header=BB6_357 Depth=4
	v_bfrev_b32_e32 v5, 1
	s_mov_b32 s72, exec_lo
	v_cmpx_ne_u16_e32 0x80, v12
	s_cbranch_execz .LBB6_2136
; %bb.2129:                             ;   in Loop: Header=BB6_357 Depth=4
	v_and_b32_e32 v5, 0x7c, v7
	v_and_b32_e32 v12, 3, v7
	s_delay_alu instid0(VALU_DEP_2) | instskip(SKIP_1) | instid1(SALU_CYCLE_1)
	v_cmp_ne_u32_e32 vcc_lo, 0x7c, v5
                                        ; implicit-def: $vgpr5
	s_and_saveexec_b32 s13, vcc_lo
	s_xor_b32 s13, exec_lo, s13
	s_cbranch_execz .LBB6_2133
; %bb.2130:                             ;   in Loop: Header=BB6_357 Depth=4
	v_bfe_u32 v5, v7, 2, 5
	s_mov_b32 s73, exec_lo
	s_delay_alu instid0(VALU_DEP_1)
	v_cmpx_eq_u32_e32 0, v5
; %bb.2131:                             ;   in Loop: Header=BB6_357 Depth=4
	v_clz_i32_u32_e32 v5, v12
	v_dual_mov_b32 v12, v7 :: v_dual_mov_b32 v13, v21
	s_delay_alu instid0(VALU_DEP_2) | instskip(NEXT) | instid1(VALU_DEP_1)
	v_min_u32_e32 v5, 32, v5
	v_subrev_nc_u32_e32 v96, 29, v5
	s_delay_alu instid0(VALU_DEP_1) | instskip(NEXT) | instid1(VALU_DEP_1)
	v_lshlrev_b64_e32 v[12:13], v96, v[12:13]
	v_dual_sub_nc_u32 v5, 30, v5 :: v_dual_bitop2_b32 v12, 3, v12 bitop3:0x40
; %bb.2132:                             ;   in Loop: Header=BB6_357 Depth=4
	s_or_b32 exec_lo, exec_lo, s73
	v_lshlrev_b32_e32 v13, 24, v7
	s_delay_alu instid0(VALU_DEP_1) | instskip(NEXT) | instid1(VALU_DEP_1)
	v_and_b32_e32 v13, 0x80000000, v13
	v_lshl_add_u32 v5, v5, 23, v13
	s_delay_alu instid0(VALU_DEP_1) | instskip(NEXT) | instid1(VALU_DEP_1)
	v_lshl_or_b32 v5, v12, 21, v5
                                        ; implicit-def: $vgpr12
	v_add_nc_u32_e32 v5, 0x38000000, v5
.LBB6_2133:                             ;   in Loop: Header=BB6_357 Depth=4
	s_and_not1_saveexec_b32 s73, s13
; %bb.2134:                             ;   in Loop: Header=BB6_357 Depth=4
	v_bfe_i32 v5, v7, 0, 8
	v_cmp_eq_u32_e32 vcc_lo, 0, v12
	s_delay_alu instid0(VALU_DEP_2) | instskip(SKIP_1) | instid1(VALU_DEP_1)
	v_cmp_lt_i16_e64 s13, -1, v5
	v_mov_b32_e32 v5, 0x7f800000
	v_cndmask_b32_e64 v5, 0xff800000, v5, s13
	s_delay_alu instid0(VALU_DEP_1)
	v_cndmask_b32_e32 v5, 0x7f800001, v5, vcc_lo
; %bb.2135:                             ;   in Loop: Header=BB6_357 Depth=4
	s_or_b32 exec_lo, exec_lo, s73
.LBB6_2136:                             ;   in Loop: Header=BB6_357 Depth=4
	s_delay_alu instid0(SALU_CYCLE_1)
	s_or_b32 exec_lo, exec_lo, s72
.LBB6_2137:                             ;   in Loop: Header=BB6_357 Depth=4
	s_delay_alu instid0(SALU_CYCLE_1) | instskip(NEXT) | instid1(VALU_DEP_1)
	s_or_b32 exec_lo, exec_lo, s63
	v_dual_mul_f32 v12, v4, v5 :: v_dual_mov_b32 v97, v21
	s_delay_alu instid0(VALU_DEP_1) | instskip(SKIP_2) | instid1(VALU_DEP_2)
	v_dual_mov_b32 v5, v21 :: v_dual_lshrrev_b32 v13, 24, v12
	v_and_b32_e32 v96, 0x7f800000, v12
	v_and_b32_e32 v4, 0x7fffff, v12
	v_cmp_ne_u64_e32 vcc_lo, 0x7f800000, v[96:97]
                                        ; implicit-def: $vgpr96
	s_and_saveexec_b32 s13, vcc_lo
	s_delay_alu instid0(SALU_CYCLE_1)
	s_xor_b32 s63, exec_lo, s13
	s_cbranch_execz .LBB6_2151
; %bb.2138:                             ;   in Loop: Header=BB6_357 Depth=4
	v_and_b32_e32 v96, 0x7fffffff, v12
	v_mov_b32_e32 v97, v21
	s_delay_alu instid0(VALU_DEP_1) | instskip(SKIP_2) | instid1(SALU_CYCLE_1)
	v_cmp_gt_u64_e32 vcc_lo, 0x47600001, v[96:97]
	v_and_b32_e32 v97, 0x80, v13
                                        ; implicit-def: $vgpr96
	s_and_saveexec_b32 s13, vcc_lo
	s_xor_b32 s72, exec_lo, s13
	s_cbranch_execz .LBB6_2148
; %bb.2139:                             ;   in Loop: Header=BB6_357 Depth=4
	v_mov_b32_e32 v96, 0
	s_mov_b32 s73, exec_lo
	v_cmpx_ne_u32_e32 0, v12
	s_cbranch_execz .LBB6_2147
; %bb.2140:                             ;   in Loop: Header=BB6_357 Depth=4
	v_bfe_u32 v96, v12, 23, 8
	v_or_b32_e32 v13, 0x800000, v4
	s_delay_alu instid0(VALU_DEP_2) | instskip(SKIP_2) | instid1(VALU_DEP_2)
	v_cmp_gt_u32_e64 s13, 0x72, v96
	v_sub_nc_u32_e32 v12, 0x71, v96
	v_cmp_eq_u32_e32 vcc_lo, 0, v96
	v_cndmask_b32_e64 v12, 0, v12, s13
	s_delay_alu instid0(VALU_DEP_1) | instskip(NEXT) | instid1(VALU_DEP_1)
	v_cndmask_b32_e64 v98, v12, 0x70, vcc_lo
	v_dual_cndmask_b32 v4, v13, v4, vcc_lo :: v_dual_add_nc_u32 v12, 21, v98
	v_add_nc_u32_e32 v99, 20, v98
	s_delay_alu instid0(VALU_DEP_2) | instskip(NEXT) | instid1(VALU_DEP_2)
	v_lshlrev_b64_e64 v[12:13], v12, -1
	v_lshlrev_b64_e64 v[100:101], v99, 1
	s_delay_alu instid0(VALU_DEP_2) | instskip(SKIP_1) | instid1(VALU_DEP_4)
	v_bfi_b32 v12, v12, 0, v4
	v_lshrrev_b64 v[4:5], v98, v[4:5]
	v_bfi_b32 v13, v13, 0, 0
	s_delay_alu instid0(VALU_DEP_1) | instskip(NEXT) | instid1(VALU_DEP_3)
	v_cmp_eq_u64_e64 s13, v[12:13], v[100:101]
	v_mov_b64_e32 v[12:13], v[4:5]
	s_and_saveexec_b32 s74, s13
; %bb.2141:                             ;   in Loop: Header=BB6_357 Depth=4
	v_bfe_u32 v12, v4, 21, 1
	v_mov_b32_e32 v13, v21
	s_delay_alu instid0(VALU_DEP_1) | instskip(NEXT) | instid1(VALU_DEP_1)
	v_add_nc_u64_e32 v[12:13], v[4:5], v[12:13]
	v_add_nc_u64_e32 v[12:13], -1, v[12:13]
; %bb.2142:                             ;   in Loop: Header=BB6_357 Depth=4
	s_or_b32 exec_lo, exec_lo, s74
	v_add_nc_u32_e32 v5, 0xffffff81, v96
	v_lshrrev_b32_e32 v13, 23, v4
	s_mov_b32 s13, exec_lo
	s_delay_alu instid0(VALU_DEP_2) | instskip(NEXT) | instid1(VALU_DEP_1)
	v_cndmask_b32_e64 v5, v5, 0xffffff82, vcc_lo
	v_add3_u32 v96, v98, v5, v13
	v_and_b32_e32 v5, 0x1fffff, v12
                                        ; implicit-def: $vgpr12
	s_delay_alu instid0(VALU_DEP_2) | instskip(NEXT) | instid1(VALU_DEP_2)
	v_add_nc_u32_e32 v13, 14, v96
	v_add_nc_u32_e32 v4, v5, v4
	v_mov_b32_e32 v5, v21
	s_delay_alu instid0(VALU_DEP_3)
	v_cmpx_ne_u32_e32 0, v13
	s_xor_b32 s13, exec_lo, s13
; %bb.2143:                             ;   in Loop: Header=BB6_357 Depth=4
	s_delay_alu instid0(VALU_DEP_2) | instskip(SKIP_1) | instid1(VALU_DEP_1)
	v_cmp_lt_u64_e32 vcc_lo, 0xffffff, v[4:5]
	v_add_nc_u32_e32 v12, 15, v96
	v_cndmask_b32_e32 v12, v13, v12, vcc_lo
	v_cndmask_b32_e64 v13, 0, 1, vcc_lo
	s_delay_alu instid0(VALU_DEP_1)
	v_lshrrev_b64 v[4:5], v13, v[4:5]
; %bb.2144:                             ;   in Loop: Header=BB6_357 Depth=4
	s_and_not1_saveexec_b32 s13, s13
; %bb.2145:                             ;   in Loop: Header=BB6_357 Depth=4
	s_delay_alu instid0(VALU_DEP_1)
	v_bfe_u32 v12, v4, 23, 1
; %bb.2146:                             ;   in Loop: Header=BB6_357 Depth=4
	s_or_b32 exec_lo, exec_lo, s13
	s_delay_alu instid0(VALU_DEP_2) | instskip(NEXT) | instid1(VALU_DEP_2)
	v_lshrrev_b64 v[4:5], 21, v[4:5]
	v_cmp_gt_i32_e32 vcc_lo, 32, v12
	v_min_i32_e32 v13, 31, v12
	v_cmp_eq_u32_e64 s13, 0, v12
	s_delay_alu instid0(VALU_DEP_4) | instskip(NEXT) | instid1(VALU_DEP_3)
	v_cndmask_b32_e32 v5, 0, v5, vcc_lo
	v_dual_cndmask_b32 v4, 3, v4 :: v_dual_lshlrev_b32 v13, 2, v13
	s_delay_alu instid0(VALU_DEP_1) | instskip(NEXT) | instid1(VALU_DEP_2)
	v_and_b32_e32 v13, 0xfc, v13
	v_cmp_eq_u64_e32 vcc_lo, 0, v[4:5]
	s_delay_alu instid0(VALU_DEP_2)
	v_and_or_b32 v4, v4, 3, v13
	s_and_b32 s13, s13, vcc_lo
	s_delay_alu instid0(VALU_DEP_1) | instid1(SALU_CYCLE_1)
	v_cndmask_b32_e64 v4, v4, 0, s13
	s_delay_alu instid0(VALU_DEP_1)
	v_or_b32_e32 v96, v4, v97
.LBB6_2147:                             ;   in Loop: Header=BB6_357 Depth=4
	s_or_b32 exec_lo, exec_lo, s73
                                        ; implicit-def: $vgpr97
.LBB6_2148:                             ;   in Loop: Header=BB6_357 Depth=4
	s_and_not1_saveexec_b32 s13, s72
; %bb.2149:                             ;   in Loop: Header=BB6_357 Depth=4
	v_or_b32_e32 v96, 0x7b, v97
; %bb.2150:                             ;   in Loop: Header=BB6_357 Depth=4
	s_or_b32 exec_lo, exec_lo, s13
                                        ; implicit-def: $vgpr12
                                        ; implicit-def: $vgpr4_vgpr5
                                        ; implicit-def: $vgpr13
.LBB6_2151:                             ;   in Loop: Header=BB6_357 Depth=4
	s_and_not1_saveexec_b32 s13, s63
	s_cbranch_execz .LBB6_2157
; %bb.2152:                             ;   in Loop: Header=BB6_357 Depth=4
	s_mov_b32 s63, exec_lo
                                        ; implicit-def: $vgpr96
	v_cmpx_ne_u64_e32 0, v[4:5]
	s_xor_b32 s63, exec_lo, s63
; %bb.2153:                             ;   in Loop: Header=BB6_357 Depth=4
	v_or_b32_e32 v96, 0x7f, v13
                                        ; implicit-def: $vgpr12
; %bb.2154:                             ;   in Loop: Header=BB6_357 Depth=4
	s_and_not1_saveexec_b32 s63, s63
; %bb.2155:                             ;   in Loop: Header=BB6_357 Depth=4
	v_cmp_lt_i32_e32 vcc_lo, -1, v12
	v_mov_b32_e32 v4, 0x7c
	s_delay_alu instid0(VALU_DEP_1)
	v_cndmask_b32_e32 v96, 0xfc, v4, vcc_lo
; %bb.2156:                             ;   in Loop: Header=BB6_357 Depth=4
	s_or_b32 exec_lo, exec_lo, s63
.LBB6_2157:                             ;   in Loop: Header=BB6_357 Depth=4
	s_delay_alu instid0(SALU_CYCLE_1) | instskip(SKIP_3) | instid1(VALU_DEP_2)
	s_or_b32 exec_lo, exec_lo, s13
	v_lshrrev_b16 v4, 8, v20
	v_dual_mov_b32 v12, 0 :: v_dual_mov_b32 v13, 0
	s_mov_b32 s63, exec_lo
	v_cmpx_ne_u16_e32 0, v4
	s_cbranch_execz .LBB6_2167
; %bb.2158:                             ;   in Loop: Header=BB6_357 Depth=4
	v_bfrev_b32_e32 v13, 1
	s_mov_b32 s72, exec_lo
	v_cmpx_ne_u16_e32 0x80, v4
	s_cbranch_execz .LBB6_2166
; %bb.2159:                             ;   in Loop: Header=BB6_357 Depth=4
	v_and_b32_e32 v97, 0xffff, v4
	s_delay_alu instid0(VALU_DEP_1) | instskip(SKIP_1) | instid1(VALU_DEP_2)
	v_and_b32_e32 v13, 0x7c, v97
	v_and_b32_e32 v5, 3, v97
	v_cmp_ne_u32_e32 vcc_lo, 0x7c, v13
                                        ; implicit-def: $vgpr13
	s_and_saveexec_b32 s13, vcc_lo
	s_delay_alu instid0(SALU_CYCLE_1)
	s_xor_b32 s13, exec_lo, s13
	s_cbranch_execz .LBB6_2163
; %bb.2160:                             ;   in Loop: Header=BB6_357 Depth=4
	v_bfe_u32 v13, v97, 2, 5
	s_mov_b32 s73, exec_lo
	s_delay_alu instid0(VALU_DEP_1)
	v_cmpx_eq_u32_e32 0, v13
	s_cbranch_execz .LBB6_2162
; %bb.2161:                             ;   in Loop: Header=BB6_357 Depth=4
	v_clz_i32_u32_e32 v5, v5
	s_delay_alu instid0(VALU_DEP_1) | instskip(SKIP_1) | instid1(VALU_DEP_2)
	v_min_u32_e32 v13, 32, v5
	v_mov_b32_e32 v5, v21
	v_subrev_nc_u32_e32 v97, 29, v13
	v_sub_nc_u32_e32 v13, 30, v13
	s_delay_alu instid0(VALU_DEP_2) | instskip(NEXT) | instid1(VALU_DEP_1)
	v_lshlrev_b64_e32 v[4:5], v97, v[4:5]
	v_and_b32_e32 v5, 3, v4
.LBB6_2162:                             ;   in Loop: Header=BB6_357 Depth=4
	s_or_b32 exec_lo, exec_lo, s73
	v_lshlrev_b32_e32 v4, 16, v20
	s_delay_alu instid0(VALU_DEP_1) | instskip(NEXT) | instid1(VALU_DEP_1)
	v_and_b32_e32 v4, 0x80000000, v4
	v_lshl_add_u32 v4, v13, 23, v4
	s_delay_alu instid0(VALU_DEP_1) | instskip(NEXT) | instid1(VALU_DEP_1)
	v_lshl_or_b32 v4, v5, 21, v4
                                        ; implicit-def: $vgpr5
	v_add_nc_u32_e32 v13, 0x38000000, v4
.LBB6_2163:                             ;   in Loop: Header=BB6_357 Depth=4
	s_and_not1_saveexec_b32 s73, s13
; %bb.2164:                             ;   in Loop: Header=BB6_357 Depth=4
	v_cmp_lt_i16_e64 s13, -1, v20
	v_mov_b32_e32 v4, 0x7f800000
	v_cmp_eq_u32_e32 vcc_lo, 0, v5
	s_delay_alu instid0(VALU_DEP_2) | instskip(NEXT) | instid1(VALU_DEP_1)
	v_cndmask_b32_e64 v4, 0xff800000, v4, s13
	v_cndmask_b32_e32 v13, 0x7f800001, v4, vcc_lo
; %bb.2165:                             ;   in Loop: Header=BB6_357 Depth=4
	s_or_b32 exec_lo, exec_lo, s73
.LBB6_2166:                             ;   in Loop: Header=BB6_357 Depth=4
	s_delay_alu instid0(SALU_CYCLE_1)
	s_or_b32 exec_lo, exec_lo, s72
.LBB6_2167:                             ;   in Loop: Header=BB6_357 Depth=4
	s_delay_alu instid0(SALU_CYCLE_1) | instskip(SKIP_2) | instid1(VALU_DEP_1)
	s_or_b32 exec_lo, exec_lo, s63
	v_lshrrev_b16 v4, 8, v7
	s_mov_b32 s63, exec_lo
	v_cmpx_ne_u16_e32 0, v4
	s_cbranch_execz .LBB6_2177
; %bb.2168:                             ;   in Loop: Header=BB6_357 Depth=4
	v_bfrev_b32_e32 v12, 1
	s_mov_b32 s72, exec_lo
	v_cmpx_ne_u16_e32 0x80, v4
	s_cbranch_execz .LBB6_2176
; %bb.2169:                             ;   in Loop: Header=BB6_357 Depth=4
	v_and_b32_e32 v20, 0xffff, v4
	s_delay_alu instid0(VALU_DEP_1) | instskip(SKIP_1) | instid1(VALU_DEP_2)
	v_and_b32_e32 v12, 0x7c, v20
	v_and_b32_e32 v5, 3, v20
	v_cmp_ne_u32_e32 vcc_lo, 0x7c, v12
                                        ; implicit-def: $vgpr12
	s_and_saveexec_b32 s13, vcc_lo
	s_delay_alu instid0(SALU_CYCLE_1)
	s_xor_b32 s13, exec_lo, s13
	s_cbranch_execz .LBB6_2173
; %bb.2170:                             ;   in Loop: Header=BB6_357 Depth=4
	v_bfe_u32 v12, v20, 2, 5
	s_mov_b32 s73, exec_lo
	s_delay_alu instid0(VALU_DEP_1)
	v_cmpx_eq_u32_e32 0, v12
	s_cbranch_execz .LBB6_2172
; %bb.2171:                             ;   in Loop: Header=BB6_357 Depth=4
	v_clz_i32_u32_e32 v5, v5
	s_delay_alu instid0(VALU_DEP_1) | instskip(SKIP_1) | instid1(VALU_DEP_2)
	v_min_u32_e32 v12, 32, v5
	v_mov_b32_e32 v5, v21
	v_subrev_nc_u32_e32 v20, 29, v12
	v_sub_nc_u32_e32 v12, 30, v12
	s_delay_alu instid0(VALU_DEP_2) | instskip(NEXT) | instid1(VALU_DEP_1)
	v_lshlrev_b64_e32 v[4:5], v20, v[4:5]
	v_and_b32_e32 v5, 3, v4
.LBB6_2172:                             ;   in Loop: Header=BB6_357 Depth=4
	s_or_b32 exec_lo, exec_lo, s73
	v_lshlrev_b32_e32 v4, 16, v7
	s_delay_alu instid0(VALU_DEP_1) | instskip(NEXT) | instid1(VALU_DEP_1)
	v_and_b32_e32 v4, 0x80000000, v4
	v_lshl_add_u32 v4, v12, 23, v4
	s_delay_alu instid0(VALU_DEP_1) | instskip(NEXT) | instid1(VALU_DEP_1)
	v_lshl_or_b32 v4, v5, 21, v4
                                        ; implicit-def: $vgpr5
	v_add_nc_u32_e32 v12, 0x38000000, v4
.LBB6_2173:                             ;   in Loop: Header=BB6_357 Depth=4
	s_and_not1_saveexec_b32 s73, s13
; %bb.2174:                             ;   in Loop: Header=BB6_357 Depth=4
	v_cmp_lt_i16_e64 s13, -1, v7
	v_mov_b32_e32 v4, 0x7f800000
	v_cmp_eq_u32_e32 vcc_lo, 0, v5
	s_delay_alu instid0(VALU_DEP_2) | instskip(NEXT) | instid1(VALU_DEP_1)
	v_cndmask_b32_e64 v4, 0xff800000, v4, s13
	v_cndmask_b32_e32 v12, 0x7f800001, v4, vcc_lo
; %bb.2175:                             ;   in Loop: Header=BB6_357 Depth=4
	s_or_b32 exec_lo, exec_lo, s73
.LBB6_2176:                             ;   in Loop: Header=BB6_357 Depth=4
	s_delay_alu instid0(SALU_CYCLE_1)
	s_or_b32 exec_lo, exec_lo, s72
.LBB6_2177:                             ;   in Loop: Header=BB6_357 Depth=4
	s_delay_alu instid0(SALU_CYCLE_1) | instskip(NEXT) | instid1(VALU_DEP_1)
	s_or_b32 exec_lo, exec_lo, s63
	v_mul_f32_e32 v4, v13, v12
	v_mov_b32_e32 v13, v21
                                        ; implicit-def: $vgpr97
	s_mov_b32 s13, exec_lo
	s_delay_alu instid0(VALU_DEP_2) | instskip(SKIP_2) | instid1(VALU_DEP_3)
	v_and_b32_e32 v12, 0x7f800000, v4
	v_and_b32_e32 v20, 0x7fffff, v4
	v_lshrrev_b32_e32 v5, 24, v4
	v_cmpx_ne_u64_e32 0x7f800000, v[12:13]
	s_xor_b32 s63, exec_lo, s13
	s_cbranch_execz .LBB6_2191
; %bb.2178:                             ;   in Loop: Header=BB6_357 Depth=4
	v_and_b32_e32 v12, 0x7fffffff, v4
	v_mov_b32_e32 v13, v21
	v_and_b32_e32 v98, 0x80, v5
                                        ; implicit-def: $vgpr97
	s_mov_b32 s13, exec_lo
	s_delay_alu instid0(VALU_DEP_2)
	v_cmpx_gt_u64_e32 0x47600001, v[12:13]
	s_xor_b32 s72, exec_lo, s13
	s_cbranch_execz .LBB6_2188
; %bb.2179:                             ;   in Loop: Header=BB6_357 Depth=4
	v_mov_b32_e32 v97, 0
	s_mov_b32 s73, exec_lo
	v_cmpx_ne_u32_e32 0, v4
	s_cbranch_execz .LBB6_2187
; %bb.2180:                             ;   in Loop: Header=BB6_357 Depth=4
	v_bfe_u32 v97, v4, 23, 8
	v_or_b32_e32 v5, 0x800000, v20
	s_delay_alu instid0(VALU_DEP_2) | instskip(SKIP_2) | instid1(VALU_DEP_2)
	v_cmp_gt_u32_e64 s13, 0x72, v97
	v_sub_nc_u32_e32 v4, 0x71, v97
	v_cmp_eq_u32_e32 vcc_lo, 0, v97
	v_cndmask_b32_e64 v4, 0, v4, s13
	s_delay_alu instid0(VALU_DEP_1) | instskip(SKIP_1) | instid1(VALU_DEP_2)
	v_cndmask_b32_e64 v99, v4, 0x70, vcc_lo
	v_cndmask_b32_e32 v4, v5, v20, vcc_lo
	v_dual_mov_b32 v5, v21 :: v_dual_add_nc_u32 v12, 21, v99
	v_add_nc_u32_e32 v20, 20, v99
	s_delay_alu instid0(VALU_DEP_2) | instskip(NEXT) | instid1(VALU_DEP_2)
	v_lshlrev_b64_e64 v[12:13], v12, -1
	v_lshlrev_b64_e64 v[100:101], v20, 1
	s_delay_alu instid0(VALU_DEP_2) | instskip(SKIP_1) | instid1(VALU_DEP_4)
	v_bfi_b32 v12, v12, 0, v4
	v_lshrrev_b64 v[4:5], v99, v[4:5]
	v_bfi_b32 v13, v13, 0, 0
	s_delay_alu instid0(VALU_DEP_1) | instskip(NEXT) | instid1(VALU_DEP_3)
	v_cmp_eq_u64_e64 s13, v[12:13], v[100:101]
	v_mov_b64_e32 v[12:13], v[4:5]
	s_and_saveexec_b32 s74, s13
; %bb.2181:                             ;   in Loop: Header=BB6_357 Depth=4
	v_bfe_u32 v12, v4, 21, 1
	v_mov_b32_e32 v13, v21
	s_delay_alu instid0(VALU_DEP_1) | instskip(NEXT) | instid1(VALU_DEP_1)
	v_add_nc_u64_e32 v[12:13], v[4:5], v[12:13]
	v_add_nc_u64_e32 v[12:13], -1, v[12:13]
; %bb.2182:                             ;   in Loop: Header=BB6_357 Depth=4
	s_or_b32 exec_lo, exec_lo, s74
	v_add_nc_u32_e32 v5, 0xffffff81, v97
	v_lshrrev_b32_e32 v13, 23, v4
	s_mov_b32 s13, exec_lo
	s_delay_alu instid0(VALU_DEP_2) | instskip(NEXT) | instid1(VALU_DEP_1)
	v_cndmask_b32_e64 v5, v5, 0xffffff82, vcc_lo
	v_add3_u32 v97, v99, v5, v13
	v_and_b32_e32 v5, 0x1fffff, v12
                                        ; implicit-def: $vgpr12
	s_delay_alu instid0(VALU_DEP_1) | instskip(NEXT) | instid1(VALU_DEP_1)
	v_dual_add_nc_u32 v13, 14, v97 :: v_dual_add_nc_u32 v20, v5, v4
                                        ; implicit-def: $vgpr4_vgpr5
	v_cmpx_ne_u32_e32 0, v13
	s_xor_b32 s13, exec_lo, s13
; %bb.2183:                             ;   in Loop: Header=BB6_357 Depth=4
	s_delay_alu instid0(VALU_DEP_2) | instskip(SKIP_1) | instid1(VALU_DEP_1)
	v_cmp_lt_u64_e32 vcc_lo, 0xffffff, v[20:21]
	v_add_nc_u32_e32 v4, 15, v97
	v_cndmask_b32_e32 v12, v13, v4, vcc_lo
	v_cndmask_b32_e64 v4, 0, 1, vcc_lo
	s_delay_alu instid0(VALU_DEP_1)
	v_lshrrev_b64 v[4:5], v4, v[20:21]
; %bb.2184:                             ;   in Loop: Header=BB6_357 Depth=4
	s_and_not1_saveexec_b32 s13, s13
; %bb.2185:                             ;   in Loop: Header=BB6_357 Depth=4
	v_mov_b64_e32 v[4:5], v[20:21]
	v_bfe_u32 v12, v20, 23, 1
; %bb.2186:                             ;   in Loop: Header=BB6_357 Depth=4
	s_or_b32 exec_lo, exec_lo, s13
	s_delay_alu instid0(VALU_DEP_2) | instskip(NEXT) | instid1(VALU_DEP_2)
	v_lshrrev_b64 v[4:5], 21, v[4:5]
	v_cmp_gt_i32_e32 vcc_lo, 32, v12
	v_min_i32_e32 v13, 31, v12
	v_cmp_eq_u32_e64 s13, 0, v12
	s_delay_alu instid0(VALU_DEP_4) | instskip(NEXT) | instid1(VALU_DEP_3)
	v_cndmask_b32_e32 v5, 0, v5, vcc_lo
	v_dual_cndmask_b32 v4, 3, v4 :: v_dual_lshlrev_b32 v13, 2, v13
	s_delay_alu instid0(VALU_DEP_1) | instskip(NEXT) | instid1(VALU_DEP_2)
	v_and_b32_e32 v13, 0xfc, v13
	v_cmp_eq_u64_e32 vcc_lo, 0, v[4:5]
	s_delay_alu instid0(VALU_DEP_2)
	v_and_or_b32 v4, v4, 3, v13
	s_and_b32 s13, s13, vcc_lo
	s_delay_alu instid0(VALU_DEP_1) | instid1(SALU_CYCLE_1)
	v_cndmask_b32_e64 v4, v4, 0, s13
	s_delay_alu instid0(VALU_DEP_1)
	v_or_b32_e32 v97, v4, v98
.LBB6_2187:                             ;   in Loop: Header=BB6_357 Depth=4
	s_or_b32 exec_lo, exec_lo, s73
                                        ; implicit-def: $vgpr98
.LBB6_2188:                             ;   in Loop: Header=BB6_357 Depth=4
	s_and_not1_saveexec_b32 s13, s72
; %bb.2189:                             ;   in Loop: Header=BB6_357 Depth=4
	v_or_b32_e32 v97, 0x7b, v98
; %bb.2190:                             ;   in Loop: Header=BB6_357 Depth=4
	s_or_b32 exec_lo, exec_lo, s13
                                        ; implicit-def: $vgpr4
                                        ; implicit-def: $vgpr5
.LBB6_2191:                             ;   in Loop: Header=BB6_357 Depth=4
	s_and_not1_saveexec_b32 s13, s63
	s_cbranch_execz .LBB6_2197
; %bb.2192:                             ;   in Loop: Header=BB6_357 Depth=4
	s_mov_b32 s63, exec_lo
                                        ; implicit-def: $vgpr97
	v_cmpx_ne_u64_e32 0, v[20:21]
	s_xor_b32 s63, exec_lo, s63
; %bb.2193:                             ;   in Loop: Header=BB6_357 Depth=4
	v_or_b32_e32 v97, 0x7f, v5
                                        ; implicit-def: $vgpr4
; %bb.2194:                             ;   in Loop: Header=BB6_357 Depth=4
	s_and_not1_saveexec_b32 s63, s63
; %bb.2195:                             ;   in Loop: Header=BB6_357 Depth=4
	v_cmp_lt_i32_e32 vcc_lo, -1, v4
	v_mov_b32_e32 v4, 0x7c
	s_delay_alu instid0(VALU_DEP_1)
	v_cndmask_b32_e32 v97, 0xfc, v4, vcc_lo
; %bb.2196:                             ;   in Loop: Header=BB6_357 Depth=4
	s_or_b32 exec_lo, exec_lo, s63
.LBB6_2197:                             ;   in Loop: Header=BB6_357 Depth=4
	s_delay_alu instid0(SALU_CYCLE_1) | instskip(SKIP_3) | instid1(VALU_DEP_2)
	s_or_b32 exec_lo, exec_lo, s13
	v_dual_mov_b32 v5, 0 :: v_dual_lshrrev_b32 v4, 16, v15
	v_mov_b32_e32 v12, 0
	s_mov_b32 s63, exec_lo
	v_and_b32_e32 v13, 0xff, v4
	s_delay_alu instid0(VALU_DEP_1)
	v_cmpx_ne_u16_e32 0, v13
	s_cbranch_execz .LBB6_2207
; %bb.2198:                             ;   in Loop: Header=BB6_357 Depth=4
	v_bfrev_b32_e32 v12, 1
	s_mov_b32 s72, exec_lo
	v_cmpx_ne_u16_e32 0x80, v13
	s_cbranch_execz .LBB6_2206
; %bb.2199:                             ;   in Loop: Header=BB6_357 Depth=4
	v_and_b32_e32 v12, 0x7c0000, v15
	v_bfe_u32 v13, v15, 16, 2
	s_delay_alu instid0(VALU_DEP_2) | instskip(SKIP_1) | instid1(SALU_CYCLE_1)
	v_cmp_ne_u32_e32 vcc_lo, 0x7c0000, v12
                                        ; implicit-def: $vgpr12
	s_and_saveexec_b32 s13, vcc_lo
	s_xor_b32 s13, exec_lo, s13
	s_cbranch_execz .LBB6_2203
; %bb.2200:                             ;   in Loop: Header=BB6_357 Depth=4
	v_bfe_u32 v12, v15, 18, 5
	s_mov_b32 s73, exec_lo
	s_delay_alu instid0(VALU_DEP_1)
	v_cmpx_eq_u32_e32 0, v12
; %bb.2201:                             ;   in Loop: Header=BB6_357 Depth=4
	v_clz_i32_u32_e32 v12, v13
	s_delay_alu instid0(VALU_DEP_1) | instskip(NEXT) | instid1(VALU_DEP_1)
	v_min_u32_e32 v12, 32, v12
	v_subrev_nc_u32_e32 v13, 29, v12
	s_delay_alu instid0(VALU_DEP_1) | instskip(NEXT) | instid1(VALU_DEP_1)
	v_lshlrev_b64_e32 v[98:99], v13, v[4:5]
	v_dual_sub_nc_u32 v12, 30, v12 :: v_dual_bitop2_b32 v13, 3, v98 bitop3:0x40
; %bb.2202:                             ;   in Loop: Header=BB6_357 Depth=4
	s_or_b32 exec_lo, exec_lo, s73
	v_lshlrev_b32_e32 v4, 24, v4
	s_delay_alu instid0(VALU_DEP_1) | instskip(NEXT) | instid1(VALU_DEP_1)
	v_and_b32_e32 v4, 0x80000000, v4
	v_lshl_add_u32 v4, v12, 23, v4
	s_delay_alu instid0(VALU_DEP_1) | instskip(NEXT) | instid1(VALU_DEP_1)
	v_lshl_or_b32 v4, v13, 21, v4
                                        ; implicit-def: $vgpr13
	v_add_nc_u32_e32 v12, 0x38000000, v4
                                        ; implicit-def: $vgpr4
.LBB6_2203:                             ;   in Loop: Header=BB6_357 Depth=4
	s_and_not1_saveexec_b32 s73, s13
; %bb.2204:                             ;   in Loop: Header=BB6_357 Depth=4
	v_bfe_i32 v4, v4, 0, 8
	v_cmp_eq_u32_e32 vcc_lo, 0, v13
	s_delay_alu instid0(VALU_DEP_2) | instskip(SKIP_1) | instid1(VALU_DEP_1)
	v_cmp_lt_i16_e64 s13, -1, v4
	v_mov_b32_e32 v4, 0x7f800000
	v_cndmask_b32_e64 v4, 0xff800000, v4, s13
	s_delay_alu instid0(VALU_DEP_1)
	v_cndmask_b32_e32 v12, 0x7f800001, v4, vcc_lo
; %bb.2205:                             ;   in Loop: Header=BB6_357 Depth=4
	s_or_b32 exec_lo, exec_lo, s73
.LBB6_2206:                             ;   in Loop: Header=BB6_357 Depth=4
	s_delay_alu instid0(SALU_CYCLE_1)
	s_or_b32 exec_lo, exec_lo, s72
.LBB6_2207:                             ;   in Loop: Header=BB6_357 Depth=4
	s_delay_alu instid0(SALU_CYCLE_1) | instskip(SKIP_2) | instid1(VALU_DEP_1)
	s_or_b32 exec_lo, exec_lo, s63
	v_lshrrev_b32_e32 v4, 16, v7
	s_mov_b32 s63, exec_lo
	v_and_b32_e32 v13, 0xff, v4
	s_delay_alu instid0(VALU_DEP_1)
	v_cmpx_ne_u16_e32 0, v13
	s_cbranch_execz .LBB6_2217
; %bb.2208:                             ;   in Loop: Header=BB6_357 Depth=4
	v_bfrev_b32_e32 v5, 1
	s_mov_b32 s72, exec_lo
	v_cmpx_ne_u16_e32 0x80, v13
	s_cbranch_execz .LBB6_2216
; %bb.2209:                             ;   in Loop: Header=BB6_357 Depth=4
	v_and_b32_e32 v5, 0x7c0000, v7
	v_bfe_u32 v13, v7, 16, 2
	s_delay_alu instid0(VALU_DEP_2) | instskip(SKIP_1) | instid1(SALU_CYCLE_1)
	v_cmp_ne_u32_e32 vcc_lo, 0x7c0000, v5
                                        ; implicit-def: $vgpr5
	s_and_saveexec_b32 s13, vcc_lo
	s_xor_b32 s13, exec_lo, s13
	s_cbranch_execz .LBB6_2213
; %bb.2210:                             ;   in Loop: Header=BB6_357 Depth=4
	v_bfe_u32 v5, v7, 18, 5
	s_mov_b32 s73, exec_lo
	s_delay_alu instid0(VALU_DEP_1)
	v_cmpx_eq_u32_e32 0, v5
; %bb.2211:                             ;   in Loop: Header=BB6_357 Depth=4
	v_clz_i32_u32_e32 v5, v13
	s_delay_alu instid0(VALU_DEP_1) | instskip(NEXT) | instid1(VALU_DEP_1)
	v_min_u32_e32 v5, 32, v5
	v_subrev_nc_u32_e32 v13, 29, v5
	s_delay_alu instid0(VALU_DEP_1) | instskip(NEXT) | instid1(VALU_DEP_1)
	v_lshlrev_b64_e32 v[98:99], v13, v[4:5]
	v_dual_sub_nc_u32 v5, 30, v5 :: v_dual_bitop2_b32 v13, 3, v98 bitop3:0x40
; %bb.2212:                             ;   in Loop: Header=BB6_357 Depth=4
	s_or_b32 exec_lo, exec_lo, s73
	v_lshlrev_b32_e32 v4, 24, v4
	s_delay_alu instid0(VALU_DEP_1) | instskip(NEXT) | instid1(VALU_DEP_1)
	v_and_b32_e32 v4, 0x80000000, v4
	v_lshl_add_u32 v4, v5, 23, v4
	s_delay_alu instid0(VALU_DEP_1) | instskip(NEXT) | instid1(VALU_DEP_1)
	v_lshl_or_b32 v4, v13, 21, v4
                                        ; implicit-def: $vgpr13
	v_add_nc_u32_e32 v5, 0x38000000, v4
                                        ; implicit-def: $vgpr4
.LBB6_2213:                             ;   in Loop: Header=BB6_357 Depth=4
	s_and_not1_saveexec_b32 s73, s13
; %bb.2214:                             ;   in Loop: Header=BB6_357 Depth=4
	v_bfe_i32 v4, v4, 0, 8
	v_cmp_eq_u32_e32 vcc_lo, 0, v13
	s_delay_alu instid0(VALU_DEP_2) | instskip(SKIP_1) | instid1(VALU_DEP_1)
	v_cmp_lt_i16_e64 s13, -1, v4
	v_mov_b32_e32 v4, 0x7f800000
	v_cndmask_b32_e64 v4, 0xff800000, v4, s13
	s_delay_alu instid0(VALU_DEP_1)
	v_cndmask_b32_e32 v5, 0x7f800001, v4, vcc_lo
; %bb.2215:                             ;   in Loop: Header=BB6_357 Depth=4
	s_or_b32 exec_lo, exec_lo, s73
.LBB6_2216:                             ;   in Loop: Header=BB6_357 Depth=4
	s_delay_alu instid0(SALU_CYCLE_1)
	s_or_b32 exec_lo, exec_lo, s72
.LBB6_2217:                             ;   in Loop: Header=BB6_357 Depth=4
	s_delay_alu instid0(SALU_CYCLE_1) | instskip(NEXT) | instid1(VALU_DEP_1)
	s_or_b32 exec_lo, exec_lo, s63
	v_dual_mul_f32 v4, v12, v5 :: v_dual_mov_b32 v13, v21
	s_delay_alu instid0(VALU_DEP_1) | instskip(SKIP_2) | instid1(VALU_DEP_3)
	v_and_b32_e32 v12, 0x7f800000, v4
	v_and_b32_e32 v20, 0x7fffff, v4
	v_lshrrev_b32_e32 v5, 24, v4
	v_cmp_ne_u64_e32 vcc_lo, 0x7f800000, v[12:13]
                                        ; implicit-def: $vgpr12
	s_and_saveexec_b32 s13, vcc_lo
	s_delay_alu instid0(SALU_CYCLE_1)
	s_xor_b32 s63, exec_lo, s13
	s_cbranch_execz .LBB6_2231
; %bb.2218:                             ;   in Loop: Header=BB6_357 Depth=4
	v_and_b32_e32 v12, 0x7fffffff, v4
	v_mov_b32_e32 v13, v21
	v_and_b32_e32 v98, 0x80, v5
	s_delay_alu instid0(VALU_DEP_2) | instskip(SKIP_1) | instid1(SALU_CYCLE_1)
	v_cmp_gt_u64_e32 vcc_lo, 0x47600001, v[12:13]
                                        ; implicit-def: $vgpr12
	s_and_saveexec_b32 s13, vcc_lo
	s_xor_b32 s72, exec_lo, s13
	s_cbranch_execz .LBB6_2228
; %bb.2219:                             ;   in Loop: Header=BB6_357 Depth=4
	v_mov_b32_e32 v12, 0
	s_mov_b32 s73, exec_lo
	v_cmpx_ne_u32_e32 0, v4
	s_cbranch_execz .LBB6_2227
; %bb.2220:                             ;   in Loop: Header=BB6_357 Depth=4
	v_bfe_u32 v99, v4, 23, 8
	v_or_b32_e32 v5, 0x800000, v20
	s_delay_alu instid0(VALU_DEP_2) | instskip(SKIP_2) | instid1(VALU_DEP_2)
	v_cmp_gt_u32_e64 s13, 0x72, v99
	v_sub_nc_u32_e32 v4, 0x71, v99
	v_cmp_eq_u32_e32 vcc_lo, 0, v99
	v_cndmask_b32_e64 v4, 0, v4, s13
	s_delay_alu instid0(VALU_DEP_1) | instskip(SKIP_1) | instid1(VALU_DEP_2)
	v_cndmask_b32_e64 v100, v4, 0x70, vcc_lo
	v_cndmask_b32_e32 v4, v5, v20, vcc_lo
	v_dual_mov_b32 v5, v21 :: v_dual_add_nc_u32 v12, 21, v100
	v_add_nc_u32_e32 v20, 20, v100
	s_delay_alu instid0(VALU_DEP_2) | instskip(NEXT) | instid1(VALU_DEP_2)
	v_lshlrev_b64_e64 v[12:13], v12, -1
	v_lshlrev_b64_e64 v[102:103], v20, 1
	s_delay_alu instid0(VALU_DEP_2) | instskip(SKIP_1) | instid1(VALU_DEP_4)
	v_bfi_b32 v12, v12, 0, v4
	v_lshrrev_b64 v[4:5], v100, v[4:5]
	v_bfi_b32 v13, v13, 0, 0
	s_delay_alu instid0(VALU_DEP_1) | instskip(NEXT) | instid1(VALU_DEP_3)
	v_cmp_eq_u64_e64 s13, v[12:13], v[102:103]
	v_mov_b64_e32 v[12:13], v[4:5]
	s_and_saveexec_b32 s74, s13
; %bb.2221:                             ;   in Loop: Header=BB6_357 Depth=4
	v_bfe_u32 v12, v4, 21, 1
	v_mov_b32_e32 v13, v21
	s_delay_alu instid0(VALU_DEP_1) | instskip(NEXT) | instid1(VALU_DEP_1)
	v_add_nc_u64_e32 v[12:13], v[4:5], v[12:13]
	v_add_nc_u64_e32 v[12:13], -1, v[12:13]
; %bb.2222:                             ;   in Loop: Header=BB6_357 Depth=4
	s_or_b32 exec_lo, exec_lo, s74
	v_add_nc_u32_e32 v5, 0xffffff81, v99
	v_lshrrev_b32_e32 v13, 23, v4
	s_mov_b32 s13, exec_lo
	s_delay_alu instid0(VALU_DEP_2) | instskip(NEXT) | instid1(VALU_DEP_1)
	v_cndmask_b32_e64 v5, v5, 0xffffff82, vcc_lo
	v_add3_u32 v99, v100, v5, v13
	v_and_b32_e32 v5, 0x1fffff, v12
                                        ; implicit-def: $vgpr12
	s_delay_alu instid0(VALU_DEP_1) | instskip(NEXT) | instid1(VALU_DEP_1)
	v_dual_add_nc_u32 v13, 14, v99 :: v_dual_add_nc_u32 v20, v5, v4
                                        ; implicit-def: $vgpr4_vgpr5
	v_cmpx_ne_u32_e32 0, v13
	s_xor_b32 s13, exec_lo, s13
; %bb.2223:                             ;   in Loop: Header=BB6_357 Depth=4
	s_delay_alu instid0(VALU_DEP_2) | instskip(SKIP_1) | instid1(VALU_DEP_1)
	v_cmp_lt_u64_e32 vcc_lo, 0xffffff, v[20:21]
	v_add_nc_u32_e32 v4, 15, v99
	v_cndmask_b32_e32 v12, v13, v4, vcc_lo
	v_cndmask_b32_e64 v4, 0, 1, vcc_lo
	s_delay_alu instid0(VALU_DEP_1)
	v_lshrrev_b64 v[4:5], v4, v[20:21]
; %bb.2224:                             ;   in Loop: Header=BB6_357 Depth=4
	s_and_not1_saveexec_b32 s13, s13
; %bb.2225:                             ;   in Loop: Header=BB6_357 Depth=4
	v_mov_b64_e32 v[4:5], v[20:21]
	v_bfe_u32 v12, v20, 23, 1
; %bb.2226:                             ;   in Loop: Header=BB6_357 Depth=4
	s_or_b32 exec_lo, exec_lo, s13
	s_delay_alu instid0(VALU_DEP_2) | instskip(NEXT) | instid1(VALU_DEP_2)
	v_lshrrev_b64 v[4:5], 21, v[4:5]
	v_cmp_gt_i32_e32 vcc_lo, 32, v12
	v_min_i32_e32 v13, 31, v12
	v_cmp_eq_u32_e64 s13, 0, v12
	s_delay_alu instid0(VALU_DEP_4) | instskip(NEXT) | instid1(VALU_DEP_3)
	v_cndmask_b32_e32 v5, 0, v5, vcc_lo
	v_dual_cndmask_b32 v4, 3, v4 :: v_dual_lshlrev_b32 v13, 2, v13
	s_delay_alu instid0(VALU_DEP_1) | instskip(NEXT) | instid1(VALU_DEP_2)
	v_and_b32_e32 v13, 0xfc, v13
	v_cmp_eq_u64_e32 vcc_lo, 0, v[4:5]
	s_delay_alu instid0(VALU_DEP_2)
	v_and_or_b32 v4, v4, 3, v13
	s_and_b32 s13, s13, vcc_lo
	s_delay_alu instid0(VALU_DEP_1) | instid1(SALU_CYCLE_1)
	v_cndmask_b32_e64 v4, v4, 0, s13
	s_delay_alu instid0(VALU_DEP_1)
	v_or_b32_e32 v12, v4, v98
.LBB6_2227:                             ;   in Loop: Header=BB6_357 Depth=4
	s_or_b32 exec_lo, exec_lo, s73
                                        ; implicit-def: $vgpr98
.LBB6_2228:                             ;   in Loop: Header=BB6_357 Depth=4
	s_and_not1_saveexec_b32 s13, s72
; %bb.2229:                             ;   in Loop: Header=BB6_357 Depth=4
	v_or_b32_e32 v12, 0x7b, v98
; %bb.2230:                             ;   in Loop: Header=BB6_357 Depth=4
	s_or_b32 exec_lo, exec_lo, s13
                                        ; implicit-def: $vgpr4
                                        ; implicit-def: $vgpr5
.LBB6_2231:                             ;   in Loop: Header=BB6_357 Depth=4
	s_and_not1_saveexec_b32 s13, s63
	s_cbranch_execz .LBB6_2237
; %bb.2232:                             ;   in Loop: Header=BB6_357 Depth=4
	s_mov_b32 s63, exec_lo
                                        ; implicit-def: $vgpr12
	v_cmpx_ne_u64_e32 0, v[20:21]
	s_xor_b32 s63, exec_lo, s63
; %bb.2233:                             ;   in Loop: Header=BB6_357 Depth=4
	v_or_b32_e32 v12, 0x7f, v5
                                        ; implicit-def: $vgpr4
; %bb.2234:                             ;   in Loop: Header=BB6_357 Depth=4
	s_and_not1_saveexec_b32 s63, s63
; %bb.2235:                             ;   in Loop: Header=BB6_357 Depth=4
	v_cmp_lt_i32_e32 vcc_lo, -1, v4
	v_mov_b32_e32 v4, 0x7c
	s_delay_alu instid0(VALU_DEP_1)
	v_cndmask_b32_e32 v12, 0xfc, v4, vcc_lo
; %bb.2236:                             ;   in Loop: Header=BB6_357 Depth=4
	s_or_b32 exec_lo, exec_lo, s63
.LBB6_2237:                             ;   in Loop: Header=BB6_357 Depth=4
	s_delay_alu instid0(SALU_CYCLE_1)
	s_or_b32 exec_lo, exec_lo, s13
	v_dual_mov_b32 v5, 0 :: v_dual_mov_b32 v13, 0
	s_mov_b32 s63, exec_lo
	v_cmpx_lt_u64_e64 s[22:23], v[14:15]
	s_cbranch_execz .LBB6_2247
; %bb.2238:                             ;   in Loop: Header=BB6_357 Depth=4
	v_lshrrev_b32_e32 v4, 24, v15
	v_bfrev_b32_e32 v13, 1
	s_mov_b32 s72, exec_lo
	s_delay_alu instid0(VALU_DEP_2)
	v_cmpx_ne_u32_e32 0x80, v4
	s_cbranch_execz .LBB6_2246
; %bb.2239:                             ;   in Loop: Header=BB6_357 Depth=4
	v_and_b32_e32 v13, 0x7c000000, v15
	v_bfe_u32 v20, v15, 24, 2
	s_delay_alu instid0(VALU_DEP_2) | instskip(SKIP_1) | instid1(SALU_CYCLE_1)
	v_cmp_ne_u32_e32 vcc_lo, 0x7c000000, v13
                                        ; implicit-def: $vgpr13
	s_and_saveexec_b32 s13, vcc_lo
	s_xor_b32 s13, exec_lo, s13
	s_cbranch_execz .LBB6_2243
; %bb.2240:                             ;   in Loop: Header=BB6_357 Depth=4
	v_bfe_u32 v13, v15, 26, 5
	s_mov_b32 s73, exec_lo
	s_delay_alu instid0(VALU_DEP_1)
	v_cmpx_eq_u32_e32 0, v13
; %bb.2241:                             ;   in Loop: Header=BB6_357 Depth=4
	v_clz_i32_u32_e32 v13, v20
	s_delay_alu instid0(VALU_DEP_1) | instskip(NEXT) | instid1(VALU_DEP_1)
	v_min_u32_e32 v13, 32, v13
	v_subrev_nc_u32_e32 v14, 29, v13
	s_delay_alu instid0(VALU_DEP_1) | instskip(NEXT) | instid1(VALU_DEP_1)
	v_lshlrev_b64_e32 v[98:99], v14, v[4:5]
	v_dual_sub_nc_u32 v13, 30, v13 :: v_dual_bitop2_b32 v20, 3, v98 bitop3:0x40
; %bb.2242:                             ;   in Loop: Header=BB6_357 Depth=4
	s_or_b32 exec_lo, exec_lo, s73
	v_and_b32_e32 v4, 0x80000000, v15
                                        ; implicit-def: $vgpr14_vgpr15
	s_delay_alu instid0(VALU_DEP_1) | instskip(NEXT) | instid1(VALU_DEP_1)
	v_lshl_add_u32 v4, v13, 23, v4
	v_lshl_or_b32 v4, v20, 21, v4
                                        ; implicit-def: $vgpr20
	s_delay_alu instid0(VALU_DEP_1)
	v_add_nc_u32_e32 v13, 0x38000000, v4
.LBB6_2243:                             ;   in Loop: Header=BB6_357 Depth=4
	s_and_not1_saveexec_b32 s73, s13
; %bb.2244:                             ;   in Loop: Header=BB6_357 Depth=4
	v_cmp_lt_i64_e64 s13, -1, v[14:15]
	v_mov_b32_e32 v4, 0x7f800000
	v_cmp_eq_u32_e32 vcc_lo, 0, v20
	s_delay_alu instid0(VALU_DEP_2) | instskip(NEXT) | instid1(VALU_DEP_1)
	v_cndmask_b32_e64 v4, 0xff800000, v4, s13
	v_cndmask_b32_e32 v13, 0x7f800001, v4, vcc_lo
; %bb.2245:                             ;   in Loop: Header=BB6_357 Depth=4
	s_or_b32 exec_lo, exec_lo, s73
.LBB6_2246:                             ;   in Loop: Header=BB6_357 Depth=4
	s_delay_alu instid0(SALU_CYCLE_1)
	s_or_b32 exec_lo, exec_lo, s72
.LBB6_2247:                             ;   in Loop: Header=BB6_357 Depth=4
	s_delay_alu instid0(SALU_CYCLE_1) | instskip(NEXT) | instid1(SALU_CYCLE_1)
	s_or_b32 exec_lo, exec_lo, s63
	s_mov_b32 s63, exec_lo
	v_cmpx_lt_u64_e64 s[22:23], v[6:7]
	s_cbranch_execz .LBB6_2257
; %bb.2248:                             ;   in Loop: Header=BB6_357 Depth=4
	v_lshrrev_b32_e32 v4, 24, v7
	v_bfrev_b32_e32 v5, 1
	s_mov_b32 s72, exec_lo
	s_delay_alu instid0(VALU_DEP_2)
	v_cmpx_ne_u32_e32 0x80, v4
	s_cbranch_execz .LBB6_2256
; %bb.2249:                             ;   in Loop: Header=BB6_357 Depth=4
	v_and_b32_e32 v5, 0x7c000000, v7
	v_bfe_u32 v14, v7, 24, 2
	s_delay_alu instid0(VALU_DEP_2) | instskip(SKIP_1) | instid1(SALU_CYCLE_1)
	v_cmp_ne_u32_e32 vcc_lo, 0x7c000000, v5
                                        ; implicit-def: $vgpr5
	s_and_saveexec_b32 s13, vcc_lo
	s_xor_b32 s13, exec_lo, s13
	s_cbranch_execz .LBB6_2253
; %bb.2250:                             ;   in Loop: Header=BB6_357 Depth=4
	v_bfe_u32 v5, v7, 26, 5
	s_mov_b32 s73, exec_lo
	s_delay_alu instid0(VALU_DEP_1)
	v_cmpx_eq_u32_e32 0, v5
; %bb.2251:                             ;   in Loop: Header=BB6_357 Depth=4
	v_clz_i32_u32_e32 v5, v14
	s_delay_alu instid0(VALU_DEP_1) | instskip(NEXT) | instid1(VALU_DEP_1)
	v_min_u32_e32 v6, 32, v5
	v_subrev_nc_u32_e32 v5, 29, v6
	s_delay_alu instid0(VALU_DEP_1) | instskip(NEXT) | instid1(VALU_DEP_1)
	v_lshlrev_b64_e32 v[4:5], v5, v[4:5]
	v_dual_sub_nc_u32 v5, 30, v6 :: v_dual_bitop2_b32 v14, 3, v4 bitop3:0x40
; %bb.2252:                             ;   in Loop: Header=BB6_357 Depth=4
	s_or_b32 exec_lo, exec_lo, s73
	v_and_b32_e32 v4, 0x80000000, v7
                                        ; implicit-def: $vgpr6_vgpr7
	s_delay_alu instid0(VALU_DEP_1) | instskip(NEXT) | instid1(VALU_DEP_1)
	v_lshl_add_u32 v4, v5, 23, v4
	v_lshl_or_b32 v4, v14, 21, v4
                                        ; implicit-def: $vgpr14
	s_delay_alu instid0(VALU_DEP_1)
	v_add_nc_u32_e32 v5, 0x38000000, v4
.LBB6_2253:                             ;   in Loop: Header=BB6_357 Depth=4
	s_and_not1_saveexec_b32 s73, s13
; %bb.2254:                             ;   in Loop: Header=BB6_357 Depth=4
	v_cmp_lt_i64_e64 s13, -1, v[6:7]
	v_mov_b32_e32 v4, 0x7f800000
	v_cmp_eq_u32_e32 vcc_lo, 0, v14
	s_delay_alu instid0(VALU_DEP_2) | instskip(NEXT) | instid1(VALU_DEP_1)
	v_cndmask_b32_e64 v4, 0xff800000, v4, s13
	v_cndmask_b32_e32 v5, 0x7f800001, v4, vcc_lo
; %bb.2255:                             ;   in Loop: Header=BB6_357 Depth=4
	s_or_b32 exec_lo, exec_lo, s73
.LBB6_2256:                             ;   in Loop: Header=BB6_357 Depth=4
	s_delay_alu instid0(SALU_CYCLE_1)
	s_or_b32 exec_lo, exec_lo, s72
.LBB6_2257:                             ;   in Loop: Header=BB6_357 Depth=4
	s_delay_alu instid0(SALU_CYCLE_1) | instskip(NEXT) | instid1(VALU_DEP_1)
	s_or_b32 exec_lo, exec_lo, s63
	v_mul_f32_e32 v4, v13, v5
	v_mov_b32_e32 v7, v21
                                        ; implicit-def: $vgpr13
	s_mov_b32 s13, exec_lo
	s_delay_alu instid0(VALU_DEP_2) | instskip(SKIP_2) | instid1(VALU_DEP_3)
	v_and_b32_e32 v6, 0x7f800000, v4
	v_and_b32_e32 v20, 0x7fffff, v4
	v_lshrrev_b32_e32 v5, 24, v4
	v_cmpx_ne_u64_e32 0x7f800000, v[6:7]
	s_xor_b32 s63, exec_lo, s13
	s_cbranch_execz .LBB6_2271
; %bb.2258:                             ;   in Loop: Header=BB6_357 Depth=4
	v_and_b32_e32 v6, 0x7fffffff, v4
	v_mov_b32_e32 v7, v21
	v_and_b32_e32 v14, 0x80, v5
                                        ; implicit-def: $vgpr13
	s_mov_b32 s13, exec_lo
	s_delay_alu instid0(VALU_DEP_2)
	v_cmpx_gt_u64_e32 0x47600001, v[6:7]
	s_xor_b32 s72, exec_lo, s13
	s_cbranch_execz .LBB6_2268
; %bb.2259:                             ;   in Loop: Header=BB6_357 Depth=4
	v_mov_b32_e32 v13, 0
	s_mov_b32 s73, exec_lo
	v_cmpx_ne_u32_e32 0, v4
	s_cbranch_execz .LBB6_2267
; %bb.2260:                             ;   in Loop: Header=BB6_357 Depth=4
	v_bfe_u32 v13, v4, 23, 8
	v_or_b32_e32 v5, 0x800000, v20
	s_delay_alu instid0(VALU_DEP_2) | instskip(SKIP_2) | instid1(VALU_DEP_2)
	v_cmp_gt_u32_e64 s13, 0x72, v13
	v_sub_nc_u32_e32 v4, 0x71, v13
	v_cmp_eq_u32_e32 vcc_lo, 0, v13
	v_cndmask_b32_e64 v4, 0, v4, s13
	s_delay_alu instid0(VALU_DEP_1) | instskip(SKIP_1) | instid1(VALU_DEP_2)
	v_cndmask_b32_e64 v15, v4, 0x70, vcc_lo
	v_cndmask_b32_e32 v4, v5, v20, vcc_lo
	v_dual_mov_b32 v5, v21 :: v_dual_add_nc_u32 v6, 21, v15
	v_add_nc_u32_e32 v20, 20, v15
	s_delay_alu instid0(VALU_DEP_2) | instskip(NEXT) | instid1(VALU_DEP_2)
	v_lshlrev_b64_e64 v[6:7], v6, -1
	v_lshlrev_b64_e64 v[98:99], v20, 1
	s_delay_alu instid0(VALU_DEP_2) | instskip(SKIP_1) | instid1(VALU_DEP_4)
	v_bfi_b32 v6, v6, 0, v4
	v_lshrrev_b64 v[4:5], v15, v[4:5]
	v_bfi_b32 v7, v7, 0, 0
	s_delay_alu instid0(VALU_DEP_1) | instskip(NEXT) | instid1(VALU_DEP_3)
	v_cmp_eq_u64_e64 s13, v[6:7], v[98:99]
	v_mov_b64_e32 v[6:7], v[4:5]
	s_and_saveexec_b32 s74, s13
; %bb.2261:                             ;   in Loop: Header=BB6_357 Depth=4
	v_bfe_u32 v6, v4, 21, 1
	v_mov_b32_e32 v7, v21
	s_delay_alu instid0(VALU_DEP_1) | instskip(NEXT) | instid1(VALU_DEP_1)
	v_add_nc_u64_e32 v[6:7], v[4:5], v[6:7]
	v_add_nc_u64_e32 v[6:7], -1, v[6:7]
; %bb.2262:                             ;   in Loop: Header=BB6_357 Depth=4
	s_or_b32 exec_lo, exec_lo, s74
	v_add_nc_u32_e32 v5, 0xffffff81, v13
	v_lshrrev_b32_e32 v7, 23, v4
	s_mov_b32 s13, exec_lo
	s_delay_alu instid0(VALU_DEP_2) | instskip(NEXT) | instid1(VALU_DEP_1)
	v_cndmask_b32_e64 v5, v5, 0xffffff82, vcc_lo
	v_add3_u32 v13, v15, v5, v7
	v_and_b32_e32 v5, 0x1fffff, v6
                                        ; implicit-def: $vgpr6
	s_delay_alu instid0(VALU_DEP_1) | instskip(NEXT) | instid1(VALU_DEP_1)
	v_dual_add_nc_u32 v7, 14, v13 :: v_dual_add_nc_u32 v20, v5, v4
                                        ; implicit-def: $vgpr4_vgpr5
	v_cmpx_ne_u32_e32 0, v7
	s_xor_b32 s13, exec_lo, s13
; %bb.2263:                             ;   in Loop: Header=BB6_357 Depth=4
	s_delay_alu instid0(VALU_DEP_2) | instskip(SKIP_1) | instid1(VALU_DEP_1)
	v_cmp_lt_u64_e32 vcc_lo, 0xffffff, v[20:21]
	v_add_nc_u32_e32 v4, 15, v13
	v_cndmask_b32_e32 v6, v7, v4, vcc_lo
	v_cndmask_b32_e64 v4, 0, 1, vcc_lo
	s_delay_alu instid0(VALU_DEP_1)
	v_lshrrev_b64 v[4:5], v4, v[20:21]
; %bb.2264:                             ;   in Loop: Header=BB6_357 Depth=4
	s_and_not1_saveexec_b32 s13, s13
; %bb.2265:                             ;   in Loop: Header=BB6_357 Depth=4
	v_mov_b64_e32 v[4:5], v[20:21]
	v_bfe_u32 v6, v20, 23, 1
; %bb.2266:                             ;   in Loop: Header=BB6_357 Depth=4
	s_or_b32 exec_lo, exec_lo, s13
	s_delay_alu instid0(VALU_DEP_2) | instskip(NEXT) | instid1(VALU_DEP_2)
	v_lshrrev_b64 v[4:5], 21, v[4:5]
	v_cmp_gt_i32_e32 vcc_lo, 32, v6
	v_min_i32_e32 v7, 31, v6
	v_cmp_eq_u32_e64 s13, 0, v6
	s_delay_alu instid0(VALU_DEP_2) | instskip(SKIP_1) | instid1(VALU_DEP_2)
	v_dual_cndmask_b32 v5, 0, v5, vcc_lo :: v_dual_lshlrev_b32 v7, 2, v7
	v_cndmask_b32_e32 v4, 3, v4, vcc_lo
	v_and_b32_e32 v7, 0xfc, v7
	s_delay_alu instid0(VALU_DEP_2) | instskip(NEXT) | instid1(VALU_DEP_2)
	v_cmp_eq_u64_e32 vcc_lo, 0, v[4:5]
	v_and_or_b32 v4, v4, 3, v7
	s_and_b32 s13, s13, vcc_lo
	s_delay_alu instid0(VALU_DEP_1) | instid1(SALU_CYCLE_1)
	v_cndmask_b32_e64 v4, v4, 0, s13
	s_delay_alu instid0(VALU_DEP_1)
	v_or_b32_e32 v13, v4, v14
.LBB6_2267:                             ;   in Loop: Header=BB6_357 Depth=4
	s_or_b32 exec_lo, exec_lo, s73
                                        ; implicit-def: $vgpr14
.LBB6_2268:                             ;   in Loop: Header=BB6_357 Depth=4
	s_and_not1_saveexec_b32 s13, s72
; %bb.2269:                             ;   in Loop: Header=BB6_357 Depth=4
	v_or_b32_e32 v13, 0x7b, v14
; %bb.2270:                             ;   in Loop: Header=BB6_357 Depth=4
	s_or_b32 exec_lo, exec_lo, s13
                                        ; implicit-def: $vgpr4
                                        ; implicit-def: $vgpr5
.LBB6_2271:                             ;   in Loop: Header=BB6_357 Depth=4
	s_and_not1_saveexec_b32 s13, s63
	s_cbranch_execz .LBB6_2277
; %bb.2272:                             ;   in Loop: Header=BB6_357 Depth=4
	s_mov_b32 s63, exec_lo
                                        ; implicit-def: $vgpr13
	v_cmpx_ne_u64_e32 0, v[20:21]
	s_xor_b32 s63, exec_lo, s63
; %bb.2273:                             ;   in Loop: Header=BB6_357 Depth=4
	v_or_b32_e32 v13, 0x7f, v5
                                        ; implicit-def: $vgpr4
; %bb.2274:                             ;   in Loop: Header=BB6_357 Depth=4
	s_and_not1_saveexec_b32 s63, s63
; %bb.2275:                             ;   in Loop: Header=BB6_357 Depth=4
	v_cmp_lt_i32_e32 vcc_lo, -1, v4
	v_mov_b32_e32 v4, 0x7c
	s_delay_alu instid0(VALU_DEP_1)
	v_cndmask_b32_e32 v13, 0xfc, v4, vcc_lo
; %bb.2276:                             ;   in Loop: Header=BB6_357 Depth=4
	s_or_b32 exec_lo, exec_lo, s63
.LBB6_2277:                             ;   in Loop: Header=BB6_357 Depth=4
	s_delay_alu instid0(SALU_CYCLE_1) | instskip(SKIP_2) | instid1(VALU_DEP_2)
	s_or_b32 exec_lo, exec_lo, s13
	v_and_b32_e32 v5, 0xff, v0
	v_mov_b32_e32 v4, 0
	v_cmp_ne_u16_e32 vcc_lo, 0, v5
	v_mov_b32_e32 v5, 0
	s_and_saveexec_b32 s63, vcc_lo
	s_cbranch_execz .LBB6_2287
; %bb.2278:                             ;   in Loop: Header=BB6_357 Depth=4
	v_bfe_i32 v7, v0, 0, 8
	v_bfrev_b32_e32 v5, 1
	s_mov_b32 s72, exec_lo
	s_delay_alu instid0(VALU_DEP_2)
	v_cmpx_ne_u16_e32 0xff80, v7
	s_cbranch_execz .LBB6_2286
; %bb.2279:                             ;   in Loop: Header=BB6_357 Depth=4
	v_and_b32_e32 v5, 0x7c, v0
	v_and_b32_e32 v6, 3, v0
	s_delay_alu instid0(VALU_DEP_2) | instskip(SKIP_1) | instid1(SALU_CYCLE_1)
	v_cmp_ne_u32_e32 vcc_lo, 0x7c, v5
                                        ; implicit-def: $vgpr5
	s_and_saveexec_b32 s13, vcc_lo
	s_xor_b32 s13, exec_lo, s13
	s_cbranch_execz .LBB6_2283
; %bb.2280:                             ;   in Loop: Header=BB6_357 Depth=4
	v_bfe_u32 v5, v0, 2, 5
	s_mov_b32 s73, exec_lo
	s_delay_alu instid0(VALU_DEP_1)
	v_cmpx_eq_u32_e32 0, v5
; %bb.2281:                             ;   in Loop: Header=BB6_357 Depth=4
	v_clz_i32_u32_e32 v5, v6
	s_delay_alu instid0(VALU_DEP_1) | instskip(NEXT) | instid1(VALU_DEP_1)
	v_min_u32_e32 v5, 32, v5
	v_subrev_nc_u32_e32 v6, 29, v5
	s_delay_alu instid0(VALU_DEP_1) | instskip(NEXT) | instid1(VALU_DEP_1)
	v_lshlrev_b64_e32 v[6:7], v6, v[0:1]
	v_dual_sub_nc_u32 v5, 30, v5 :: v_dual_bitop2_b32 v6, 3, v6 bitop3:0x40
; %bb.2282:                             ;   in Loop: Header=BB6_357 Depth=4
	s_or_b32 exec_lo, exec_lo, s73
	v_lshlrev_b32_e32 v7, 24, v0
	s_delay_alu instid0(VALU_DEP_1) | instskip(NEXT) | instid1(VALU_DEP_1)
	v_and_b32_e32 v7, 0x80000000, v7
	v_lshl_add_u32 v5, v5, 23, v7
                                        ; implicit-def: $vgpr7
	s_delay_alu instid0(VALU_DEP_1) | instskip(NEXT) | instid1(VALU_DEP_1)
	v_lshl_or_b32 v5, v6, 21, v5
                                        ; implicit-def: $vgpr6
	v_add_nc_u32_e32 v5, 0x38000000, v5
.LBB6_2283:                             ;   in Loop: Header=BB6_357 Depth=4
	s_and_not1_saveexec_b32 s73, s13
; %bb.2284:                             ;   in Loop: Header=BB6_357 Depth=4
	v_cmp_lt_i16_e64 s13, -1, v7
	v_mov_b32_e32 v5, 0x7f800000
	v_cmp_eq_u32_e32 vcc_lo, 0, v6
	s_delay_alu instid0(VALU_DEP_2) | instskip(NEXT) | instid1(VALU_DEP_1)
	v_cndmask_b32_e64 v5, 0xff800000, v5, s13
	v_cndmask_b32_e32 v5, 0x7f800001, v5, vcc_lo
; %bb.2285:                             ;   in Loop: Header=BB6_357 Depth=4
	s_or_b32 exec_lo, exec_lo, s73
.LBB6_2286:                             ;   in Loop: Header=BB6_357 Depth=4
	s_delay_alu instid0(SALU_CYCLE_1)
	s_or_b32 exec_lo, exec_lo, s72
.LBB6_2287:                             ;   in Loop: Header=BB6_357 Depth=4
	s_delay_alu instid0(SALU_CYCLE_1) | instskip(SKIP_3) | instid1(VALU_DEP_1)
	s_or_b32 exec_lo, exec_lo, s63
	s_wait_loadcnt 0x0
	v_and_b32_e32 v6, 0xff, v8
	s_mov_b32 s63, exec_lo
	v_cmpx_ne_u16_e32 0, v6
	s_cbranch_execz .LBB6_2297
; %bb.2288:                             ;   in Loop: Header=BB6_357 Depth=4
	v_bfe_i32 v7, v8, 0, 8
	v_bfrev_b32_e32 v4, 1
	s_mov_b32 s72, exec_lo
	s_delay_alu instid0(VALU_DEP_2)
	v_cmpx_ne_u16_e32 0xff80, v7
	s_cbranch_execz .LBB6_2296
; %bb.2289:                             ;   in Loop: Header=BB6_357 Depth=4
	v_and_b32_e32 v4, 0x7c, v8
	v_and_b32_e32 v6, 3, v8
	s_delay_alu instid0(VALU_DEP_2) | instskip(SKIP_1) | instid1(SALU_CYCLE_1)
	v_cmp_ne_u32_e32 vcc_lo, 0x7c, v4
                                        ; implicit-def: $vgpr4
	s_and_saveexec_b32 s13, vcc_lo
	s_xor_b32 s13, exec_lo, s13
	s_cbranch_execz .LBB6_2293
; %bb.2290:                             ;   in Loop: Header=BB6_357 Depth=4
	v_bfe_u32 v4, v8, 2, 5
	s_mov_b32 s73, exec_lo
	s_delay_alu instid0(VALU_DEP_1)
	v_cmpx_eq_u32_e32 0, v4
; %bb.2291:                             ;   in Loop: Header=BB6_357 Depth=4
	v_clz_i32_u32_e32 v4, v6
	s_delay_alu instid0(VALU_DEP_1) | instskip(NEXT) | instid1(VALU_DEP_1)
	v_min_u32_e32 v4, 32, v4
	v_subrev_nc_u32_e32 v6, 29, v4
	s_delay_alu instid0(VALU_DEP_1) | instskip(NEXT) | instid1(VALU_DEP_1)
	v_lshlrev_b64_e32 v[6:7], v6, v[8:9]
	v_dual_sub_nc_u32 v4, 30, v4 :: v_dual_bitop2_b32 v6, 3, v6 bitop3:0x40
; %bb.2292:                             ;   in Loop: Header=BB6_357 Depth=4
	s_or_b32 exec_lo, exec_lo, s73
	v_lshlrev_b32_e32 v7, 24, v8
	s_delay_alu instid0(VALU_DEP_1) | instskip(NEXT) | instid1(VALU_DEP_1)
	v_and_b32_e32 v7, 0x80000000, v7
	v_lshl_add_u32 v4, v4, 23, v7
                                        ; implicit-def: $vgpr7
	s_delay_alu instid0(VALU_DEP_1) | instskip(NEXT) | instid1(VALU_DEP_1)
	v_lshl_or_b32 v4, v6, 21, v4
                                        ; implicit-def: $vgpr6
	v_add_nc_u32_e32 v4, 0x38000000, v4
.LBB6_2293:                             ;   in Loop: Header=BB6_357 Depth=4
	s_and_not1_saveexec_b32 s73, s13
; %bb.2294:                             ;   in Loop: Header=BB6_357 Depth=4
	v_cmp_lt_i16_e64 s13, -1, v7
	v_mov_b32_e32 v4, 0x7f800000
	v_cmp_eq_u32_e32 vcc_lo, 0, v6
	s_delay_alu instid0(VALU_DEP_2) | instskip(NEXT) | instid1(VALU_DEP_1)
	v_cndmask_b32_e64 v4, 0xff800000, v4, s13
	v_cndmask_b32_e32 v4, 0x7f800001, v4, vcc_lo
; %bb.2295:                             ;   in Loop: Header=BB6_357 Depth=4
	s_or_b32 exec_lo, exec_lo, s73
.LBB6_2296:                             ;   in Loop: Header=BB6_357 Depth=4
	s_delay_alu instid0(SALU_CYCLE_1)
	s_or_b32 exec_lo, exec_lo, s72
.LBB6_2297:                             ;   in Loop: Header=BB6_357 Depth=4
	s_delay_alu instid0(SALU_CYCLE_1) | instskip(NEXT) | instid1(VALU_DEP_1)
	s_or_b32 exec_lo, exec_lo, s63
	v_mul_f32_e32 v4, v5, v4
	v_mov_b32_e32 v7, v21
                                        ; implicit-def: $vgpr14
	s_mov_b32 s13, exec_lo
	s_delay_alu instid0(VALU_DEP_2) | instskip(SKIP_2) | instid1(VALU_DEP_3)
	v_and_b32_e32 v6, 0x7f800000, v4
	v_and_b32_e32 v20, 0x7fffff, v4
	v_lshrrev_b32_e32 v5, 24, v4
	v_cmpx_ne_u64_e32 0x7f800000, v[6:7]
	s_xor_b32 s63, exec_lo, s13
	s_cbranch_execz .LBB6_2311
; %bb.2298:                             ;   in Loop: Header=BB6_357 Depth=4
	v_and_b32_e32 v6, 0x7fffffff, v4
	v_mov_b32_e32 v7, v21
	v_and_b32_e32 v15, 0x80, v5
                                        ; implicit-def: $vgpr14
	s_mov_b32 s13, exec_lo
	s_delay_alu instid0(VALU_DEP_2)
	v_cmpx_gt_u64_e32 0x47600001, v[6:7]
	s_xor_b32 s72, exec_lo, s13
	s_cbranch_execz .LBB6_2308
; %bb.2299:                             ;   in Loop: Header=BB6_357 Depth=4
	v_mov_b32_e32 v14, 0
	s_mov_b32 s73, exec_lo
	v_cmpx_ne_u32_e32 0, v4
	s_cbranch_execz .LBB6_2307
; %bb.2300:                             ;   in Loop: Header=BB6_357 Depth=4
	v_bfe_u32 v14, v4, 23, 8
	v_or_b32_e32 v5, 0x800000, v20
	s_delay_alu instid0(VALU_DEP_2) | instskip(SKIP_2) | instid1(VALU_DEP_2)
	v_cmp_gt_u32_e64 s13, 0x72, v14
	v_sub_nc_u32_e32 v4, 0x71, v14
	v_cmp_eq_u32_e32 vcc_lo, 0, v14
	v_cndmask_b32_e64 v4, 0, v4, s13
	s_delay_alu instid0(VALU_DEP_1) | instskip(SKIP_1) | instid1(VALU_DEP_2)
	v_cndmask_b32_e64 v98, v4, 0x70, vcc_lo
	v_cndmask_b32_e32 v4, v5, v20, vcc_lo
	v_dual_mov_b32 v5, v21 :: v_dual_add_nc_u32 v6, 21, v98
	v_add_nc_u32_e32 v20, 20, v98
	s_delay_alu instid0(VALU_DEP_2) | instskip(NEXT) | instid1(VALU_DEP_2)
	v_lshlrev_b64_e64 v[6:7], v6, -1
	v_lshlrev_b64_e64 v[100:101], v20, 1
	s_delay_alu instid0(VALU_DEP_2) | instskip(SKIP_1) | instid1(VALU_DEP_4)
	v_bfi_b32 v6, v6, 0, v4
	v_lshrrev_b64 v[4:5], v98, v[4:5]
	v_bfi_b32 v7, v7, 0, 0
	s_delay_alu instid0(VALU_DEP_1) | instskip(NEXT) | instid1(VALU_DEP_3)
	v_cmp_eq_u64_e64 s13, v[6:7], v[100:101]
	v_mov_b64_e32 v[6:7], v[4:5]
	s_and_saveexec_b32 s74, s13
; %bb.2301:                             ;   in Loop: Header=BB6_357 Depth=4
	v_bfe_u32 v6, v4, 21, 1
	v_mov_b32_e32 v7, v21
	s_delay_alu instid0(VALU_DEP_1) | instskip(NEXT) | instid1(VALU_DEP_1)
	v_add_nc_u64_e32 v[6:7], v[4:5], v[6:7]
	v_add_nc_u64_e32 v[6:7], -1, v[6:7]
; %bb.2302:                             ;   in Loop: Header=BB6_357 Depth=4
	s_or_b32 exec_lo, exec_lo, s74
	v_add_nc_u32_e32 v5, 0xffffff81, v14
	v_lshrrev_b32_e32 v7, 23, v4
	s_mov_b32 s13, exec_lo
	s_delay_alu instid0(VALU_DEP_2) | instskip(NEXT) | instid1(VALU_DEP_1)
	v_cndmask_b32_e64 v5, v5, 0xffffff82, vcc_lo
	v_add3_u32 v14, v98, v5, v7
	v_and_b32_e32 v5, 0x1fffff, v6
                                        ; implicit-def: $vgpr6
	s_delay_alu instid0(VALU_DEP_1) | instskip(NEXT) | instid1(VALU_DEP_1)
	v_dual_add_nc_u32 v7, 14, v14 :: v_dual_add_nc_u32 v20, v5, v4
                                        ; implicit-def: $vgpr4_vgpr5
	v_cmpx_ne_u32_e32 0, v7
	s_xor_b32 s13, exec_lo, s13
; %bb.2303:                             ;   in Loop: Header=BB6_357 Depth=4
	s_delay_alu instid0(VALU_DEP_2) | instskip(SKIP_1) | instid1(VALU_DEP_1)
	v_cmp_lt_u64_e32 vcc_lo, 0xffffff, v[20:21]
	v_add_nc_u32_e32 v4, 15, v14
	v_cndmask_b32_e32 v6, v7, v4, vcc_lo
	v_cndmask_b32_e64 v4, 0, 1, vcc_lo
	s_delay_alu instid0(VALU_DEP_1)
	v_lshrrev_b64 v[4:5], v4, v[20:21]
; %bb.2304:                             ;   in Loop: Header=BB6_357 Depth=4
	s_and_not1_saveexec_b32 s13, s13
; %bb.2305:                             ;   in Loop: Header=BB6_357 Depth=4
	v_mov_b64_e32 v[4:5], v[20:21]
	v_bfe_u32 v6, v20, 23, 1
; %bb.2306:                             ;   in Loop: Header=BB6_357 Depth=4
	s_or_b32 exec_lo, exec_lo, s13
	s_delay_alu instid0(VALU_DEP_2) | instskip(NEXT) | instid1(VALU_DEP_2)
	v_lshrrev_b64 v[4:5], 21, v[4:5]
	v_cmp_gt_i32_e32 vcc_lo, 32, v6
	v_min_i32_e32 v7, 31, v6
	v_cmp_eq_u32_e64 s13, 0, v6
	s_delay_alu instid0(VALU_DEP_2) | instskip(SKIP_1) | instid1(VALU_DEP_2)
	v_dual_cndmask_b32 v5, 0, v5, vcc_lo :: v_dual_lshlrev_b32 v7, 2, v7
	v_cndmask_b32_e32 v4, 3, v4, vcc_lo
	v_and_b32_e32 v7, 0xfc, v7
	s_delay_alu instid0(VALU_DEP_2) | instskip(NEXT) | instid1(VALU_DEP_2)
	v_cmp_eq_u64_e32 vcc_lo, 0, v[4:5]
	v_and_or_b32 v4, v4, 3, v7
	s_and_b32 s13, s13, vcc_lo
	s_delay_alu instid0(VALU_DEP_1) | instid1(SALU_CYCLE_1)
	v_cndmask_b32_e64 v4, v4, 0, s13
	s_delay_alu instid0(VALU_DEP_1)
	v_or_b32_e32 v14, v4, v15
.LBB6_2307:                             ;   in Loop: Header=BB6_357 Depth=4
	s_or_b32 exec_lo, exec_lo, s73
                                        ; implicit-def: $vgpr15
.LBB6_2308:                             ;   in Loop: Header=BB6_357 Depth=4
	s_and_not1_saveexec_b32 s13, s72
; %bb.2309:                             ;   in Loop: Header=BB6_357 Depth=4
	v_or_b32_e32 v14, 0x7b, v15
; %bb.2310:                             ;   in Loop: Header=BB6_357 Depth=4
	s_or_b32 exec_lo, exec_lo, s13
                                        ; implicit-def: $vgpr4
                                        ; implicit-def: $vgpr5
.LBB6_2311:                             ;   in Loop: Header=BB6_357 Depth=4
	s_and_not1_saveexec_b32 s13, s63
	s_cbranch_execz .LBB6_2317
; %bb.2312:                             ;   in Loop: Header=BB6_357 Depth=4
	s_mov_b32 s63, exec_lo
                                        ; implicit-def: $vgpr14
	v_cmpx_ne_u64_e32 0, v[20:21]
	s_xor_b32 s63, exec_lo, s63
; %bb.2313:                             ;   in Loop: Header=BB6_357 Depth=4
	v_or_b32_e32 v14, 0x7f, v5
                                        ; implicit-def: $vgpr4
; %bb.2314:                             ;   in Loop: Header=BB6_357 Depth=4
	s_and_not1_saveexec_b32 s63, s63
; %bb.2315:                             ;   in Loop: Header=BB6_357 Depth=4
	v_cmp_lt_i32_e32 vcc_lo, -1, v4
	v_mov_b32_e32 v4, 0x7c
	s_delay_alu instid0(VALU_DEP_1)
	v_cndmask_b32_e32 v14, 0xfc, v4, vcc_lo
; %bb.2316:                             ;   in Loop: Header=BB6_357 Depth=4
	s_or_b32 exec_lo, exec_lo, s63
.LBB6_2317:                             ;   in Loop: Header=BB6_357 Depth=4
	s_delay_alu instid0(SALU_CYCLE_1) | instskip(SKIP_3) | instid1(VALU_DEP_2)
	s_or_b32 exec_lo, exec_lo, s13
	v_lshrrev_b16 v4, 8, v0
	v_dual_mov_b32 v6, 0 :: v_dual_mov_b32 v7, 0
	s_mov_b32 s63, exec_lo
	v_cmpx_ne_u16_e32 0, v4
	s_cbranch_execz .LBB6_2327
; %bb.2318:                             ;   in Loop: Header=BB6_357 Depth=4
	v_bfrev_b32_e32 v7, 1
	s_mov_b32 s72, exec_lo
	v_cmpx_ne_u16_e32 0x80, v4
	s_cbranch_execz .LBB6_2326
; %bb.2319:                             ;   in Loop: Header=BB6_357 Depth=4
	v_and_b32_e32 v15, 0xffff, v4
	s_delay_alu instid0(VALU_DEP_1) | instskip(SKIP_1) | instid1(VALU_DEP_2)
	v_and_b32_e32 v7, 0x7c, v15
	v_and_b32_e32 v5, 3, v15
	v_cmp_ne_u32_e32 vcc_lo, 0x7c, v7
                                        ; implicit-def: $vgpr7
	s_and_saveexec_b32 s13, vcc_lo
	s_delay_alu instid0(SALU_CYCLE_1)
	s_xor_b32 s13, exec_lo, s13
	s_cbranch_execz .LBB6_2323
; %bb.2320:                             ;   in Loop: Header=BB6_357 Depth=4
	v_bfe_u32 v7, v15, 2, 5
	s_mov_b32 s73, exec_lo
	s_delay_alu instid0(VALU_DEP_1)
	v_cmpx_eq_u32_e32 0, v7
	s_cbranch_execz .LBB6_2322
; %bb.2321:                             ;   in Loop: Header=BB6_357 Depth=4
	v_clz_i32_u32_e32 v5, v5
	s_delay_alu instid0(VALU_DEP_1) | instskip(SKIP_1) | instid1(VALU_DEP_2)
	v_min_u32_e32 v7, 32, v5
	v_mov_b32_e32 v5, v21
	v_subrev_nc_u32_e32 v15, 29, v7
	v_sub_nc_u32_e32 v7, 30, v7
	s_delay_alu instid0(VALU_DEP_2) | instskip(NEXT) | instid1(VALU_DEP_1)
	v_lshlrev_b64_e32 v[4:5], v15, v[4:5]
	v_and_b32_e32 v5, 3, v4
.LBB6_2322:                             ;   in Loop: Header=BB6_357 Depth=4
	s_or_b32 exec_lo, exec_lo, s73
	v_lshlrev_b32_e32 v4, 16, v0
	s_delay_alu instid0(VALU_DEP_1) | instskip(NEXT) | instid1(VALU_DEP_1)
	v_and_b32_e32 v4, 0x80000000, v4
	v_lshl_add_u32 v4, v7, 23, v4
	s_delay_alu instid0(VALU_DEP_1) | instskip(NEXT) | instid1(VALU_DEP_1)
	v_lshl_or_b32 v4, v5, 21, v4
                                        ; implicit-def: $vgpr5
	v_add_nc_u32_e32 v7, 0x38000000, v4
.LBB6_2323:                             ;   in Loop: Header=BB6_357 Depth=4
	s_and_not1_saveexec_b32 s73, s13
; %bb.2324:                             ;   in Loop: Header=BB6_357 Depth=4
	v_cmp_lt_i16_e64 s13, -1, v0
	v_mov_b32_e32 v4, 0x7f800000
	v_cmp_eq_u32_e32 vcc_lo, 0, v5
	s_delay_alu instid0(VALU_DEP_2) | instskip(NEXT) | instid1(VALU_DEP_1)
	v_cndmask_b32_e64 v4, 0xff800000, v4, s13
	v_cndmask_b32_e32 v7, 0x7f800001, v4, vcc_lo
; %bb.2325:                             ;   in Loop: Header=BB6_357 Depth=4
	s_or_b32 exec_lo, exec_lo, s73
.LBB6_2326:                             ;   in Loop: Header=BB6_357 Depth=4
	s_delay_alu instid0(SALU_CYCLE_1)
	s_or_b32 exec_lo, exec_lo, s72
.LBB6_2327:                             ;   in Loop: Header=BB6_357 Depth=4
	s_delay_alu instid0(SALU_CYCLE_1) | instskip(SKIP_2) | instid1(VALU_DEP_1)
	s_or_b32 exec_lo, exec_lo, s63
	v_lshrrev_b16 v4, 8, v8
	s_mov_b32 s63, exec_lo
	v_cmpx_ne_u16_e32 0, v4
	s_cbranch_execz .LBB6_2337
; %bb.2328:                             ;   in Loop: Header=BB6_357 Depth=4
	v_bfrev_b32_e32 v6, 1
	s_mov_b32 s72, exec_lo
	v_cmpx_ne_u16_e32 0x80, v4
	s_cbranch_execz .LBB6_2336
; %bb.2329:                             ;   in Loop: Header=BB6_357 Depth=4
	v_and_b32_e32 v15, 0xffff, v4
	s_delay_alu instid0(VALU_DEP_1) | instskip(SKIP_1) | instid1(VALU_DEP_2)
	v_and_b32_e32 v6, 0x7c, v15
	v_and_b32_e32 v5, 3, v15
	v_cmp_ne_u32_e32 vcc_lo, 0x7c, v6
                                        ; implicit-def: $vgpr6
	s_and_saveexec_b32 s13, vcc_lo
	s_delay_alu instid0(SALU_CYCLE_1)
	s_xor_b32 s13, exec_lo, s13
	s_cbranch_execz .LBB6_2333
; %bb.2330:                             ;   in Loop: Header=BB6_357 Depth=4
	v_bfe_u32 v6, v15, 2, 5
	s_mov_b32 s73, exec_lo
	s_delay_alu instid0(VALU_DEP_1)
	v_cmpx_eq_u32_e32 0, v6
	s_cbranch_execz .LBB6_2332
; %bb.2331:                             ;   in Loop: Header=BB6_357 Depth=4
	v_clz_i32_u32_e32 v5, v5
	s_delay_alu instid0(VALU_DEP_1) | instskip(SKIP_1) | instid1(VALU_DEP_2)
	v_min_u32_e32 v6, 32, v5
	v_mov_b32_e32 v5, v21
	v_subrev_nc_u32_e32 v15, 29, v6
	v_sub_nc_u32_e32 v6, 30, v6
	s_delay_alu instid0(VALU_DEP_2) | instskip(NEXT) | instid1(VALU_DEP_1)
	v_lshlrev_b64_e32 v[4:5], v15, v[4:5]
	v_and_b32_e32 v5, 3, v4
.LBB6_2332:                             ;   in Loop: Header=BB6_357 Depth=4
	s_or_b32 exec_lo, exec_lo, s73
	v_lshlrev_b32_e32 v4, 16, v8
	s_delay_alu instid0(VALU_DEP_1) | instskip(NEXT) | instid1(VALU_DEP_1)
	v_and_b32_e32 v4, 0x80000000, v4
	v_lshl_add_u32 v4, v6, 23, v4
	s_delay_alu instid0(VALU_DEP_1) | instskip(NEXT) | instid1(VALU_DEP_1)
	v_lshl_or_b32 v4, v5, 21, v4
                                        ; implicit-def: $vgpr5
	v_add_nc_u32_e32 v6, 0x38000000, v4
.LBB6_2333:                             ;   in Loop: Header=BB6_357 Depth=4
	s_and_not1_saveexec_b32 s73, s13
; %bb.2334:                             ;   in Loop: Header=BB6_357 Depth=4
	v_cmp_lt_i16_e64 s13, -1, v8
	v_mov_b32_e32 v4, 0x7f800000
	v_cmp_eq_u32_e32 vcc_lo, 0, v5
	s_delay_alu instid0(VALU_DEP_2) | instskip(NEXT) | instid1(VALU_DEP_1)
	v_cndmask_b32_e64 v4, 0xff800000, v4, s13
	v_cndmask_b32_e32 v6, 0x7f800001, v4, vcc_lo
; %bb.2335:                             ;   in Loop: Header=BB6_357 Depth=4
	s_or_b32 exec_lo, exec_lo, s73
.LBB6_2336:                             ;   in Loop: Header=BB6_357 Depth=4
	s_delay_alu instid0(SALU_CYCLE_1)
	s_or_b32 exec_lo, exec_lo, s72
.LBB6_2337:                             ;   in Loop: Header=BB6_357 Depth=4
	s_delay_alu instid0(SALU_CYCLE_1) | instskip(NEXT) | instid1(VALU_DEP_1)
	s_or_b32 exec_lo, exec_lo, s63
	v_dual_mul_f32 v4, v7, v6 :: v_dual_mov_b32 v7, v21
                                        ; implicit-def: $vgpr15
	s_mov_b32 s13, exec_lo
	s_delay_alu instid0(VALU_DEP_1) | instskip(SKIP_2) | instid1(VALU_DEP_3)
	v_and_b32_e32 v6, 0x7f800000, v4
	v_and_b32_e32 v20, 0x7fffff, v4
	v_lshrrev_b32_e32 v5, 24, v4
	v_cmpx_ne_u64_e32 0x7f800000, v[6:7]
	s_xor_b32 s63, exec_lo, s13
	s_cbranch_execz .LBB6_2351
; %bb.2338:                             ;   in Loop: Header=BB6_357 Depth=4
	v_and_b32_e32 v6, 0x7fffffff, v4
	v_mov_b32_e32 v7, v21
	v_and_b32_e32 v98, 0x80, v5
                                        ; implicit-def: $vgpr15
	s_mov_b32 s13, exec_lo
	s_delay_alu instid0(VALU_DEP_2)
	v_cmpx_gt_u64_e32 0x47600001, v[6:7]
	s_xor_b32 s72, exec_lo, s13
	s_cbranch_execz .LBB6_2348
; %bb.2339:                             ;   in Loop: Header=BB6_357 Depth=4
	v_mov_b32_e32 v15, 0
	s_mov_b32 s73, exec_lo
	v_cmpx_ne_u32_e32 0, v4
	s_cbranch_execz .LBB6_2347
; %bb.2340:                             ;   in Loop: Header=BB6_357 Depth=4
	v_bfe_u32 v15, v4, 23, 8
	v_or_b32_e32 v5, 0x800000, v20
	s_delay_alu instid0(VALU_DEP_2) | instskip(SKIP_2) | instid1(VALU_DEP_2)
	v_cmp_gt_u32_e64 s13, 0x72, v15
	v_sub_nc_u32_e32 v4, 0x71, v15
	v_cmp_eq_u32_e32 vcc_lo, 0, v15
	v_cndmask_b32_e64 v4, 0, v4, s13
	s_delay_alu instid0(VALU_DEP_1) | instskip(SKIP_1) | instid1(VALU_DEP_2)
	v_cndmask_b32_e64 v99, v4, 0x70, vcc_lo
	v_cndmask_b32_e32 v4, v5, v20, vcc_lo
	v_dual_mov_b32 v5, v21 :: v_dual_add_nc_u32 v6, 21, v99
	v_add_nc_u32_e32 v20, 20, v99
	s_delay_alu instid0(VALU_DEP_2) | instskip(NEXT) | instid1(VALU_DEP_2)
	v_lshlrev_b64_e64 v[6:7], v6, -1
	v_lshlrev_b64_e64 v[100:101], v20, 1
	s_delay_alu instid0(VALU_DEP_2) | instskip(SKIP_1) | instid1(VALU_DEP_4)
	v_bfi_b32 v6, v6, 0, v4
	v_lshrrev_b64 v[4:5], v99, v[4:5]
	v_bfi_b32 v7, v7, 0, 0
	s_delay_alu instid0(VALU_DEP_1) | instskip(NEXT) | instid1(VALU_DEP_3)
	v_cmp_eq_u64_e64 s13, v[6:7], v[100:101]
	v_mov_b64_e32 v[6:7], v[4:5]
	s_and_saveexec_b32 s74, s13
; %bb.2341:                             ;   in Loop: Header=BB6_357 Depth=4
	v_bfe_u32 v6, v4, 21, 1
	v_mov_b32_e32 v7, v21
	s_delay_alu instid0(VALU_DEP_1) | instskip(NEXT) | instid1(VALU_DEP_1)
	v_add_nc_u64_e32 v[6:7], v[4:5], v[6:7]
	v_add_nc_u64_e32 v[6:7], -1, v[6:7]
; %bb.2342:                             ;   in Loop: Header=BB6_357 Depth=4
	s_or_b32 exec_lo, exec_lo, s74
	v_add_nc_u32_e32 v5, 0xffffff81, v15
	v_lshrrev_b32_e32 v7, 23, v4
	s_mov_b32 s13, exec_lo
	s_delay_alu instid0(VALU_DEP_2) | instskip(NEXT) | instid1(VALU_DEP_1)
	v_cndmask_b32_e64 v5, v5, 0xffffff82, vcc_lo
	v_add3_u32 v15, v99, v5, v7
	v_and_b32_e32 v5, 0x1fffff, v6
                                        ; implicit-def: $vgpr6
	s_delay_alu instid0(VALU_DEP_1) | instskip(NEXT) | instid1(VALU_DEP_1)
	v_dual_add_nc_u32 v7, 14, v15 :: v_dual_add_nc_u32 v20, v5, v4
                                        ; implicit-def: $vgpr4_vgpr5
	v_cmpx_ne_u32_e32 0, v7
	s_xor_b32 s13, exec_lo, s13
; %bb.2343:                             ;   in Loop: Header=BB6_357 Depth=4
	s_delay_alu instid0(VALU_DEP_2) | instskip(SKIP_1) | instid1(VALU_DEP_1)
	v_cmp_lt_u64_e32 vcc_lo, 0xffffff, v[20:21]
	v_add_nc_u32_e32 v4, 15, v15
	v_cndmask_b32_e32 v6, v7, v4, vcc_lo
	v_cndmask_b32_e64 v4, 0, 1, vcc_lo
	s_delay_alu instid0(VALU_DEP_1)
	v_lshrrev_b64 v[4:5], v4, v[20:21]
; %bb.2344:                             ;   in Loop: Header=BB6_357 Depth=4
	s_and_not1_saveexec_b32 s13, s13
; %bb.2345:                             ;   in Loop: Header=BB6_357 Depth=4
	v_mov_b64_e32 v[4:5], v[20:21]
	v_bfe_u32 v6, v20, 23, 1
; %bb.2346:                             ;   in Loop: Header=BB6_357 Depth=4
	s_or_b32 exec_lo, exec_lo, s13
	s_delay_alu instid0(VALU_DEP_2) | instskip(NEXT) | instid1(VALU_DEP_2)
	v_lshrrev_b64 v[4:5], 21, v[4:5]
	v_cmp_gt_i32_e32 vcc_lo, 32, v6
	v_min_i32_e32 v7, 31, v6
	v_cmp_eq_u32_e64 s13, 0, v6
	s_delay_alu instid0(VALU_DEP_2) | instskip(SKIP_1) | instid1(VALU_DEP_2)
	v_dual_cndmask_b32 v5, 0, v5, vcc_lo :: v_dual_lshlrev_b32 v7, 2, v7
	v_cndmask_b32_e32 v4, 3, v4, vcc_lo
	v_and_b32_e32 v7, 0xfc, v7
	s_delay_alu instid0(VALU_DEP_2) | instskip(NEXT) | instid1(VALU_DEP_2)
	v_cmp_eq_u64_e32 vcc_lo, 0, v[4:5]
	v_and_or_b32 v4, v4, 3, v7
	s_and_b32 s13, s13, vcc_lo
	s_delay_alu instid0(VALU_DEP_1) | instid1(SALU_CYCLE_1)
	v_cndmask_b32_e64 v4, v4, 0, s13
	s_delay_alu instid0(VALU_DEP_1)
	v_or_b32_e32 v15, v4, v98
.LBB6_2347:                             ;   in Loop: Header=BB6_357 Depth=4
	s_or_b32 exec_lo, exec_lo, s73
                                        ; implicit-def: $vgpr98
.LBB6_2348:                             ;   in Loop: Header=BB6_357 Depth=4
	s_and_not1_saveexec_b32 s13, s72
; %bb.2349:                             ;   in Loop: Header=BB6_357 Depth=4
	v_or_b32_e32 v15, 0x7b, v98
; %bb.2350:                             ;   in Loop: Header=BB6_357 Depth=4
	s_or_b32 exec_lo, exec_lo, s13
                                        ; implicit-def: $vgpr4
                                        ; implicit-def: $vgpr5
.LBB6_2351:                             ;   in Loop: Header=BB6_357 Depth=4
	s_and_not1_saveexec_b32 s13, s63
	s_cbranch_execz .LBB6_2357
; %bb.2352:                             ;   in Loop: Header=BB6_357 Depth=4
	s_mov_b32 s63, exec_lo
                                        ; implicit-def: $vgpr15
	v_cmpx_ne_u64_e32 0, v[20:21]
	s_xor_b32 s63, exec_lo, s63
; %bb.2353:                             ;   in Loop: Header=BB6_357 Depth=4
	v_or_b32_e32 v15, 0x7f, v5
                                        ; implicit-def: $vgpr4
; %bb.2354:                             ;   in Loop: Header=BB6_357 Depth=4
	s_and_not1_saveexec_b32 s63, s63
; %bb.2355:                             ;   in Loop: Header=BB6_357 Depth=4
	v_cmp_lt_i32_e32 vcc_lo, -1, v4
	v_mov_b32_e32 v4, 0x7c
	s_delay_alu instid0(VALU_DEP_1)
	v_cndmask_b32_e32 v15, 0xfc, v4, vcc_lo
; %bb.2356:                             ;   in Loop: Header=BB6_357 Depth=4
	s_or_b32 exec_lo, exec_lo, s63
.LBB6_2357:                             ;   in Loop: Header=BB6_357 Depth=4
	s_delay_alu instid0(SALU_CYCLE_1) | instskip(SKIP_3) | instid1(VALU_DEP_2)
	s_or_b32 exec_lo, exec_lo, s13
	v_dual_mov_b32 v5, 0 :: v_dual_lshrrev_b32 v4, 16, v0
	v_mov_b32_e32 v6, 0
	s_mov_b32 s63, exec_lo
	v_and_b32_e32 v7, 0xff, v4
	s_delay_alu instid0(VALU_DEP_1)
	v_cmpx_ne_u16_e32 0, v7
	s_cbranch_execz .LBB6_2367
; %bb.2358:                             ;   in Loop: Header=BB6_357 Depth=4
	v_bfrev_b32_e32 v6, 1
	s_mov_b32 s72, exec_lo
	v_cmpx_ne_u16_e32 0x80, v7
	s_cbranch_execz .LBB6_2366
; %bb.2359:                             ;   in Loop: Header=BB6_357 Depth=4
	v_and_b32_e32 v6, 0x7c0000, v0
	v_bfe_u32 v7, v0, 16, 2
	s_delay_alu instid0(VALU_DEP_2) | instskip(SKIP_1) | instid1(SALU_CYCLE_1)
	v_cmp_ne_u32_e32 vcc_lo, 0x7c0000, v6
                                        ; implicit-def: $vgpr6
	s_and_saveexec_b32 s13, vcc_lo
	s_xor_b32 s13, exec_lo, s13
	s_cbranch_execz .LBB6_2363
; %bb.2360:                             ;   in Loop: Header=BB6_357 Depth=4
	v_bfe_u32 v6, v0, 18, 5
	s_mov_b32 s73, exec_lo
	s_delay_alu instid0(VALU_DEP_1)
	v_cmpx_eq_u32_e32 0, v6
; %bb.2361:                             ;   in Loop: Header=BB6_357 Depth=4
	v_clz_i32_u32_e32 v6, v7
	s_delay_alu instid0(VALU_DEP_1) | instskip(NEXT) | instid1(VALU_DEP_1)
	v_min_u32_e32 v6, 32, v6
	v_subrev_nc_u32_e32 v7, 29, v6
	v_sub_nc_u32_e32 v6, 30, v6
	s_delay_alu instid0(VALU_DEP_2) | instskip(NEXT) | instid1(VALU_DEP_1)
	v_lshlrev_b64_e32 v[98:99], v7, v[4:5]
	v_and_b32_e32 v7, 3, v98
; %bb.2362:                             ;   in Loop: Header=BB6_357 Depth=4
	s_or_b32 exec_lo, exec_lo, s73
	v_lshlrev_b32_e32 v4, 24, v4
	s_delay_alu instid0(VALU_DEP_1) | instskip(NEXT) | instid1(VALU_DEP_1)
	v_and_b32_e32 v4, 0x80000000, v4
	v_lshl_add_u32 v4, v6, 23, v4
	s_delay_alu instid0(VALU_DEP_1) | instskip(NEXT) | instid1(VALU_DEP_1)
	v_lshl_or_b32 v4, v7, 21, v4
                                        ; implicit-def: $vgpr7
	v_add_nc_u32_e32 v6, 0x38000000, v4
                                        ; implicit-def: $vgpr4
.LBB6_2363:                             ;   in Loop: Header=BB6_357 Depth=4
	s_and_not1_saveexec_b32 s73, s13
; %bb.2364:                             ;   in Loop: Header=BB6_357 Depth=4
	v_bfe_i32 v4, v4, 0, 8
	v_cmp_eq_u32_e32 vcc_lo, 0, v7
	s_delay_alu instid0(VALU_DEP_2) | instskip(SKIP_1) | instid1(VALU_DEP_1)
	v_cmp_lt_i16_e64 s13, -1, v4
	v_mov_b32_e32 v4, 0x7f800000
	v_cndmask_b32_e64 v4, 0xff800000, v4, s13
	s_delay_alu instid0(VALU_DEP_1)
	v_cndmask_b32_e32 v6, 0x7f800001, v4, vcc_lo
; %bb.2365:                             ;   in Loop: Header=BB6_357 Depth=4
	s_or_b32 exec_lo, exec_lo, s73
.LBB6_2366:                             ;   in Loop: Header=BB6_357 Depth=4
	s_delay_alu instid0(SALU_CYCLE_1)
	s_or_b32 exec_lo, exec_lo, s72
.LBB6_2367:                             ;   in Loop: Header=BB6_357 Depth=4
	s_delay_alu instid0(SALU_CYCLE_1) | instskip(SKIP_2) | instid1(VALU_DEP_1)
	s_or_b32 exec_lo, exec_lo, s63
	v_lshrrev_b32_e32 v4, 16, v8
	s_mov_b32 s63, exec_lo
	v_and_b32_e32 v7, 0xff, v4
	s_delay_alu instid0(VALU_DEP_1)
	v_cmpx_ne_u16_e32 0, v7
	s_cbranch_execz .LBB6_2377
; %bb.2368:                             ;   in Loop: Header=BB6_357 Depth=4
	v_bfrev_b32_e32 v5, 1
	s_mov_b32 s72, exec_lo
	v_cmpx_ne_u16_e32 0x80, v7
	s_cbranch_execz .LBB6_2376
; %bb.2369:                             ;   in Loop: Header=BB6_357 Depth=4
	v_and_b32_e32 v5, 0x7c0000, v8
	v_bfe_u32 v7, v8, 16, 2
	s_delay_alu instid0(VALU_DEP_2) | instskip(SKIP_1) | instid1(SALU_CYCLE_1)
	v_cmp_ne_u32_e32 vcc_lo, 0x7c0000, v5
                                        ; implicit-def: $vgpr5
	s_and_saveexec_b32 s13, vcc_lo
	s_xor_b32 s13, exec_lo, s13
	s_cbranch_execz .LBB6_2373
; %bb.2370:                             ;   in Loop: Header=BB6_357 Depth=4
	v_bfe_u32 v5, v8, 18, 5
	s_mov_b32 s73, exec_lo
	s_delay_alu instid0(VALU_DEP_1)
	v_cmpx_eq_u32_e32 0, v5
; %bb.2371:                             ;   in Loop: Header=BB6_357 Depth=4
	v_clz_i32_u32_e32 v5, v7
	s_delay_alu instid0(VALU_DEP_1) | instskip(NEXT) | instid1(VALU_DEP_1)
	v_min_u32_e32 v5, 32, v5
	v_subrev_nc_u32_e32 v7, 29, v5
	s_delay_alu instid0(VALU_DEP_1) | instskip(NEXT) | instid1(VALU_DEP_1)
	v_lshlrev_b64_e32 v[98:99], v7, v[4:5]
	v_dual_sub_nc_u32 v5, 30, v5 :: v_dual_bitop2_b32 v7, 3, v98 bitop3:0x40
; %bb.2372:                             ;   in Loop: Header=BB6_357 Depth=4
	s_or_b32 exec_lo, exec_lo, s73
	v_lshlrev_b32_e32 v4, 24, v4
	s_delay_alu instid0(VALU_DEP_1) | instskip(NEXT) | instid1(VALU_DEP_1)
	v_and_b32_e32 v4, 0x80000000, v4
	v_lshl_add_u32 v4, v5, 23, v4
	s_delay_alu instid0(VALU_DEP_1) | instskip(NEXT) | instid1(VALU_DEP_1)
	v_lshl_or_b32 v4, v7, 21, v4
                                        ; implicit-def: $vgpr7
	v_add_nc_u32_e32 v5, 0x38000000, v4
                                        ; implicit-def: $vgpr4
.LBB6_2373:                             ;   in Loop: Header=BB6_357 Depth=4
	s_and_not1_saveexec_b32 s73, s13
; %bb.2374:                             ;   in Loop: Header=BB6_357 Depth=4
	v_bfe_i32 v4, v4, 0, 8
	v_cmp_eq_u32_e32 vcc_lo, 0, v7
	s_delay_alu instid0(VALU_DEP_2) | instskip(SKIP_1) | instid1(VALU_DEP_1)
	v_cmp_lt_i16_e64 s13, -1, v4
	v_mov_b32_e32 v4, 0x7f800000
	v_cndmask_b32_e64 v4, 0xff800000, v4, s13
	s_delay_alu instid0(VALU_DEP_1)
	v_cndmask_b32_e32 v5, 0x7f800001, v4, vcc_lo
; %bb.2375:                             ;   in Loop: Header=BB6_357 Depth=4
	s_or_b32 exec_lo, exec_lo, s73
.LBB6_2376:                             ;   in Loop: Header=BB6_357 Depth=4
	s_delay_alu instid0(SALU_CYCLE_1)
	s_or_b32 exec_lo, exec_lo, s72
.LBB6_2377:                             ;   in Loop: Header=BB6_357 Depth=4
	s_delay_alu instid0(SALU_CYCLE_1) | instskip(NEXT) | instid1(VALU_DEP_1)
	s_or_b32 exec_lo, exec_lo, s63
	v_dual_mul_f32 v4, v6, v5 :: v_dual_mov_b32 v7, v21
                                        ; implicit-def: $vgpr98
	s_mov_b32 s13, exec_lo
	s_delay_alu instid0(VALU_DEP_1) | instskip(SKIP_2) | instid1(VALU_DEP_3)
	v_and_b32_e32 v6, 0x7f800000, v4
	v_and_b32_e32 v20, 0x7fffff, v4
	v_lshrrev_b32_e32 v5, 24, v4
	v_cmpx_ne_u64_e32 0x7f800000, v[6:7]
	s_xor_b32 s63, exec_lo, s13
	s_cbranch_execz .LBB6_2391
; %bb.2378:                             ;   in Loop: Header=BB6_357 Depth=4
	v_and_b32_e32 v6, 0x7fffffff, v4
	v_mov_b32_e32 v7, v21
	v_and_b32_e32 v99, 0x80, v5
                                        ; implicit-def: $vgpr98
	s_mov_b32 s13, exec_lo
	s_delay_alu instid0(VALU_DEP_2)
	v_cmpx_gt_u64_e32 0x47600001, v[6:7]
	s_xor_b32 s72, exec_lo, s13
	s_cbranch_execz .LBB6_2388
; %bb.2379:                             ;   in Loop: Header=BB6_357 Depth=4
	v_mov_b32_e32 v98, 0
	s_mov_b32 s73, exec_lo
	v_cmpx_ne_u32_e32 0, v4
	s_cbranch_execz .LBB6_2387
; %bb.2380:                             ;   in Loop: Header=BB6_357 Depth=4
	v_bfe_u32 v98, v4, 23, 8
	v_or_b32_e32 v5, 0x800000, v20
	s_delay_alu instid0(VALU_DEP_2) | instskip(SKIP_2) | instid1(VALU_DEP_2)
	v_cmp_gt_u32_e64 s13, 0x72, v98
	v_sub_nc_u32_e32 v4, 0x71, v98
	v_cmp_eq_u32_e32 vcc_lo, 0, v98
	v_cndmask_b32_e64 v4, 0, v4, s13
	s_delay_alu instid0(VALU_DEP_1) | instskip(SKIP_1) | instid1(VALU_DEP_2)
	v_cndmask_b32_e64 v100, v4, 0x70, vcc_lo
	v_cndmask_b32_e32 v4, v5, v20, vcc_lo
	v_dual_mov_b32 v5, v21 :: v_dual_add_nc_u32 v6, 21, v100
	v_add_nc_u32_e32 v20, 20, v100
	s_delay_alu instid0(VALU_DEP_2) | instskip(NEXT) | instid1(VALU_DEP_2)
	v_lshlrev_b64_e64 v[6:7], v6, -1
	v_lshlrev_b64_e64 v[102:103], v20, 1
	s_delay_alu instid0(VALU_DEP_2) | instskip(SKIP_1) | instid1(VALU_DEP_4)
	v_bfi_b32 v6, v6, 0, v4
	v_lshrrev_b64 v[4:5], v100, v[4:5]
	v_bfi_b32 v7, v7, 0, 0
	s_delay_alu instid0(VALU_DEP_1) | instskip(NEXT) | instid1(VALU_DEP_3)
	v_cmp_eq_u64_e64 s13, v[6:7], v[102:103]
	v_mov_b64_e32 v[6:7], v[4:5]
	s_and_saveexec_b32 s74, s13
; %bb.2381:                             ;   in Loop: Header=BB6_357 Depth=4
	v_bfe_u32 v6, v4, 21, 1
	v_mov_b32_e32 v7, v21
	s_delay_alu instid0(VALU_DEP_1) | instskip(NEXT) | instid1(VALU_DEP_1)
	v_add_nc_u64_e32 v[6:7], v[4:5], v[6:7]
	v_add_nc_u64_e32 v[6:7], -1, v[6:7]
; %bb.2382:                             ;   in Loop: Header=BB6_357 Depth=4
	s_or_b32 exec_lo, exec_lo, s74
	v_add_nc_u32_e32 v5, 0xffffff81, v98
	v_lshrrev_b32_e32 v7, 23, v4
	s_mov_b32 s13, exec_lo
	s_delay_alu instid0(VALU_DEP_2) | instskip(NEXT) | instid1(VALU_DEP_1)
	v_cndmask_b32_e64 v5, v5, 0xffffff82, vcc_lo
	v_add3_u32 v98, v100, v5, v7
	v_and_b32_e32 v5, 0x1fffff, v6
                                        ; implicit-def: $vgpr6
	s_delay_alu instid0(VALU_DEP_1) | instskip(NEXT) | instid1(VALU_DEP_1)
	v_dual_add_nc_u32 v7, 14, v98 :: v_dual_add_nc_u32 v20, v5, v4
                                        ; implicit-def: $vgpr4_vgpr5
	v_cmpx_ne_u32_e32 0, v7
	s_xor_b32 s13, exec_lo, s13
; %bb.2383:                             ;   in Loop: Header=BB6_357 Depth=4
	s_delay_alu instid0(VALU_DEP_2) | instskip(SKIP_1) | instid1(VALU_DEP_1)
	v_cmp_lt_u64_e32 vcc_lo, 0xffffff, v[20:21]
	v_add_nc_u32_e32 v4, 15, v98
	v_cndmask_b32_e32 v6, v7, v4, vcc_lo
	v_cndmask_b32_e64 v4, 0, 1, vcc_lo
	s_delay_alu instid0(VALU_DEP_1)
	v_lshrrev_b64 v[4:5], v4, v[20:21]
; %bb.2384:                             ;   in Loop: Header=BB6_357 Depth=4
	s_and_not1_saveexec_b32 s13, s13
; %bb.2385:                             ;   in Loop: Header=BB6_357 Depth=4
	v_mov_b64_e32 v[4:5], v[20:21]
	v_bfe_u32 v6, v20, 23, 1
; %bb.2386:                             ;   in Loop: Header=BB6_357 Depth=4
	s_or_b32 exec_lo, exec_lo, s13
	s_delay_alu instid0(VALU_DEP_2) | instskip(NEXT) | instid1(VALU_DEP_2)
	v_lshrrev_b64 v[4:5], 21, v[4:5]
	v_cmp_gt_i32_e32 vcc_lo, 32, v6
	v_min_i32_e32 v7, 31, v6
	v_cmp_eq_u32_e64 s13, 0, v6
	s_delay_alu instid0(VALU_DEP_2) | instskip(SKIP_1) | instid1(VALU_DEP_2)
	v_dual_cndmask_b32 v5, 0, v5, vcc_lo :: v_dual_lshlrev_b32 v7, 2, v7
	v_cndmask_b32_e32 v4, 3, v4, vcc_lo
	v_and_b32_e32 v7, 0xfc, v7
	s_delay_alu instid0(VALU_DEP_2) | instskip(NEXT) | instid1(VALU_DEP_2)
	v_cmp_eq_u64_e32 vcc_lo, 0, v[4:5]
	v_and_or_b32 v4, v4, 3, v7
	s_and_b32 s13, s13, vcc_lo
	s_delay_alu instid0(VALU_DEP_1) | instid1(SALU_CYCLE_1)
	v_cndmask_b32_e64 v4, v4, 0, s13
	s_delay_alu instid0(VALU_DEP_1)
	v_or_b32_e32 v98, v4, v99
.LBB6_2387:                             ;   in Loop: Header=BB6_357 Depth=4
	s_or_b32 exec_lo, exec_lo, s73
                                        ; implicit-def: $vgpr99
.LBB6_2388:                             ;   in Loop: Header=BB6_357 Depth=4
	s_and_not1_saveexec_b32 s13, s72
; %bb.2389:                             ;   in Loop: Header=BB6_357 Depth=4
	v_or_b32_e32 v98, 0x7b, v99
; %bb.2390:                             ;   in Loop: Header=BB6_357 Depth=4
	s_or_b32 exec_lo, exec_lo, s13
                                        ; implicit-def: $vgpr4
                                        ; implicit-def: $vgpr5
.LBB6_2391:                             ;   in Loop: Header=BB6_357 Depth=4
	s_and_not1_saveexec_b32 s13, s63
	s_cbranch_execz .LBB6_2397
; %bb.2392:                             ;   in Loop: Header=BB6_357 Depth=4
	s_mov_b32 s63, exec_lo
                                        ; implicit-def: $vgpr98
	v_cmpx_ne_u64_e32 0, v[20:21]
	s_xor_b32 s63, exec_lo, s63
; %bb.2393:                             ;   in Loop: Header=BB6_357 Depth=4
	v_or_b32_e32 v98, 0x7f, v5
                                        ; implicit-def: $vgpr4
; %bb.2394:                             ;   in Loop: Header=BB6_357 Depth=4
	s_and_not1_saveexec_b32 s63, s63
; %bb.2395:                             ;   in Loop: Header=BB6_357 Depth=4
	v_cmp_lt_i32_e32 vcc_lo, -1, v4
	v_mov_b32_e32 v4, 0x7c
	s_delay_alu instid0(VALU_DEP_1)
	v_cndmask_b32_e32 v98, 0xfc, v4, vcc_lo
; %bb.2396:                             ;   in Loop: Header=BB6_357 Depth=4
	s_or_b32 exec_lo, exec_lo, s63
.LBB6_2397:                             ;   in Loop: Header=BB6_357 Depth=4
	s_delay_alu instid0(SALU_CYCLE_1)
	s_or_b32 exec_lo, exec_lo, s13
	v_dual_mov_b32 v5, 0 :: v_dual_mov_b32 v6, 0
	s_mov_b32 s63, exec_lo
	v_cmpx_lt_u32_e32 0xffffff, v0
	s_cbranch_execz .LBB6_2407
; %bb.2398:                             ;   in Loop: Header=BB6_357 Depth=4
	v_lshrrev_b32_e32 v4, 24, v0
	v_bfrev_b32_e32 v6, 1
	s_mov_b32 s72, exec_lo
	s_delay_alu instid0(VALU_DEP_2)
	v_cmpx_ne_u32_e32 0x80, v4
	s_cbranch_execz .LBB6_2406
; %bb.2399:                             ;   in Loop: Header=BB6_357 Depth=4
	v_and_b32_e32 v6, 0x7c000000, v0
	v_bfe_u32 v7, v0, 24, 2
	s_delay_alu instid0(VALU_DEP_2) | instskip(SKIP_1) | instid1(SALU_CYCLE_1)
	v_cmp_ne_u32_e32 vcc_lo, 0x7c000000, v6
                                        ; implicit-def: $vgpr6
	s_and_saveexec_b32 s13, vcc_lo
	s_xor_b32 s13, exec_lo, s13
	s_cbranch_execz .LBB6_2403
; %bb.2400:                             ;   in Loop: Header=BB6_357 Depth=4
	v_bfe_u32 v6, v0, 26, 5
	s_mov_b32 s73, exec_lo
	s_delay_alu instid0(VALU_DEP_1)
	v_cmpx_eq_u32_e32 0, v6
; %bb.2401:                             ;   in Loop: Header=BB6_357 Depth=4
	v_clz_i32_u32_e32 v6, v7
	s_delay_alu instid0(VALU_DEP_1) | instskip(NEXT) | instid1(VALU_DEP_1)
	v_min_u32_e32 v6, 32, v6
	v_subrev_nc_u32_e32 v7, 29, v6
	s_delay_alu instid0(VALU_DEP_1) | instskip(NEXT) | instid1(VALU_DEP_1)
	v_lshlrev_b64_e32 v[100:101], v7, v[4:5]
	v_dual_sub_nc_u32 v6, 30, v6 :: v_dual_bitop2_b32 v7, 3, v100 bitop3:0x40
; %bb.2402:                             ;   in Loop: Header=BB6_357 Depth=4
	s_or_b32 exec_lo, exec_lo, s73
	v_and_b32_e32 v4, 0x80000000, v0
	s_delay_alu instid0(VALU_DEP_1) | instskip(NEXT) | instid1(VALU_DEP_1)
	v_lshl_add_u32 v4, v6, 23, v4
	v_lshl_or_b32 v4, v7, 21, v4
                                        ; implicit-def: $vgpr7
	s_delay_alu instid0(VALU_DEP_1)
	v_add_nc_u32_e32 v6, 0x38000000, v4
.LBB6_2403:                             ;   in Loop: Header=BB6_357 Depth=4
	s_and_not1_saveexec_b32 s73, s13
; %bb.2404:                             ;   in Loop: Header=BB6_357 Depth=4
	v_cmp_lt_i32_e64 s13, -1, v0
	v_mov_b32_e32 v4, 0x7f800000
	v_cmp_eq_u32_e32 vcc_lo, 0, v7
	s_delay_alu instid0(VALU_DEP_2) | instskip(NEXT) | instid1(VALU_DEP_1)
	v_cndmask_b32_e64 v4, 0xff800000, v4, s13
	v_cndmask_b32_e32 v6, 0x7f800001, v4, vcc_lo
; %bb.2405:                             ;   in Loop: Header=BB6_357 Depth=4
	s_or_b32 exec_lo, exec_lo, s73
.LBB6_2406:                             ;   in Loop: Header=BB6_357 Depth=4
	s_delay_alu instid0(SALU_CYCLE_1)
	s_or_b32 exec_lo, exec_lo, s72
.LBB6_2407:                             ;   in Loop: Header=BB6_357 Depth=4
	s_delay_alu instid0(SALU_CYCLE_1) | instskip(NEXT) | instid1(SALU_CYCLE_1)
	s_or_b32 exec_lo, exec_lo, s63
	s_mov_b32 s63, exec_lo
	v_cmpx_lt_u32_e32 0xffffff, v8
	s_cbranch_execz .LBB6_2417
; %bb.2408:                             ;   in Loop: Header=BB6_357 Depth=4
	v_lshrrev_b32_e32 v4, 24, v8
	v_bfrev_b32_e32 v5, 1
	s_mov_b32 s72, exec_lo
	s_delay_alu instid0(VALU_DEP_2)
	v_cmpx_ne_u32_e32 0x80, v4
	s_cbranch_execz .LBB6_2416
; %bb.2409:                             ;   in Loop: Header=BB6_357 Depth=4
	v_and_b32_e32 v5, 0x7c000000, v8
	v_bfe_u32 v7, v8, 24, 2
	s_delay_alu instid0(VALU_DEP_2) | instskip(SKIP_1) | instid1(SALU_CYCLE_1)
	v_cmp_ne_u32_e32 vcc_lo, 0x7c000000, v5
                                        ; implicit-def: $vgpr5
	s_and_saveexec_b32 s13, vcc_lo
	s_xor_b32 s13, exec_lo, s13
	s_cbranch_execz .LBB6_2413
; %bb.2410:                             ;   in Loop: Header=BB6_357 Depth=4
	v_bfe_u32 v5, v8, 26, 5
	s_mov_b32 s73, exec_lo
	s_delay_alu instid0(VALU_DEP_1)
	v_cmpx_eq_u32_e32 0, v5
; %bb.2411:                             ;   in Loop: Header=BB6_357 Depth=4
	v_clz_i32_u32_e32 v5, v7
	s_delay_alu instid0(VALU_DEP_1) | instskip(NEXT) | instid1(VALU_DEP_1)
	v_min_u32_e32 v7, 32, v5
	v_subrev_nc_u32_e32 v5, 29, v7
	s_delay_alu instid0(VALU_DEP_1) | instskip(NEXT) | instid1(VALU_DEP_1)
	v_lshlrev_b64_e32 v[4:5], v5, v[4:5]
	v_dual_sub_nc_u32 v5, 30, v7 :: v_dual_bitop2_b32 v7, 3, v4 bitop3:0x40
; %bb.2412:                             ;   in Loop: Header=BB6_357 Depth=4
	s_or_b32 exec_lo, exec_lo, s73
	v_and_b32_e32 v4, 0x80000000, v8
	s_delay_alu instid0(VALU_DEP_1) | instskip(NEXT) | instid1(VALU_DEP_1)
	v_lshl_add_u32 v4, v5, 23, v4
	v_lshl_or_b32 v4, v7, 21, v4
                                        ; implicit-def: $vgpr7
	s_delay_alu instid0(VALU_DEP_1)
	v_add_nc_u32_e32 v5, 0x38000000, v4
.LBB6_2413:                             ;   in Loop: Header=BB6_357 Depth=4
	s_and_not1_saveexec_b32 s73, s13
; %bb.2414:                             ;   in Loop: Header=BB6_357 Depth=4
	v_cmp_lt_i32_e64 s13, -1, v8
	v_mov_b32_e32 v4, 0x7f800000
	v_cmp_eq_u32_e32 vcc_lo, 0, v7
	s_delay_alu instid0(VALU_DEP_2) | instskip(NEXT) | instid1(VALU_DEP_1)
	v_cndmask_b32_e64 v4, 0xff800000, v4, s13
	v_cndmask_b32_e32 v5, 0x7f800001, v4, vcc_lo
; %bb.2415:                             ;   in Loop: Header=BB6_357 Depth=4
	s_or_b32 exec_lo, exec_lo, s73
.LBB6_2416:                             ;   in Loop: Header=BB6_357 Depth=4
	s_delay_alu instid0(SALU_CYCLE_1)
	s_or_b32 exec_lo, exec_lo, s72
.LBB6_2417:                             ;   in Loop: Header=BB6_357 Depth=4
	s_delay_alu instid0(SALU_CYCLE_1) | instskip(NEXT) | instid1(VALU_DEP_1)
	s_or_b32 exec_lo, exec_lo, s63
	v_dual_mul_f32 v4, v6, v5 :: v_dual_mov_b32 v7, v21
                                        ; implicit-def: $vgpr99
	s_mov_b32 s13, exec_lo
	s_delay_alu instid0(VALU_DEP_1) | instskip(SKIP_2) | instid1(VALU_DEP_3)
	v_and_b32_e32 v6, 0x7f800000, v4
	v_and_b32_e32 v20, 0x7fffff, v4
	v_lshrrev_b32_e32 v5, 24, v4
	v_cmpx_ne_u64_e32 0x7f800000, v[6:7]
	s_xor_b32 s63, exec_lo, s13
	s_cbranch_execz .LBB6_2431
; %bb.2418:                             ;   in Loop: Header=BB6_357 Depth=4
	v_and_b32_e32 v6, 0x7fffffff, v4
	v_mov_b32_e32 v7, v21
	v_and_b32_e32 v100, 0x80, v5
                                        ; implicit-def: $vgpr99
	s_mov_b32 s13, exec_lo
	s_delay_alu instid0(VALU_DEP_2)
	v_cmpx_gt_u64_e32 0x47600001, v[6:7]
	s_xor_b32 s72, exec_lo, s13
	s_cbranch_execz .LBB6_2428
; %bb.2419:                             ;   in Loop: Header=BB6_357 Depth=4
	v_mov_b32_e32 v99, 0
	s_mov_b32 s73, exec_lo
	v_cmpx_ne_u32_e32 0, v4
	s_cbranch_execz .LBB6_2427
; %bb.2420:                             ;   in Loop: Header=BB6_357 Depth=4
	v_bfe_u32 v99, v4, 23, 8
	v_or_b32_e32 v5, 0x800000, v20
	s_delay_alu instid0(VALU_DEP_2) | instskip(SKIP_2) | instid1(VALU_DEP_2)
	v_cmp_gt_u32_e64 s13, 0x72, v99
	v_sub_nc_u32_e32 v4, 0x71, v99
	v_cmp_eq_u32_e32 vcc_lo, 0, v99
	v_cndmask_b32_e64 v4, 0, v4, s13
	s_delay_alu instid0(VALU_DEP_1) | instskip(SKIP_1) | instid1(VALU_DEP_2)
	v_cndmask_b32_e64 v101, v4, 0x70, vcc_lo
	v_cndmask_b32_e32 v4, v5, v20, vcc_lo
	v_dual_mov_b32 v5, v21 :: v_dual_add_nc_u32 v6, 21, v101
	v_add_nc_u32_e32 v20, 20, v101
	s_delay_alu instid0(VALU_DEP_2) | instskip(NEXT) | instid1(VALU_DEP_2)
	v_lshlrev_b64_e64 v[6:7], v6, -1
	v_lshlrev_b64_e64 v[102:103], v20, 1
	s_delay_alu instid0(VALU_DEP_2) | instskip(SKIP_1) | instid1(VALU_DEP_4)
	v_bfi_b32 v6, v6, 0, v4
	v_lshrrev_b64 v[4:5], v101, v[4:5]
	v_bfi_b32 v7, v7, 0, 0
	s_delay_alu instid0(VALU_DEP_1) | instskip(NEXT) | instid1(VALU_DEP_3)
	v_cmp_eq_u64_e64 s13, v[6:7], v[102:103]
	v_mov_b64_e32 v[6:7], v[4:5]
	s_and_saveexec_b32 s74, s13
; %bb.2421:                             ;   in Loop: Header=BB6_357 Depth=4
	v_bfe_u32 v6, v4, 21, 1
	v_mov_b32_e32 v7, v21
	s_delay_alu instid0(VALU_DEP_1) | instskip(NEXT) | instid1(VALU_DEP_1)
	v_add_nc_u64_e32 v[6:7], v[4:5], v[6:7]
	v_add_nc_u64_e32 v[6:7], -1, v[6:7]
; %bb.2422:                             ;   in Loop: Header=BB6_357 Depth=4
	s_or_b32 exec_lo, exec_lo, s74
	v_add_nc_u32_e32 v5, 0xffffff81, v99
	v_lshrrev_b32_e32 v7, 23, v4
	s_mov_b32 s13, exec_lo
	s_delay_alu instid0(VALU_DEP_2) | instskip(NEXT) | instid1(VALU_DEP_1)
	v_cndmask_b32_e64 v5, v5, 0xffffff82, vcc_lo
	v_add3_u32 v99, v101, v5, v7
	v_and_b32_e32 v5, 0x1fffff, v6
                                        ; implicit-def: $vgpr6
	s_delay_alu instid0(VALU_DEP_1) | instskip(NEXT) | instid1(VALU_DEP_1)
	v_dual_add_nc_u32 v7, 14, v99 :: v_dual_add_nc_u32 v20, v5, v4
                                        ; implicit-def: $vgpr4_vgpr5
	v_cmpx_ne_u32_e32 0, v7
	s_xor_b32 s13, exec_lo, s13
; %bb.2423:                             ;   in Loop: Header=BB6_357 Depth=4
	s_delay_alu instid0(VALU_DEP_2) | instskip(SKIP_1) | instid1(VALU_DEP_1)
	v_cmp_lt_u64_e32 vcc_lo, 0xffffff, v[20:21]
	v_add_nc_u32_e32 v4, 15, v99
	v_cndmask_b32_e32 v6, v7, v4, vcc_lo
	v_cndmask_b32_e64 v4, 0, 1, vcc_lo
	s_delay_alu instid0(VALU_DEP_1)
	v_lshrrev_b64 v[4:5], v4, v[20:21]
; %bb.2424:                             ;   in Loop: Header=BB6_357 Depth=4
	s_and_not1_saveexec_b32 s13, s13
; %bb.2425:                             ;   in Loop: Header=BB6_357 Depth=4
	v_mov_b64_e32 v[4:5], v[20:21]
	v_bfe_u32 v6, v20, 23, 1
; %bb.2426:                             ;   in Loop: Header=BB6_357 Depth=4
	s_or_b32 exec_lo, exec_lo, s13
	s_delay_alu instid0(VALU_DEP_2) | instskip(NEXT) | instid1(VALU_DEP_2)
	v_lshrrev_b64 v[4:5], 21, v[4:5]
	v_cmp_gt_i32_e32 vcc_lo, 32, v6
	v_min_i32_e32 v7, 31, v6
	v_cmp_eq_u32_e64 s13, 0, v6
	s_delay_alu instid0(VALU_DEP_2) | instskip(SKIP_1) | instid1(VALU_DEP_2)
	v_dual_cndmask_b32 v5, 0, v5, vcc_lo :: v_dual_lshlrev_b32 v7, 2, v7
	v_cndmask_b32_e32 v4, 3, v4, vcc_lo
	v_and_b32_e32 v7, 0xfc, v7
	s_delay_alu instid0(VALU_DEP_2) | instskip(NEXT) | instid1(VALU_DEP_2)
	v_cmp_eq_u64_e32 vcc_lo, 0, v[4:5]
	v_and_or_b32 v4, v4, 3, v7
	s_and_b32 s13, s13, vcc_lo
	s_delay_alu instid0(VALU_DEP_1) | instid1(SALU_CYCLE_1)
	v_cndmask_b32_e64 v4, v4, 0, s13
	s_delay_alu instid0(VALU_DEP_1)
	v_or_b32_e32 v99, v4, v100
.LBB6_2427:                             ;   in Loop: Header=BB6_357 Depth=4
	s_or_b32 exec_lo, exec_lo, s73
                                        ; implicit-def: $vgpr100
.LBB6_2428:                             ;   in Loop: Header=BB6_357 Depth=4
	s_and_not1_saveexec_b32 s13, s72
; %bb.2429:                             ;   in Loop: Header=BB6_357 Depth=4
	v_or_b32_e32 v99, 0x7b, v100
; %bb.2430:                             ;   in Loop: Header=BB6_357 Depth=4
	s_or_b32 exec_lo, exec_lo, s13
                                        ; implicit-def: $vgpr4
                                        ; implicit-def: $vgpr5
.LBB6_2431:                             ;   in Loop: Header=BB6_357 Depth=4
	s_and_not1_saveexec_b32 s13, s63
	s_cbranch_execz .LBB6_2437
; %bb.2432:                             ;   in Loop: Header=BB6_357 Depth=4
	s_mov_b32 s63, exec_lo
                                        ; implicit-def: $vgpr99
	v_cmpx_ne_u64_e32 0, v[20:21]
	s_xor_b32 s63, exec_lo, s63
; %bb.2433:                             ;   in Loop: Header=BB6_357 Depth=4
	v_or_b32_e32 v99, 0x7f, v5
                                        ; implicit-def: $vgpr4
; %bb.2434:                             ;   in Loop: Header=BB6_357 Depth=4
	s_and_not1_saveexec_b32 s63, s63
; %bb.2435:                             ;   in Loop: Header=BB6_357 Depth=4
	v_cmp_lt_i32_e32 vcc_lo, -1, v4
	v_mov_b32_e32 v4, 0x7c
	s_delay_alu instid0(VALU_DEP_1)
	v_cndmask_b32_e32 v99, 0xfc, v4, vcc_lo
; %bb.2436:                             ;   in Loop: Header=BB6_357 Depth=4
	s_or_b32 exec_lo, exec_lo, s63
.LBB6_2437:                             ;   in Loop: Header=BB6_357 Depth=4
	s_delay_alu instid0(SALU_CYCLE_1) | instskip(SKIP_4) | instid1(VALU_DEP_3)
	s_or_b32 exec_lo, exec_lo, s13
	v_and_b32_e32 v6, 0xff, v1
	v_dual_mov_b32 v20, v1 :: v_dual_mov_b32 v5, 0
	v_mov_b32_e32 v4, 0
	s_mov_b32 s63, exec_lo
	v_cmpx_ne_u16_e32 0, v6
	s_cbranch_execz .LBB6_2447
; %bb.2438:                             ;   in Loop: Header=BB6_357 Depth=4
	v_bfrev_b32_e32 v4, 1
	s_mov_b32 s72, exec_lo
	v_cmpx_ne_u16_e32 0x80, v6
	s_cbranch_execz .LBB6_2446
; %bb.2439:                             ;   in Loop: Header=BB6_357 Depth=4
	v_and_b32_e32 v4, 0x7c, v1
	v_and_b32_e32 v6, 3, v1
	s_delay_alu instid0(VALU_DEP_2) | instskip(SKIP_1) | instid1(SALU_CYCLE_1)
	v_cmp_ne_u32_e32 vcc_lo, 0x7c, v4
                                        ; implicit-def: $vgpr4
	s_and_saveexec_b32 s13, vcc_lo
	s_xor_b32 s13, exec_lo, s13
	s_cbranch_execz .LBB6_2443
; %bb.2440:                             ;   in Loop: Header=BB6_357 Depth=4
	v_bfe_u32 v4, v1, 2, 5
	s_mov_b32 s73, exec_lo
	s_delay_alu instid0(VALU_DEP_1)
	v_cmpx_eq_u32_e32 0, v4
; %bb.2441:                             ;   in Loop: Header=BB6_357 Depth=4
	v_clz_i32_u32_e32 v4, v6
	s_delay_alu instid0(VALU_DEP_1) | instskip(NEXT) | instid1(VALU_DEP_1)
	v_min_u32_e32 v4, 32, v4
	v_subrev_nc_u32_e32 v6, 29, v4
	s_delay_alu instid0(VALU_DEP_1) | instskip(NEXT) | instid1(VALU_DEP_1)
	v_lshlrev_b64_e32 v[6:7], v6, v[20:21]
	v_dual_sub_nc_u32 v4, 30, v4 :: v_dual_bitop2_b32 v6, 3, v6 bitop3:0x40
; %bb.2442:                             ;   in Loop: Header=BB6_357 Depth=4
	s_or_b32 exec_lo, exec_lo, s73
	v_lshlrev_b32_e32 v7, 24, v1
	s_delay_alu instid0(VALU_DEP_1) | instskip(NEXT) | instid1(VALU_DEP_1)
	v_and_b32_e32 v7, 0x80000000, v7
	v_lshl_add_u32 v4, v4, 23, v7
	s_delay_alu instid0(VALU_DEP_1) | instskip(NEXT) | instid1(VALU_DEP_1)
	v_lshl_or_b32 v4, v6, 21, v4
                                        ; implicit-def: $vgpr6
	v_add_nc_u32_e32 v4, 0x38000000, v4
.LBB6_2443:                             ;   in Loop: Header=BB6_357 Depth=4
	s_and_not1_saveexec_b32 s73, s13
; %bb.2444:                             ;   in Loop: Header=BB6_357 Depth=4
	v_bfe_i32 v4, v1, 0, 8
	v_cmp_eq_u32_e32 vcc_lo, 0, v6
	s_delay_alu instid0(VALU_DEP_2) | instskip(SKIP_1) | instid1(VALU_DEP_1)
	v_cmp_lt_i16_e64 s13, -1, v4
	v_mov_b32_e32 v4, 0x7f800000
	v_cndmask_b32_e64 v4, 0xff800000, v4, s13
	s_delay_alu instid0(VALU_DEP_1)
	v_cndmask_b32_e32 v4, 0x7f800001, v4, vcc_lo
; %bb.2445:                             ;   in Loop: Header=BB6_357 Depth=4
	s_or_b32 exec_lo, exec_lo, s73
.LBB6_2446:                             ;   in Loop: Header=BB6_357 Depth=4
	s_delay_alu instid0(SALU_CYCLE_1)
	s_or_b32 exec_lo, exec_lo, s72
.LBB6_2447:                             ;   in Loop: Header=BB6_357 Depth=4
	s_delay_alu instid0(SALU_CYCLE_1) | instskip(SKIP_2) | instid1(VALU_DEP_1)
	s_or_b32 exec_lo, exec_lo, s63
	v_and_b32_e32 v6, 0xff, v9
	s_mov_b32 s63, exec_lo
	v_cmpx_ne_u16_e32 0, v6
	s_cbranch_execz .LBB6_2457
; %bb.2448:                             ;   in Loop: Header=BB6_357 Depth=4
	v_bfrev_b32_e32 v5, 1
	s_mov_b32 s72, exec_lo
	v_cmpx_ne_u16_e32 0x80, v6
	s_cbranch_execz .LBB6_2456
; %bb.2449:                             ;   in Loop: Header=BB6_357 Depth=4
	v_and_b32_e32 v5, 0x7c, v9
	v_and_b32_e32 v6, 3, v9
	s_delay_alu instid0(VALU_DEP_2) | instskip(SKIP_1) | instid1(SALU_CYCLE_1)
	v_cmp_ne_u32_e32 vcc_lo, 0x7c, v5
                                        ; implicit-def: $vgpr5
	s_and_saveexec_b32 s13, vcc_lo
	s_xor_b32 s13, exec_lo, s13
	s_cbranch_execz .LBB6_2453
; %bb.2450:                             ;   in Loop: Header=BB6_357 Depth=4
	v_bfe_u32 v5, v9, 2, 5
	s_mov_b32 s73, exec_lo
	s_delay_alu instid0(VALU_DEP_1)
	v_cmpx_eq_u32_e32 0, v5
; %bb.2451:                             ;   in Loop: Header=BB6_357 Depth=4
	v_clz_i32_u32_e32 v5, v6
	v_dual_mov_b32 v6, v9 :: v_dual_mov_b32 v7, v21
	s_delay_alu instid0(VALU_DEP_2) | instskip(NEXT) | instid1(VALU_DEP_1)
	v_min_u32_e32 v5, 32, v5
	v_subrev_nc_u32_e32 v100, 29, v5
	s_delay_alu instid0(VALU_DEP_1) | instskip(NEXT) | instid1(VALU_DEP_1)
	v_lshlrev_b64_e32 v[6:7], v100, v[6:7]
	v_dual_sub_nc_u32 v5, 30, v5 :: v_dual_bitop2_b32 v6, 3, v6 bitop3:0x40
; %bb.2452:                             ;   in Loop: Header=BB6_357 Depth=4
	s_or_b32 exec_lo, exec_lo, s73
	v_lshlrev_b32_e32 v7, 24, v9
	s_delay_alu instid0(VALU_DEP_1) | instskip(NEXT) | instid1(VALU_DEP_1)
	v_and_b32_e32 v7, 0x80000000, v7
	v_lshl_add_u32 v5, v5, 23, v7
	s_delay_alu instid0(VALU_DEP_1) | instskip(NEXT) | instid1(VALU_DEP_1)
	v_lshl_or_b32 v5, v6, 21, v5
                                        ; implicit-def: $vgpr6
	v_add_nc_u32_e32 v5, 0x38000000, v5
.LBB6_2453:                             ;   in Loop: Header=BB6_357 Depth=4
	s_and_not1_saveexec_b32 s73, s13
; %bb.2454:                             ;   in Loop: Header=BB6_357 Depth=4
	v_bfe_i32 v5, v9, 0, 8
	v_cmp_eq_u32_e32 vcc_lo, 0, v6
	s_delay_alu instid0(VALU_DEP_2) | instskip(SKIP_1) | instid1(VALU_DEP_1)
	v_cmp_lt_i16_e64 s13, -1, v5
	v_mov_b32_e32 v5, 0x7f800000
	v_cndmask_b32_e64 v5, 0xff800000, v5, s13
	s_delay_alu instid0(VALU_DEP_1)
	v_cndmask_b32_e32 v5, 0x7f800001, v5, vcc_lo
; %bb.2455:                             ;   in Loop: Header=BB6_357 Depth=4
	s_or_b32 exec_lo, exec_lo, s73
.LBB6_2456:                             ;   in Loop: Header=BB6_357 Depth=4
	s_delay_alu instid0(SALU_CYCLE_1)
	s_or_b32 exec_lo, exec_lo, s72
.LBB6_2457:                             ;   in Loop: Header=BB6_357 Depth=4
	s_delay_alu instid0(SALU_CYCLE_1) | instskip(NEXT) | instid1(VALU_DEP_1)
	s_or_b32 exec_lo, exec_lo, s63
	v_dual_mul_f32 v6, v4, v5 :: v_dual_mov_b32 v101, v21
	s_delay_alu instid0(VALU_DEP_1) | instskip(SKIP_2) | instid1(VALU_DEP_2)
	v_dual_mov_b32 v5, v21 :: v_dual_lshrrev_b32 v7, 24, v6
	v_and_b32_e32 v100, 0x7f800000, v6
	v_and_b32_e32 v4, 0x7fffff, v6
	v_cmp_ne_u64_e32 vcc_lo, 0x7f800000, v[100:101]
                                        ; implicit-def: $vgpr100
	s_and_saveexec_b32 s13, vcc_lo
	s_delay_alu instid0(SALU_CYCLE_1)
	s_xor_b32 s63, exec_lo, s13
	s_cbranch_execz .LBB6_2471
; %bb.2458:                             ;   in Loop: Header=BB6_357 Depth=4
	v_and_b32_e32 v100, 0x7fffffff, v6
	v_mov_b32_e32 v101, v21
	s_delay_alu instid0(VALU_DEP_1) | instskip(SKIP_2) | instid1(SALU_CYCLE_1)
	v_cmp_gt_u64_e32 vcc_lo, 0x47600001, v[100:101]
	v_and_b32_e32 v101, 0x80, v7
                                        ; implicit-def: $vgpr100
	s_and_saveexec_b32 s13, vcc_lo
	s_xor_b32 s72, exec_lo, s13
	s_cbranch_execz .LBB6_2468
; %bb.2459:                             ;   in Loop: Header=BB6_357 Depth=4
	v_mov_b32_e32 v100, 0
	s_mov_b32 s73, exec_lo
	v_cmpx_ne_u32_e32 0, v6
	s_cbranch_execz .LBB6_2467
; %bb.2460:                             ;   in Loop: Header=BB6_357 Depth=4
	v_bfe_u32 v100, v6, 23, 8
	v_or_b32_e32 v7, 0x800000, v4
	s_delay_alu instid0(VALU_DEP_2) | instskip(SKIP_2) | instid1(VALU_DEP_2)
	v_cmp_gt_u32_e64 s13, 0x72, v100
	v_sub_nc_u32_e32 v6, 0x71, v100
	v_cmp_eq_u32_e32 vcc_lo, 0, v100
	v_dual_cndmask_b32 v6, 0, v6, s13 :: v_dual_cndmask_b32 v4, v7, v4, vcc_lo
	s_delay_alu instid0(VALU_DEP_1) | instskip(NEXT) | instid1(VALU_DEP_1)
	v_cndmask_b32_e64 v102, v6, 0x70, vcc_lo
	v_dual_add_nc_u32 v6, 21, v102 :: v_dual_add_nc_u32 v103, 20, v102
	s_delay_alu instid0(VALU_DEP_1) | instskip(NEXT) | instid1(VALU_DEP_2)
	v_lshlrev_b64_e64 v[6:7], v6, -1
	v_lshlrev_b64_e64 v[112:113], v103, 1
	s_delay_alu instid0(VALU_DEP_2) | instskip(SKIP_1) | instid1(VALU_DEP_4)
	v_bfi_b32 v6, v6, 0, v4
	v_lshrrev_b64 v[4:5], v102, v[4:5]
	v_bfi_b32 v7, v7, 0, 0
	s_delay_alu instid0(VALU_DEP_1) | instskip(NEXT) | instid1(VALU_DEP_3)
	v_cmp_eq_u64_e64 s13, v[6:7], v[112:113]
	v_mov_b64_e32 v[6:7], v[4:5]
	s_and_saveexec_b32 s74, s13
; %bb.2461:                             ;   in Loop: Header=BB6_357 Depth=4
	v_bfe_u32 v6, v4, 21, 1
	v_mov_b32_e32 v7, v21
	s_delay_alu instid0(VALU_DEP_1) | instskip(NEXT) | instid1(VALU_DEP_1)
	v_add_nc_u64_e32 v[6:7], v[4:5], v[6:7]
	v_add_nc_u64_e32 v[6:7], -1, v[6:7]
; %bb.2462:                             ;   in Loop: Header=BB6_357 Depth=4
	s_or_b32 exec_lo, exec_lo, s74
	v_add_nc_u32_e32 v5, 0xffffff81, v100
	v_lshrrev_b32_e32 v7, 23, v4
	s_mov_b32 s13, exec_lo
	s_delay_alu instid0(VALU_DEP_2) | instskip(NEXT) | instid1(VALU_DEP_1)
	v_cndmask_b32_e64 v5, v5, 0xffffff82, vcc_lo
	v_add3_u32 v100, v102, v5, v7
	v_and_b32_e32 v5, 0x1fffff, v6
                                        ; implicit-def: $vgpr6
	s_delay_alu instid0(VALU_DEP_2) | instskip(NEXT) | instid1(VALU_DEP_2)
	v_add_nc_u32_e32 v7, 14, v100
	v_add_nc_u32_e32 v4, v5, v4
	v_mov_b32_e32 v5, v21
	s_delay_alu instid0(VALU_DEP_3)
	v_cmpx_ne_u32_e32 0, v7
	s_xor_b32 s13, exec_lo, s13
; %bb.2463:                             ;   in Loop: Header=BB6_357 Depth=4
	s_delay_alu instid0(VALU_DEP_2) | instskip(SKIP_1) | instid1(VALU_DEP_1)
	v_cmp_lt_u64_e32 vcc_lo, 0xffffff, v[4:5]
	v_add_nc_u32_e32 v6, 15, v100
	v_cndmask_b32_e32 v6, v7, v6, vcc_lo
	v_cndmask_b32_e64 v7, 0, 1, vcc_lo
	s_delay_alu instid0(VALU_DEP_1)
	v_lshrrev_b64 v[4:5], v7, v[4:5]
; %bb.2464:                             ;   in Loop: Header=BB6_357 Depth=4
	s_and_not1_saveexec_b32 s13, s13
; %bb.2465:                             ;   in Loop: Header=BB6_357 Depth=4
	s_delay_alu instid0(VALU_DEP_1)
	v_bfe_u32 v6, v4, 23, 1
; %bb.2466:                             ;   in Loop: Header=BB6_357 Depth=4
	s_or_b32 exec_lo, exec_lo, s13
	s_delay_alu instid0(VALU_DEP_2) | instskip(NEXT) | instid1(VALU_DEP_2)
	v_lshrrev_b64 v[4:5], 21, v[4:5]
	v_cmp_gt_i32_e32 vcc_lo, 32, v6
	v_min_i32_e32 v7, 31, v6
	v_cmp_eq_u32_e64 s13, 0, v6
	s_delay_alu instid0(VALU_DEP_2) | instskip(SKIP_1) | instid1(VALU_DEP_2)
	v_dual_cndmask_b32 v5, 0, v5, vcc_lo :: v_dual_lshlrev_b32 v7, 2, v7
	v_cndmask_b32_e32 v4, 3, v4, vcc_lo
	v_and_b32_e32 v7, 0xfc, v7
	s_delay_alu instid0(VALU_DEP_2) | instskip(NEXT) | instid1(VALU_DEP_2)
	v_cmp_eq_u64_e32 vcc_lo, 0, v[4:5]
	v_and_or_b32 v4, v4, 3, v7
	s_and_b32 s13, s13, vcc_lo
	s_delay_alu instid0(VALU_DEP_1) | instid1(SALU_CYCLE_1)
	v_cndmask_b32_e64 v4, v4, 0, s13
	s_delay_alu instid0(VALU_DEP_1)
	v_or_b32_e32 v100, v4, v101
.LBB6_2467:                             ;   in Loop: Header=BB6_357 Depth=4
	s_or_b32 exec_lo, exec_lo, s73
                                        ; implicit-def: $vgpr101
.LBB6_2468:                             ;   in Loop: Header=BB6_357 Depth=4
	s_and_not1_saveexec_b32 s13, s72
; %bb.2469:                             ;   in Loop: Header=BB6_357 Depth=4
	v_or_b32_e32 v100, 0x7b, v101
; %bb.2470:                             ;   in Loop: Header=BB6_357 Depth=4
	s_or_b32 exec_lo, exec_lo, s13
                                        ; implicit-def: $vgpr6
                                        ; implicit-def: $vgpr4_vgpr5
                                        ; implicit-def: $vgpr7
.LBB6_2471:                             ;   in Loop: Header=BB6_357 Depth=4
	s_and_not1_saveexec_b32 s13, s63
	s_cbranch_execz .LBB6_2477
; %bb.2472:                             ;   in Loop: Header=BB6_357 Depth=4
	s_mov_b32 s63, exec_lo
                                        ; implicit-def: $vgpr100
	v_cmpx_ne_u64_e32 0, v[4:5]
	s_xor_b32 s63, exec_lo, s63
; %bb.2473:                             ;   in Loop: Header=BB6_357 Depth=4
	v_or_b32_e32 v100, 0x7f, v7
                                        ; implicit-def: $vgpr6
; %bb.2474:                             ;   in Loop: Header=BB6_357 Depth=4
	s_and_not1_saveexec_b32 s63, s63
; %bb.2475:                             ;   in Loop: Header=BB6_357 Depth=4
	v_cmp_lt_i32_e32 vcc_lo, -1, v6
	v_mov_b32_e32 v4, 0x7c
	s_delay_alu instid0(VALU_DEP_1)
	v_cndmask_b32_e32 v100, 0xfc, v4, vcc_lo
; %bb.2476:                             ;   in Loop: Header=BB6_357 Depth=4
	s_or_b32 exec_lo, exec_lo, s63
.LBB6_2477:                             ;   in Loop: Header=BB6_357 Depth=4
	s_delay_alu instid0(SALU_CYCLE_1) | instskip(SKIP_3) | instid1(VALU_DEP_2)
	s_or_b32 exec_lo, exec_lo, s13
	v_lshrrev_b16 v4, 8, v20
	v_dual_mov_b32 v6, 0 :: v_dual_mov_b32 v7, 0
	s_mov_b32 s63, exec_lo
	v_cmpx_ne_u16_e32 0, v4
	s_cbranch_execz .LBB6_2487
; %bb.2478:                             ;   in Loop: Header=BB6_357 Depth=4
	v_bfrev_b32_e32 v7, 1
	s_mov_b32 s72, exec_lo
	v_cmpx_ne_u16_e32 0x80, v4
	s_cbranch_execz .LBB6_2486
; %bb.2479:                             ;   in Loop: Header=BB6_357 Depth=4
	v_and_b32_e32 v101, 0xffff, v4
	s_delay_alu instid0(VALU_DEP_1) | instskip(SKIP_1) | instid1(VALU_DEP_2)
	v_and_b32_e32 v7, 0x7c, v101
	v_and_b32_e32 v5, 3, v101
	v_cmp_ne_u32_e32 vcc_lo, 0x7c, v7
                                        ; implicit-def: $vgpr7
	s_and_saveexec_b32 s13, vcc_lo
	s_delay_alu instid0(SALU_CYCLE_1)
	s_xor_b32 s13, exec_lo, s13
	s_cbranch_execz .LBB6_2483
; %bb.2480:                             ;   in Loop: Header=BB6_357 Depth=4
	v_bfe_u32 v7, v101, 2, 5
	s_mov_b32 s73, exec_lo
	s_delay_alu instid0(VALU_DEP_1)
	v_cmpx_eq_u32_e32 0, v7
	s_cbranch_execz .LBB6_2482
; %bb.2481:                             ;   in Loop: Header=BB6_357 Depth=4
	v_clz_i32_u32_e32 v5, v5
	s_delay_alu instid0(VALU_DEP_1) | instskip(SKIP_1) | instid1(VALU_DEP_2)
	v_min_u32_e32 v7, 32, v5
	v_mov_b32_e32 v5, v21
	v_subrev_nc_u32_e32 v101, 29, v7
	v_sub_nc_u32_e32 v7, 30, v7
	s_delay_alu instid0(VALU_DEP_2) | instskip(NEXT) | instid1(VALU_DEP_1)
	v_lshlrev_b64_e32 v[4:5], v101, v[4:5]
	v_and_b32_e32 v5, 3, v4
.LBB6_2482:                             ;   in Loop: Header=BB6_357 Depth=4
	s_or_b32 exec_lo, exec_lo, s73
	v_lshlrev_b32_e32 v4, 16, v20
	s_delay_alu instid0(VALU_DEP_1) | instskip(NEXT) | instid1(VALU_DEP_1)
	v_and_b32_e32 v4, 0x80000000, v4
	v_lshl_add_u32 v4, v7, 23, v4
	s_delay_alu instid0(VALU_DEP_1) | instskip(NEXT) | instid1(VALU_DEP_1)
	v_lshl_or_b32 v4, v5, 21, v4
                                        ; implicit-def: $vgpr5
	v_add_nc_u32_e32 v7, 0x38000000, v4
.LBB6_2483:                             ;   in Loop: Header=BB6_357 Depth=4
	s_and_not1_saveexec_b32 s73, s13
; %bb.2484:                             ;   in Loop: Header=BB6_357 Depth=4
	v_cmp_lt_i16_e64 s13, -1, v20
	v_mov_b32_e32 v4, 0x7f800000
	v_cmp_eq_u32_e32 vcc_lo, 0, v5
	s_delay_alu instid0(VALU_DEP_2) | instskip(NEXT) | instid1(VALU_DEP_1)
	v_cndmask_b32_e64 v4, 0xff800000, v4, s13
	v_cndmask_b32_e32 v7, 0x7f800001, v4, vcc_lo
; %bb.2485:                             ;   in Loop: Header=BB6_357 Depth=4
	s_or_b32 exec_lo, exec_lo, s73
.LBB6_2486:                             ;   in Loop: Header=BB6_357 Depth=4
	s_delay_alu instid0(SALU_CYCLE_1)
	s_or_b32 exec_lo, exec_lo, s72
.LBB6_2487:                             ;   in Loop: Header=BB6_357 Depth=4
	s_delay_alu instid0(SALU_CYCLE_1) | instskip(SKIP_2) | instid1(VALU_DEP_1)
	s_or_b32 exec_lo, exec_lo, s63
	v_lshrrev_b16 v4, 8, v9
	s_mov_b32 s63, exec_lo
	v_cmpx_ne_u16_e32 0, v4
	s_cbranch_execz .LBB6_2497
; %bb.2488:                             ;   in Loop: Header=BB6_357 Depth=4
	v_bfrev_b32_e32 v6, 1
	s_mov_b32 s72, exec_lo
	v_cmpx_ne_u16_e32 0x80, v4
	s_cbranch_execz .LBB6_2496
; %bb.2489:                             ;   in Loop: Header=BB6_357 Depth=4
	v_and_b32_e32 v20, 0xffff, v4
	s_delay_alu instid0(VALU_DEP_1) | instskip(SKIP_1) | instid1(VALU_DEP_2)
	v_and_b32_e32 v6, 0x7c, v20
	v_and_b32_e32 v5, 3, v20
	v_cmp_ne_u32_e32 vcc_lo, 0x7c, v6
                                        ; implicit-def: $vgpr6
	s_and_saveexec_b32 s13, vcc_lo
	s_delay_alu instid0(SALU_CYCLE_1)
	s_xor_b32 s13, exec_lo, s13
	s_cbranch_execz .LBB6_2493
; %bb.2490:                             ;   in Loop: Header=BB6_357 Depth=4
	v_bfe_u32 v6, v20, 2, 5
	s_mov_b32 s73, exec_lo
	s_delay_alu instid0(VALU_DEP_1)
	v_cmpx_eq_u32_e32 0, v6
	s_cbranch_execz .LBB6_2492
; %bb.2491:                             ;   in Loop: Header=BB6_357 Depth=4
	v_clz_i32_u32_e32 v5, v5
	s_delay_alu instid0(VALU_DEP_1) | instskip(SKIP_1) | instid1(VALU_DEP_2)
	v_min_u32_e32 v6, 32, v5
	v_mov_b32_e32 v5, v21
	v_subrev_nc_u32_e32 v20, 29, v6
	v_sub_nc_u32_e32 v6, 30, v6
	s_delay_alu instid0(VALU_DEP_2) | instskip(NEXT) | instid1(VALU_DEP_1)
	v_lshlrev_b64_e32 v[4:5], v20, v[4:5]
	v_and_b32_e32 v5, 3, v4
.LBB6_2492:                             ;   in Loop: Header=BB6_357 Depth=4
	s_or_b32 exec_lo, exec_lo, s73
	v_lshlrev_b32_e32 v4, 16, v9
	s_delay_alu instid0(VALU_DEP_1) | instskip(NEXT) | instid1(VALU_DEP_1)
	v_and_b32_e32 v4, 0x80000000, v4
	v_lshl_add_u32 v4, v6, 23, v4
	s_delay_alu instid0(VALU_DEP_1) | instskip(NEXT) | instid1(VALU_DEP_1)
	v_lshl_or_b32 v4, v5, 21, v4
                                        ; implicit-def: $vgpr5
	v_add_nc_u32_e32 v6, 0x38000000, v4
.LBB6_2493:                             ;   in Loop: Header=BB6_357 Depth=4
	s_and_not1_saveexec_b32 s73, s13
; %bb.2494:                             ;   in Loop: Header=BB6_357 Depth=4
	v_cmp_lt_i16_e64 s13, -1, v9
	v_mov_b32_e32 v4, 0x7f800000
	v_cmp_eq_u32_e32 vcc_lo, 0, v5
	s_delay_alu instid0(VALU_DEP_2) | instskip(NEXT) | instid1(VALU_DEP_1)
	v_cndmask_b32_e64 v4, 0xff800000, v4, s13
	v_cndmask_b32_e32 v6, 0x7f800001, v4, vcc_lo
; %bb.2495:                             ;   in Loop: Header=BB6_357 Depth=4
	s_or_b32 exec_lo, exec_lo, s73
.LBB6_2496:                             ;   in Loop: Header=BB6_357 Depth=4
	s_delay_alu instid0(SALU_CYCLE_1)
	s_or_b32 exec_lo, exec_lo, s72
.LBB6_2497:                             ;   in Loop: Header=BB6_357 Depth=4
	s_delay_alu instid0(SALU_CYCLE_1) | instskip(NEXT) | instid1(VALU_DEP_1)
	s_or_b32 exec_lo, exec_lo, s63
	v_dual_mul_f32 v4, v7, v6 :: v_dual_mov_b32 v7, v21
                                        ; implicit-def: $vgpr101
	s_mov_b32 s13, exec_lo
	s_delay_alu instid0(VALU_DEP_1) | instskip(SKIP_2) | instid1(VALU_DEP_3)
	v_and_b32_e32 v6, 0x7f800000, v4
	v_and_b32_e32 v20, 0x7fffff, v4
	v_lshrrev_b32_e32 v5, 24, v4
	v_cmpx_ne_u64_e32 0x7f800000, v[6:7]
	s_xor_b32 s63, exec_lo, s13
	s_cbranch_execz .LBB6_2511
; %bb.2498:                             ;   in Loop: Header=BB6_357 Depth=4
	v_and_b32_e32 v6, 0x7fffffff, v4
	v_mov_b32_e32 v7, v21
	v_and_b32_e32 v102, 0x80, v5
                                        ; implicit-def: $vgpr101
	s_mov_b32 s13, exec_lo
	s_delay_alu instid0(VALU_DEP_2)
	v_cmpx_gt_u64_e32 0x47600001, v[6:7]
	s_xor_b32 s72, exec_lo, s13
	s_cbranch_execz .LBB6_2508
; %bb.2499:                             ;   in Loop: Header=BB6_357 Depth=4
	v_mov_b32_e32 v101, 0
	s_mov_b32 s73, exec_lo
	v_cmpx_ne_u32_e32 0, v4
	s_cbranch_execz .LBB6_2507
; %bb.2500:                             ;   in Loop: Header=BB6_357 Depth=4
	v_bfe_u32 v101, v4, 23, 8
	v_or_b32_e32 v5, 0x800000, v20
	s_delay_alu instid0(VALU_DEP_2) | instskip(SKIP_2) | instid1(VALU_DEP_2)
	v_cmp_gt_u32_e64 s13, 0x72, v101
	v_sub_nc_u32_e32 v4, 0x71, v101
	v_cmp_eq_u32_e32 vcc_lo, 0, v101
	v_cndmask_b32_e64 v4, 0, v4, s13
	s_delay_alu instid0(VALU_DEP_1) | instskip(SKIP_1) | instid1(VALU_DEP_2)
	v_cndmask_b32_e64 v103, v4, 0x70, vcc_lo
	v_cndmask_b32_e32 v4, v5, v20, vcc_lo
	v_dual_mov_b32 v5, v21 :: v_dual_add_nc_u32 v6, 21, v103
	v_add_nc_u32_e32 v20, 20, v103
	s_delay_alu instid0(VALU_DEP_2) | instskip(NEXT) | instid1(VALU_DEP_2)
	v_lshlrev_b64_e64 v[6:7], v6, -1
	v_lshlrev_b64_e64 v[112:113], v20, 1
	s_delay_alu instid0(VALU_DEP_2) | instskip(SKIP_1) | instid1(VALU_DEP_4)
	v_bfi_b32 v6, v6, 0, v4
	v_lshrrev_b64 v[4:5], v103, v[4:5]
	v_bfi_b32 v7, v7, 0, 0
	s_delay_alu instid0(VALU_DEP_1) | instskip(NEXT) | instid1(VALU_DEP_3)
	v_cmp_eq_u64_e64 s13, v[6:7], v[112:113]
	v_mov_b64_e32 v[6:7], v[4:5]
	s_and_saveexec_b32 s74, s13
; %bb.2501:                             ;   in Loop: Header=BB6_357 Depth=4
	v_bfe_u32 v6, v4, 21, 1
	v_mov_b32_e32 v7, v21
	s_delay_alu instid0(VALU_DEP_1) | instskip(NEXT) | instid1(VALU_DEP_1)
	v_add_nc_u64_e32 v[6:7], v[4:5], v[6:7]
	v_add_nc_u64_e32 v[6:7], -1, v[6:7]
; %bb.2502:                             ;   in Loop: Header=BB6_357 Depth=4
	s_or_b32 exec_lo, exec_lo, s74
	v_add_nc_u32_e32 v5, 0xffffff81, v101
	v_lshrrev_b32_e32 v7, 23, v4
	s_mov_b32 s13, exec_lo
	s_delay_alu instid0(VALU_DEP_2) | instskip(NEXT) | instid1(VALU_DEP_1)
	v_cndmask_b32_e64 v5, v5, 0xffffff82, vcc_lo
	v_add3_u32 v101, v103, v5, v7
	v_and_b32_e32 v5, 0x1fffff, v6
                                        ; implicit-def: $vgpr6
	s_delay_alu instid0(VALU_DEP_1) | instskip(NEXT) | instid1(VALU_DEP_1)
	v_dual_add_nc_u32 v7, 14, v101 :: v_dual_add_nc_u32 v20, v5, v4
                                        ; implicit-def: $vgpr4_vgpr5
	v_cmpx_ne_u32_e32 0, v7
	s_xor_b32 s13, exec_lo, s13
; %bb.2503:                             ;   in Loop: Header=BB6_357 Depth=4
	s_delay_alu instid0(VALU_DEP_2) | instskip(SKIP_1) | instid1(VALU_DEP_1)
	v_cmp_lt_u64_e32 vcc_lo, 0xffffff, v[20:21]
	v_add_nc_u32_e32 v4, 15, v101
	v_cndmask_b32_e32 v6, v7, v4, vcc_lo
	v_cndmask_b32_e64 v4, 0, 1, vcc_lo
	s_delay_alu instid0(VALU_DEP_1)
	v_lshrrev_b64 v[4:5], v4, v[20:21]
; %bb.2504:                             ;   in Loop: Header=BB6_357 Depth=4
	s_and_not1_saveexec_b32 s13, s13
; %bb.2505:                             ;   in Loop: Header=BB6_357 Depth=4
	v_mov_b64_e32 v[4:5], v[20:21]
	v_bfe_u32 v6, v20, 23, 1
; %bb.2506:                             ;   in Loop: Header=BB6_357 Depth=4
	s_or_b32 exec_lo, exec_lo, s13
	s_delay_alu instid0(VALU_DEP_2) | instskip(NEXT) | instid1(VALU_DEP_2)
	v_lshrrev_b64 v[4:5], 21, v[4:5]
	v_cmp_gt_i32_e32 vcc_lo, 32, v6
	v_min_i32_e32 v7, 31, v6
	v_cmp_eq_u32_e64 s13, 0, v6
	s_delay_alu instid0(VALU_DEP_2) | instskip(SKIP_1) | instid1(VALU_DEP_2)
	v_dual_cndmask_b32 v5, 0, v5, vcc_lo :: v_dual_lshlrev_b32 v7, 2, v7
	v_cndmask_b32_e32 v4, 3, v4, vcc_lo
	v_and_b32_e32 v7, 0xfc, v7
	s_delay_alu instid0(VALU_DEP_2) | instskip(NEXT) | instid1(VALU_DEP_2)
	v_cmp_eq_u64_e32 vcc_lo, 0, v[4:5]
	v_and_or_b32 v4, v4, 3, v7
	s_and_b32 s13, s13, vcc_lo
	s_delay_alu instid0(VALU_DEP_1) | instid1(SALU_CYCLE_1)
	v_cndmask_b32_e64 v4, v4, 0, s13
	s_delay_alu instid0(VALU_DEP_1)
	v_or_b32_e32 v101, v4, v102
.LBB6_2507:                             ;   in Loop: Header=BB6_357 Depth=4
	s_or_b32 exec_lo, exec_lo, s73
                                        ; implicit-def: $vgpr102
.LBB6_2508:                             ;   in Loop: Header=BB6_357 Depth=4
	s_and_not1_saveexec_b32 s13, s72
; %bb.2509:                             ;   in Loop: Header=BB6_357 Depth=4
	v_or_b32_e32 v101, 0x7b, v102
; %bb.2510:                             ;   in Loop: Header=BB6_357 Depth=4
	s_or_b32 exec_lo, exec_lo, s13
                                        ; implicit-def: $vgpr4
                                        ; implicit-def: $vgpr5
.LBB6_2511:                             ;   in Loop: Header=BB6_357 Depth=4
	s_and_not1_saveexec_b32 s13, s63
	s_cbranch_execz .LBB6_2517
; %bb.2512:                             ;   in Loop: Header=BB6_357 Depth=4
	s_mov_b32 s63, exec_lo
                                        ; implicit-def: $vgpr101
	v_cmpx_ne_u64_e32 0, v[20:21]
	s_xor_b32 s63, exec_lo, s63
; %bb.2513:                             ;   in Loop: Header=BB6_357 Depth=4
	v_or_b32_e32 v101, 0x7f, v5
                                        ; implicit-def: $vgpr4
; %bb.2514:                             ;   in Loop: Header=BB6_357 Depth=4
	s_and_not1_saveexec_b32 s63, s63
; %bb.2515:                             ;   in Loop: Header=BB6_357 Depth=4
	v_cmp_lt_i32_e32 vcc_lo, -1, v4
	v_mov_b32_e32 v4, 0x7c
	s_delay_alu instid0(VALU_DEP_1)
	v_cndmask_b32_e32 v101, 0xfc, v4, vcc_lo
; %bb.2516:                             ;   in Loop: Header=BB6_357 Depth=4
	s_or_b32 exec_lo, exec_lo, s63
.LBB6_2517:                             ;   in Loop: Header=BB6_357 Depth=4
	s_delay_alu instid0(SALU_CYCLE_1) | instskip(SKIP_3) | instid1(VALU_DEP_2)
	s_or_b32 exec_lo, exec_lo, s13
	v_dual_mov_b32 v5, 0 :: v_dual_lshrrev_b32 v4, 16, v1
	v_mov_b32_e32 v6, 0
	s_mov_b32 s63, exec_lo
	v_and_b32_e32 v7, 0xff, v4
	s_delay_alu instid0(VALU_DEP_1)
	v_cmpx_ne_u16_e32 0, v7
	s_cbranch_execz .LBB6_2527
; %bb.2518:                             ;   in Loop: Header=BB6_357 Depth=4
	v_bfrev_b32_e32 v6, 1
	s_mov_b32 s72, exec_lo
	v_cmpx_ne_u16_e32 0x80, v7
	s_cbranch_execz .LBB6_2526
; %bb.2519:                             ;   in Loop: Header=BB6_357 Depth=4
	v_and_b32_e32 v6, 0x7c0000, v1
	v_bfe_u32 v7, v1, 16, 2
	s_delay_alu instid0(VALU_DEP_2) | instskip(SKIP_1) | instid1(SALU_CYCLE_1)
	v_cmp_ne_u32_e32 vcc_lo, 0x7c0000, v6
                                        ; implicit-def: $vgpr6
	s_and_saveexec_b32 s13, vcc_lo
	s_xor_b32 s13, exec_lo, s13
	s_cbranch_execz .LBB6_2523
; %bb.2520:                             ;   in Loop: Header=BB6_357 Depth=4
	v_bfe_u32 v6, v1, 18, 5
	s_mov_b32 s73, exec_lo
	s_delay_alu instid0(VALU_DEP_1)
	v_cmpx_eq_u32_e32 0, v6
; %bb.2521:                             ;   in Loop: Header=BB6_357 Depth=4
	v_clz_i32_u32_e32 v6, v7
	s_delay_alu instid0(VALU_DEP_1) | instskip(NEXT) | instid1(VALU_DEP_1)
	v_min_u32_e32 v6, 32, v6
	v_subrev_nc_u32_e32 v7, 29, v6
	v_sub_nc_u32_e32 v6, 30, v6
	s_delay_alu instid0(VALU_DEP_2) | instskip(NEXT) | instid1(VALU_DEP_1)
	v_lshlrev_b64_e32 v[102:103], v7, v[4:5]
	v_and_b32_e32 v7, 3, v102
; %bb.2522:                             ;   in Loop: Header=BB6_357 Depth=4
	s_or_b32 exec_lo, exec_lo, s73
	v_lshlrev_b32_e32 v4, 24, v4
	s_delay_alu instid0(VALU_DEP_1) | instskip(NEXT) | instid1(VALU_DEP_1)
	v_and_b32_e32 v4, 0x80000000, v4
	v_lshl_add_u32 v4, v6, 23, v4
	s_delay_alu instid0(VALU_DEP_1) | instskip(NEXT) | instid1(VALU_DEP_1)
	v_lshl_or_b32 v4, v7, 21, v4
                                        ; implicit-def: $vgpr7
	v_add_nc_u32_e32 v6, 0x38000000, v4
                                        ; implicit-def: $vgpr4
.LBB6_2523:                             ;   in Loop: Header=BB6_357 Depth=4
	s_and_not1_saveexec_b32 s73, s13
; %bb.2524:                             ;   in Loop: Header=BB6_357 Depth=4
	v_bfe_i32 v4, v4, 0, 8
	v_cmp_eq_u32_e32 vcc_lo, 0, v7
	s_delay_alu instid0(VALU_DEP_2) | instskip(SKIP_1) | instid1(VALU_DEP_1)
	v_cmp_lt_i16_e64 s13, -1, v4
	v_mov_b32_e32 v4, 0x7f800000
	v_cndmask_b32_e64 v4, 0xff800000, v4, s13
	s_delay_alu instid0(VALU_DEP_1)
	v_cndmask_b32_e32 v6, 0x7f800001, v4, vcc_lo
; %bb.2525:                             ;   in Loop: Header=BB6_357 Depth=4
	s_or_b32 exec_lo, exec_lo, s73
.LBB6_2526:                             ;   in Loop: Header=BB6_357 Depth=4
	s_delay_alu instid0(SALU_CYCLE_1)
	s_or_b32 exec_lo, exec_lo, s72
.LBB6_2527:                             ;   in Loop: Header=BB6_357 Depth=4
	s_delay_alu instid0(SALU_CYCLE_1) | instskip(SKIP_2) | instid1(VALU_DEP_1)
	s_or_b32 exec_lo, exec_lo, s63
	v_lshrrev_b32_e32 v4, 16, v9
	s_mov_b32 s63, exec_lo
	v_and_b32_e32 v7, 0xff, v4
	s_delay_alu instid0(VALU_DEP_1)
	v_cmpx_ne_u16_e32 0, v7
	s_cbranch_execz .LBB6_2537
; %bb.2528:                             ;   in Loop: Header=BB6_357 Depth=4
	v_bfrev_b32_e32 v5, 1
	s_mov_b32 s72, exec_lo
	v_cmpx_ne_u16_e32 0x80, v7
	s_cbranch_execz .LBB6_2536
; %bb.2529:                             ;   in Loop: Header=BB6_357 Depth=4
	v_and_b32_e32 v5, 0x7c0000, v9
	v_bfe_u32 v7, v9, 16, 2
	s_delay_alu instid0(VALU_DEP_2) | instskip(SKIP_1) | instid1(SALU_CYCLE_1)
	v_cmp_ne_u32_e32 vcc_lo, 0x7c0000, v5
                                        ; implicit-def: $vgpr5
	s_and_saveexec_b32 s13, vcc_lo
	s_xor_b32 s13, exec_lo, s13
	s_cbranch_execz .LBB6_2533
; %bb.2530:                             ;   in Loop: Header=BB6_357 Depth=4
	v_bfe_u32 v5, v9, 18, 5
	s_mov_b32 s73, exec_lo
	s_delay_alu instid0(VALU_DEP_1)
	v_cmpx_eq_u32_e32 0, v5
; %bb.2531:                             ;   in Loop: Header=BB6_357 Depth=4
	v_clz_i32_u32_e32 v5, v7
	s_delay_alu instid0(VALU_DEP_1) | instskip(NEXT) | instid1(VALU_DEP_1)
	v_min_u32_e32 v5, 32, v5
	v_subrev_nc_u32_e32 v7, 29, v5
	s_delay_alu instid0(VALU_DEP_1) | instskip(NEXT) | instid1(VALU_DEP_1)
	v_lshlrev_b64_e32 v[102:103], v7, v[4:5]
	v_dual_sub_nc_u32 v5, 30, v5 :: v_dual_bitop2_b32 v7, 3, v102 bitop3:0x40
; %bb.2532:                             ;   in Loop: Header=BB6_357 Depth=4
	s_or_b32 exec_lo, exec_lo, s73
	v_lshlrev_b32_e32 v4, 24, v4
	s_delay_alu instid0(VALU_DEP_1) | instskip(NEXT) | instid1(VALU_DEP_1)
	v_and_b32_e32 v4, 0x80000000, v4
	v_lshl_add_u32 v4, v5, 23, v4
	s_delay_alu instid0(VALU_DEP_1) | instskip(NEXT) | instid1(VALU_DEP_1)
	v_lshl_or_b32 v4, v7, 21, v4
                                        ; implicit-def: $vgpr7
	v_add_nc_u32_e32 v5, 0x38000000, v4
                                        ; implicit-def: $vgpr4
.LBB6_2533:                             ;   in Loop: Header=BB6_357 Depth=4
	s_and_not1_saveexec_b32 s73, s13
; %bb.2534:                             ;   in Loop: Header=BB6_357 Depth=4
	v_bfe_i32 v4, v4, 0, 8
	v_cmp_eq_u32_e32 vcc_lo, 0, v7
	s_delay_alu instid0(VALU_DEP_2) | instskip(SKIP_1) | instid1(VALU_DEP_1)
	v_cmp_lt_i16_e64 s13, -1, v4
	v_mov_b32_e32 v4, 0x7f800000
	v_cndmask_b32_e64 v4, 0xff800000, v4, s13
	s_delay_alu instid0(VALU_DEP_1)
	v_cndmask_b32_e32 v5, 0x7f800001, v4, vcc_lo
; %bb.2535:                             ;   in Loop: Header=BB6_357 Depth=4
	s_or_b32 exec_lo, exec_lo, s73
.LBB6_2536:                             ;   in Loop: Header=BB6_357 Depth=4
	s_delay_alu instid0(SALU_CYCLE_1)
	s_or_b32 exec_lo, exec_lo, s72
.LBB6_2537:                             ;   in Loop: Header=BB6_357 Depth=4
	s_delay_alu instid0(SALU_CYCLE_1) | instskip(NEXT) | instid1(VALU_DEP_1)
	s_or_b32 exec_lo, exec_lo, s63
	v_dual_mul_f32 v4, v6, v5 :: v_dual_mov_b32 v7, v21
	s_delay_alu instid0(VALU_DEP_1) | instskip(SKIP_2) | instid1(VALU_DEP_3)
	v_and_b32_e32 v6, 0x7f800000, v4
	v_and_b32_e32 v20, 0x7fffff, v4
	v_lshrrev_b32_e32 v5, 24, v4
	v_cmp_ne_u64_e32 vcc_lo, 0x7f800000, v[6:7]
                                        ; implicit-def: $vgpr6
	s_and_saveexec_b32 s13, vcc_lo
	s_delay_alu instid0(SALU_CYCLE_1)
	s_xor_b32 s63, exec_lo, s13
	s_cbranch_execz .LBB6_2551
; %bb.2538:                             ;   in Loop: Header=BB6_357 Depth=4
	v_and_b32_e32 v6, 0x7fffffff, v4
	v_mov_b32_e32 v7, v21
	v_and_b32_e32 v102, 0x80, v5
	s_delay_alu instid0(VALU_DEP_2) | instskip(SKIP_1) | instid1(SALU_CYCLE_1)
	v_cmp_gt_u64_e32 vcc_lo, 0x47600001, v[6:7]
                                        ; implicit-def: $vgpr6
	s_and_saveexec_b32 s13, vcc_lo
	s_xor_b32 s72, exec_lo, s13
	s_cbranch_execz .LBB6_2548
; %bb.2539:                             ;   in Loop: Header=BB6_357 Depth=4
	v_mov_b32_e32 v6, 0
	s_mov_b32 s73, exec_lo
	v_cmpx_ne_u32_e32 0, v4
	s_cbranch_execz .LBB6_2547
; %bb.2540:                             ;   in Loop: Header=BB6_357 Depth=4
	v_bfe_u32 v103, v4, 23, 8
	v_or_b32_e32 v5, 0x800000, v20
	s_delay_alu instid0(VALU_DEP_2) | instskip(SKIP_2) | instid1(VALU_DEP_2)
	v_cmp_gt_u32_e64 s13, 0x72, v103
	v_sub_nc_u32_e32 v4, 0x71, v103
	v_cmp_eq_u32_e32 vcc_lo, 0, v103
	v_cndmask_b32_e64 v4, 0, v4, s13
	s_delay_alu instid0(VALU_DEP_1) | instskip(SKIP_1) | instid1(VALU_DEP_2)
	v_cndmask_b32_e64 v112, v4, 0x70, vcc_lo
	v_cndmask_b32_e32 v4, v5, v20, vcc_lo
	v_dual_mov_b32 v5, v21 :: v_dual_add_nc_u32 v6, 21, v112
	v_add_nc_u32_e32 v20, 20, v112
	s_delay_alu instid0(VALU_DEP_2) | instskip(NEXT) | instid1(VALU_DEP_2)
	v_lshlrev_b64_e64 v[6:7], v6, -1
	v_lshlrev_b64_e64 v[114:115], v20, 1
	s_delay_alu instid0(VALU_DEP_2) | instskip(SKIP_1) | instid1(VALU_DEP_4)
	v_bfi_b32 v6, v6, 0, v4
	v_lshrrev_b64 v[4:5], v112, v[4:5]
	v_bfi_b32 v7, v7, 0, 0
	s_delay_alu instid0(VALU_DEP_1) | instskip(NEXT) | instid1(VALU_DEP_3)
	v_cmp_eq_u64_e64 s13, v[6:7], v[114:115]
	v_mov_b64_e32 v[6:7], v[4:5]
	s_and_saveexec_b32 s74, s13
; %bb.2541:                             ;   in Loop: Header=BB6_357 Depth=4
	v_bfe_u32 v6, v4, 21, 1
	v_mov_b32_e32 v7, v21
	s_delay_alu instid0(VALU_DEP_1) | instskip(NEXT) | instid1(VALU_DEP_1)
	v_add_nc_u64_e32 v[6:7], v[4:5], v[6:7]
	v_add_nc_u64_e32 v[6:7], -1, v[6:7]
; %bb.2542:                             ;   in Loop: Header=BB6_357 Depth=4
	s_or_b32 exec_lo, exec_lo, s74
	v_add_nc_u32_e32 v5, 0xffffff81, v103
	v_lshrrev_b32_e32 v7, 23, v4
	s_mov_b32 s13, exec_lo
	s_delay_alu instid0(VALU_DEP_2) | instskip(NEXT) | instid1(VALU_DEP_1)
	v_cndmask_b32_e64 v5, v5, 0xffffff82, vcc_lo
	v_add3_u32 v103, v112, v5, v7
	v_and_b32_e32 v5, 0x1fffff, v6
                                        ; implicit-def: $vgpr6
	s_delay_alu instid0(VALU_DEP_1) | instskip(NEXT) | instid1(VALU_DEP_1)
	v_dual_add_nc_u32 v7, 14, v103 :: v_dual_add_nc_u32 v20, v5, v4
                                        ; implicit-def: $vgpr4_vgpr5
	v_cmpx_ne_u32_e32 0, v7
	s_xor_b32 s13, exec_lo, s13
; %bb.2543:                             ;   in Loop: Header=BB6_357 Depth=4
	s_delay_alu instid0(VALU_DEP_2) | instskip(SKIP_1) | instid1(VALU_DEP_1)
	v_cmp_lt_u64_e32 vcc_lo, 0xffffff, v[20:21]
	v_add_nc_u32_e32 v4, 15, v103
	v_cndmask_b32_e32 v6, v7, v4, vcc_lo
	v_cndmask_b32_e64 v4, 0, 1, vcc_lo
	s_delay_alu instid0(VALU_DEP_1)
	v_lshrrev_b64 v[4:5], v4, v[20:21]
; %bb.2544:                             ;   in Loop: Header=BB6_357 Depth=4
	s_and_not1_saveexec_b32 s13, s13
; %bb.2545:                             ;   in Loop: Header=BB6_357 Depth=4
	v_mov_b64_e32 v[4:5], v[20:21]
	v_bfe_u32 v6, v20, 23, 1
; %bb.2546:                             ;   in Loop: Header=BB6_357 Depth=4
	s_or_b32 exec_lo, exec_lo, s13
	s_delay_alu instid0(VALU_DEP_2) | instskip(NEXT) | instid1(VALU_DEP_2)
	v_lshrrev_b64 v[4:5], 21, v[4:5]
	v_cmp_gt_i32_e32 vcc_lo, 32, v6
	v_min_i32_e32 v7, 31, v6
	v_cmp_eq_u32_e64 s13, 0, v6
	s_delay_alu instid0(VALU_DEP_2) | instskip(SKIP_1) | instid1(VALU_DEP_2)
	v_dual_cndmask_b32 v5, 0, v5, vcc_lo :: v_dual_lshlrev_b32 v7, 2, v7
	v_cndmask_b32_e32 v4, 3, v4, vcc_lo
	v_and_b32_e32 v7, 0xfc, v7
	s_delay_alu instid0(VALU_DEP_2) | instskip(NEXT) | instid1(VALU_DEP_2)
	v_cmp_eq_u64_e32 vcc_lo, 0, v[4:5]
	v_and_or_b32 v4, v4, 3, v7
	s_and_b32 s13, s13, vcc_lo
	s_delay_alu instid0(VALU_DEP_1) | instid1(SALU_CYCLE_1)
	v_cndmask_b32_e64 v4, v4, 0, s13
	s_delay_alu instid0(VALU_DEP_1)
	v_or_b32_e32 v6, v4, v102
.LBB6_2547:                             ;   in Loop: Header=BB6_357 Depth=4
	s_or_b32 exec_lo, exec_lo, s73
                                        ; implicit-def: $vgpr102
.LBB6_2548:                             ;   in Loop: Header=BB6_357 Depth=4
	s_and_not1_saveexec_b32 s13, s72
; %bb.2549:                             ;   in Loop: Header=BB6_357 Depth=4
	v_or_b32_e32 v6, 0x7b, v102
; %bb.2550:                             ;   in Loop: Header=BB6_357 Depth=4
	s_or_b32 exec_lo, exec_lo, s13
                                        ; implicit-def: $vgpr4
                                        ; implicit-def: $vgpr5
.LBB6_2551:                             ;   in Loop: Header=BB6_357 Depth=4
	s_and_not1_saveexec_b32 s13, s63
	s_cbranch_execz .LBB6_2557
; %bb.2552:                             ;   in Loop: Header=BB6_357 Depth=4
	s_mov_b32 s63, exec_lo
                                        ; implicit-def: $vgpr6
	v_cmpx_ne_u64_e32 0, v[20:21]
	s_xor_b32 s63, exec_lo, s63
; %bb.2553:                             ;   in Loop: Header=BB6_357 Depth=4
	v_or_b32_e32 v6, 0x7f, v5
                                        ; implicit-def: $vgpr4
; %bb.2554:                             ;   in Loop: Header=BB6_357 Depth=4
	s_and_not1_saveexec_b32 s63, s63
; %bb.2555:                             ;   in Loop: Header=BB6_357 Depth=4
	v_cmp_lt_i32_e32 vcc_lo, -1, v4
	v_mov_b32_e32 v4, 0x7c
	s_delay_alu instid0(VALU_DEP_1)
	v_cndmask_b32_e32 v6, 0xfc, v4, vcc_lo
; %bb.2556:                             ;   in Loop: Header=BB6_357 Depth=4
	s_or_b32 exec_lo, exec_lo, s63
.LBB6_2557:                             ;   in Loop: Header=BB6_357 Depth=4
	s_delay_alu instid0(SALU_CYCLE_1)
	s_or_b32 exec_lo, exec_lo, s13
	v_dual_mov_b32 v5, 0 :: v_dual_mov_b32 v7, 0
	s_mov_b32 s63, exec_lo
	v_cmpx_lt_u64_e64 s[22:23], v[0:1]
	s_cbranch_execz .LBB6_2567
; %bb.2558:                             ;   in Loop: Header=BB6_357 Depth=4
	v_lshrrev_b32_e32 v4, 24, v1
	v_bfrev_b32_e32 v7, 1
	s_mov_b32 s72, exec_lo
	s_delay_alu instid0(VALU_DEP_2)
	v_cmpx_ne_u32_e32 0x80, v4
	s_cbranch_execz .LBB6_2566
; %bb.2559:                             ;   in Loop: Header=BB6_357 Depth=4
	v_and_b32_e32 v7, 0x7c000000, v1
	v_bfe_u32 v20, v1, 24, 2
	s_delay_alu instid0(VALU_DEP_2) | instskip(SKIP_1) | instid1(SALU_CYCLE_1)
	v_cmp_ne_u32_e32 vcc_lo, 0x7c000000, v7
                                        ; implicit-def: $vgpr7
	s_and_saveexec_b32 s13, vcc_lo
	s_xor_b32 s13, exec_lo, s13
	s_cbranch_execz .LBB6_2563
; %bb.2560:                             ;   in Loop: Header=BB6_357 Depth=4
	v_bfe_u32 v7, v1, 26, 5
	s_mov_b32 s73, exec_lo
	s_delay_alu instid0(VALU_DEP_1)
	v_cmpx_eq_u32_e32 0, v7
; %bb.2561:                             ;   in Loop: Header=BB6_357 Depth=4
	v_clz_i32_u32_e32 v7, v20
	s_delay_alu instid0(VALU_DEP_1) | instskip(NEXT) | instid1(VALU_DEP_1)
	v_min_u32_e32 v7, 32, v7
	v_subrev_nc_u32_e32 v20, 29, v7
	s_delay_alu instid0(VALU_DEP_1) | instskip(NEXT) | instid1(VALU_DEP_1)
	v_lshlrev_b64_e32 v[102:103], v20, v[4:5]
	v_dual_sub_nc_u32 v7, 30, v7 :: v_dual_bitop2_b32 v20, 3, v102 bitop3:0x40
; %bb.2562:                             ;   in Loop: Header=BB6_357 Depth=4
	s_or_b32 exec_lo, exec_lo, s73
	v_and_b32_e32 v4, 0x80000000, v1
	s_delay_alu instid0(VALU_DEP_1) | instskip(NEXT) | instid1(VALU_DEP_1)
	v_lshl_add_u32 v4, v7, 23, v4
	v_lshl_or_b32 v4, v20, 21, v4
                                        ; implicit-def: $vgpr20
	s_delay_alu instid0(VALU_DEP_1)
	v_add_nc_u32_e32 v7, 0x38000000, v4
.LBB6_2563:                             ;   in Loop: Header=BB6_357 Depth=4
	s_and_not1_saveexec_b32 s73, s13
; %bb.2564:                             ;   in Loop: Header=BB6_357 Depth=4
	v_cmp_lt_i64_e64 s13, -1, v[0:1]
	v_mov_b32_e32 v0, 0x7f800000
	v_cmp_eq_u32_e32 vcc_lo, 0, v20
	s_delay_alu instid0(VALU_DEP_2) | instskip(NEXT) | instid1(VALU_DEP_1)
	v_cndmask_b32_e64 v0, 0xff800000, v0, s13
	v_cndmask_b32_e32 v7, 0x7f800001, v0, vcc_lo
; %bb.2565:                             ;   in Loop: Header=BB6_357 Depth=4
	s_or_b32 exec_lo, exec_lo, s73
.LBB6_2566:                             ;   in Loop: Header=BB6_357 Depth=4
	s_delay_alu instid0(SALU_CYCLE_1)
	s_or_b32 exec_lo, exec_lo, s72
.LBB6_2567:                             ;   in Loop: Header=BB6_357 Depth=4
	s_delay_alu instid0(SALU_CYCLE_1) | instskip(NEXT) | instid1(SALU_CYCLE_1)
	s_or_b32 exec_lo, exec_lo, s63
	s_mov_b32 s63, exec_lo
	v_cmpx_lt_u64_e64 s[22:23], v[8:9]
	s_cbranch_execz .LBB6_2577
; %bb.2568:                             ;   in Loop: Header=BB6_357 Depth=4
	v_lshrrev_b32_e32 v0, 24, v9
	v_bfrev_b32_e32 v5, 1
	s_mov_b32 s72, exec_lo
	s_delay_alu instid0(VALU_DEP_2)
	v_cmpx_ne_u32_e32 0x80, v0
	s_cbranch_execz .LBB6_2576
; %bb.2569:                             ;   in Loop: Header=BB6_357 Depth=4
	v_and_b32_e32 v4, 0x7c000000, v9
	v_bfe_u32 v1, v9, 24, 2
	s_mov_b32 s13, exec_lo
                                        ; implicit-def: $vgpr5
	s_delay_alu instid0(VALU_DEP_2)
	v_cmpx_ne_u32_e32 0x7c000000, v4
	s_xor_b32 s13, exec_lo, s13
	s_cbranch_execz .LBB6_2573
; %bb.2570:                             ;   in Loop: Header=BB6_357 Depth=4
	v_bfe_u32 v4, v9, 26, 5
	s_mov_b32 s73, exec_lo
	s_delay_alu instid0(VALU_DEP_1)
	v_cmpx_eq_u32_e32 0, v4
; %bb.2571:                             ;   in Loop: Header=BB6_357 Depth=4
	v_clz_i32_u32_e32 v1, v1
	s_delay_alu instid0(VALU_DEP_1) | instskip(NEXT) | instid1(VALU_DEP_1)
	v_min_u32_e32 v4, 32, v1
	v_subrev_nc_u32_e32 v1, 29, v4
	v_sub_nc_u32_e32 v4, 30, v4
	s_delay_alu instid0(VALU_DEP_2) | instskip(NEXT) | instid1(VALU_DEP_1)
	v_lshlrev_b64_e32 v[0:1], v1, v[0:1]
	v_and_b32_e32 v1, 3, v0
; %bb.2572:                             ;   in Loop: Header=BB6_357 Depth=4
	s_or_b32 exec_lo, exec_lo, s73
	v_and_b32_e32 v0, 0x80000000, v9
	s_delay_alu instid0(VALU_DEP_1) | instskip(NEXT) | instid1(VALU_DEP_1)
	v_lshl_add_u32 v0, v4, 23, v0
	v_lshl_or_b32 v0, v1, 21, v0
                                        ; implicit-def: $vgpr1
	s_delay_alu instid0(VALU_DEP_1)
	v_add_nc_u32_e32 v5, 0x38000000, v0
.LBB6_2573:                             ;   in Loop: Header=BB6_357 Depth=4
	s_and_not1_saveexec_b32 s73, s13
; %bb.2574:                             ;   in Loop: Header=BB6_357 Depth=4
	v_cmp_lt_i64_e64 s13, -1, v[8:9]
	v_mov_b32_e32 v0, 0x7f800000
	v_cmp_eq_u32_e32 vcc_lo, 0, v1
	s_delay_alu instid0(VALU_DEP_2) | instskip(NEXT) | instid1(VALU_DEP_1)
	v_cndmask_b32_e64 v0, 0xff800000, v0, s13
	v_cndmask_b32_e32 v5, 0x7f800001, v0, vcc_lo
; %bb.2575:                             ;   in Loop: Header=BB6_357 Depth=4
	s_or_b32 exec_lo, exec_lo, s73
.LBB6_2576:                             ;   in Loop: Header=BB6_357 Depth=4
	s_delay_alu instid0(SALU_CYCLE_1)
	s_or_b32 exec_lo, exec_lo, s72
.LBB6_2577:                             ;   in Loop: Header=BB6_357 Depth=4
	s_delay_alu instid0(SALU_CYCLE_1) | instskip(NEXT) | instid1(VALU_DEP_1)
	s_or_b32 exec_lo, exec_lo, s63
	v_dual_mul_f32 v0, v7, v5 :: v_dual_mov_b32 v5, v21
                                        ; implicit-def: $vgpr7
	s_mov_b32 s13, exec_lo
	s_delay_alu instid0(VALU_DEP_1) | instskip(SKIP_2) | instid1(VALU_DEP_3)
	v_and_b32_e32 v4, 0x7f800000, v0
	v_and_b32_e32 v20, 0x7fffff, v0
	v_lshrrev_b32_e32 v1, 24, v0
	v_cmpx_ne_u64_e32 0x7f800000, v[4:5]
	s_xor_b32 s63, exec_lo, s13
	s_cbranch_execz .LBB6_2591
; %bb.2578:                             ;   in Loop: Header=BB6_357 Depth=4
	v_and_b32_e32 v4, 0x7fffffff, v0
	v_mov_b32_e32 v5, v21
	v_and_b32_e32 v8, 0x80, v1
                                        ; implicit-def: $vgpr7
	s_mov_b32 s13, exec_lo
	s_delay_alu instid0(VALU_DEP_2)
	v_cmpx_gt_u64_e32 0x47600001, v[4:5]
	s_xor_b32 s72, exec_lo, s13
	s_cbranch_execz .LBB6_2588
; %bb.2579:                             ;   in Loop: Header=BB6_357 Depth=4
	v_mov_b32_e32 v7, 0
	s_mov_b32 s73, exec_lo
	v_cmpx_ne_u32_e32 0, v0
	s_cbranch_execz .LBB6_2587
; %bb.2580:                             ;   in Loop: Header=BB6_357 Depth=4
	v_bfe_u32 v7, v0, 23, 8
	v_or_b32_e32 v1, 0x800000, v20
	s_delay_alu instid0(VALU_DEP_2) | instskip(SKIP_2) | instid1(VALU_DEP_2)
	v_cmp_gt_u32_e64 s13, 0x72, v7
	v_sub_nc_u32_e32 v0, 0x71, v7
	v_cmp_eq_u32_e32 vcc_lo, 0, v7
	v_cndmask_b32_e64 v0, 0, v0, s13
	s_delay_alu instid0(VALU_DEP_1) | instskip(SKIP_1) | instid1(VALU_DEP_2)
	v_cndmask_b32_e64 v9, v0, 0x70, vcc_lo
	v_cndmask_b32_e32 v0, v1, v20, vcc_lo
	v_dual_mov_b32 v1, v21 :: v_dual_add_nc_u32 v4, 21, v9
	v_add_nc_u32_e32 v20, 20, v9
	s_delay_alu instid0(VALU_DEP_2) | instskip(NEXT) | instid1(VALU_DEP_2)
	v_lshlrev_b64_e64 v[4:5], v4, -1
	v_lshlrev_b64_e64 v[102:103], v20, 1
	s_delay_alu instid0(VALU_DEP_2) | instskip(SKIP_1) | instid1(VALU_DEP_4)
	v_bfi_b32 v4, v4, 0, v0
	v_lshrrev_b64 v[0:1], v9, v[0:1]
	v_bfi_b32 v5, v5, 0, 0
	s_delay_alu instid0(VALU_DEP_1) | instskip(NEXT) | instid1(VALU_DEP_3)
	v_cmp_eq_u64_e64 s13, v[4:5], v[102:103]
	v_mov_b64_e32 v[4:5], v[0:1]
	s_and_saveexec_b32 s74, s13
; %bb.2581:                             ;   in Loop: Header=BB6_357 Depth=4
	v_bfe_u32 v4, v0, 21, 1
	v_mov_b32_e32 v5, v21
	s_delay_alu instid0(VALU_DEP_1) | instskip(NEXT) | instid1(VALU_DEP_1)
	v_add_nc_u64_e32 v[4:5], v[0:1], v[4:5]
	v_add_nc_u64_e32 v[4:5], -1, v[4:5]
; %bb.2582:                             ;   in Loop: Header=BB6_357 Depth=4
	s_or_b32 exec_lo, exec_lo, s74
	v_add_nc_u32_e32 v1, 0xffffff81, v7
	v_lshrrev_b32_e32 v5, 23, v0
	s_mov_b32 s13, exec_lo
	s_delay_alu instid0(VALU_DEP_2) | instskip(NEXT) | instid1(VALU_DEP_1)
	v_cndmask_b32_e64 v1, v1, 0xffffff82, vcc_lo
	v_add3_u32 v7, v9, v1, v5
	v_and_b32_e32 v1, 0x1fffff, v4
                                        ; implicit-def: $vgpr4
	s_delay_alu instid0(VALU_DEP_1) | instskip(NEXT) | instid1(VALU_DEP_1)
	v_dual_add_nc_u32 v5, 14, v7 :: v_dual_add_nc_u32 v20, v1, v0
                                        ; implicit-def: $vgpr0_vgpr1
	v_cmpx_ne_u32_e32 0, v5
	s_xor_b32 s13, exec_lo, s13
; %bb.2583:                             ;   in Loop: Header=BB6_357 Depth=4
	s_delay_alu instid0(VALU_DEP_2) | instskip(SKIP_1) | instid1(VALU_DEP_1)
	v_cmp_lt_u64_e32 vcc_lo, 0xffffff, v[20:21]
	v_add_nc_u32_e32 v0, 15, v7
	v_cndmask_b32_e32 v4, v5, v0, vcc_lo
	v_cndmask_b32_e64 v0, 0, 1, vcc_lo
	s_delay_alu instid0(VALU_DEP_1)
	v_lshrrev_b64 v[0:1], v0, v[20:21]
; %bb.2584:                             ;   in Loop: Header=BB6_357 Depth=4
	s_and_not1_saveexec_b32 s13, s13
; %bb.2585:                             ;   in Loop: Header=BB6_357 Depth=4
	v_mov_b64_e32 v[0:1], v[20:21]
	v_bfe_u32 v4, v20, 23, 1
; %bb.2586:                             ;   in Loop: Header=BB6_357 Depth=4
	s_or_b32 exec_lo, exec_lo, s13
	s_delay_alu instid0(VALU_DEP_2) | instskip(NEXT) | instid1(VALU_DEP_2)
	v_lshrrev_b64 v[0:1], 21, v[0:1]
	v_cmp_gt_i32_e32 vcc_lo, 32, v4
	v_min_i32_e32 v5, 31, v4
	v_cmp_eq_u32_e64 s13, 0, v4
	s_delay_alu instid0(VALU_DEP_4) | instskip(NEXT) | instid1(VALU_DEP_3)
	v_cndmask_b32_e32 v1, 0, v1, vcc_lo
	v_dual_cndmask_b32 v0, 3, v0 :: v_dual_lshlrev_b32 v5, 2, v5
	s_delay_alu instid0(VALU_DEP_1) | instskip(NEXT) | instid1(VALU_DEP_2)
	v_and_b32_e32 v5, 0xfc, v5
	v_cmp_eq_u64_e32 vcc_lo, 0, v[0:1]
	s_delay_alu instid0(VALU_DEP_2)
	v_and_or_b32 v0, v0, 3, v5
	s_and_b32 s13, s13, vcc_lo
	s_delay_alu instid0(VALU_DEP_1) | instid1(SALU_CYCLE_1)
	v_cndmask_b32_e64 v0, v0, 0, s13
	s_delay_alu instid0(VALU_DEP_1)
	v_or_b32_e32 v7, v0, v8
.LBB6_2587:                             ;   in Loop: Header=BB6_357 Depth=4
	s_or_b32 exec_lo, exec_lo, s73
                                        ; implicit-def: $vgpr8
.LBB6_2588:                             ;   in Loop: Header=BB6_357 Depth=4
	s_and_not1_saveexec_b32 s13, s72
; %bb.2589:                             ;   in Loop: Header=BB6_357 Depth=4
	v_or_b32_e32 v7, 0x7b, v8
; %bb.2590:                             ;   in Loop: Header=BB6_357 Depth=4
	s_or_b32 exec_lo, exec_lo, s13
                                        ; implicit-def: $vgpr0
                                        ; implicit-def: $vgpr1
.LBB6_2591:                             ;   in Loop: Header=BB6_357 Depth=4
	s_and_not1_saveexec_b32 s13, s63
	s_cbranch_execz .LBB6_2597
; %bb.2592:                             ;   in Loop: Header=BB6_357 Depth=4
	s_mov_b32 s63, exec_lo
                                        ; implicit-def: $vgpr7
	v_cmpx_ne_u64_e32 0, v[20:21]
	s_xor_b32 s63, exec_lo, s63
; %bb.2593:                             ;   in Loop: Header=BB6_357 Depth=4
	v_or_b32_e32 v7, 0x7f, v1
                                        ; implicit-def: $vgpr0
; %bb.2594:                             ;   in Loop: Header=BB6_357 Depth=4
	s_and_not1_saveexec_b32 s63, s63
; %bb.2595:                             ;   in Loop: Header=BB6_357 Depth=4
	v_cmp_lt_i32_e32 vcc_lo, -1, v0
	v_mov_b32_e32 v0, 0x7c
	s_delay_alu instid0(VALU_DEP_1)
	v_cndmask_b32_e32 v7, 0xfc, v0, vcc_lo
; %bb.2596:                             ;   in Loop: Header=BB6_357 Depth=4
	s_or_b32 exec_lo, exec_lo, s63
.LBB6_2597:                             ;   in Loop: Header=BB6_357 Depth=4
	s_delay_alu instid0(SALU_CYCLE_1) | instskip(SKIP_2) | instid1(VALU_DEP_2)
	s_or_b32 exec_lo, exec_lo, s13
	v_and_b32_e32 v1, 0xff, v2
	v_mov_b32_e32 v0, 0
	v_cmp_ne_u16_e32 vcc_lo, 0, v1
	v_mov_b32_e32 v1, 0
	s_and_saveexec_b32 s63, vcc_lo
	s_cbranch_execz .LBB6_2607
; %bb.2598:                             ;   in Loop: Header=BB6_357 Depth=4
	v_bfe_i32 v5, v2, 0, 8
	v_bfrev_b32_e32 v1, 1
	s_mov_b32 s72, exec_lo
	s_delay_alu instid0(VALU_DEP_2)
	v_cmpx_ne_u16_e32 0xff80, v5
	s_cbranch_execz .LBB6_2606
; %bb.2599:                             ;   in Loop: Header=BB6_357 Depth=4
	v_and_b32_e32 v1, 0x7c, v2
	v_and_b32_e32 v4, 3, v2
	s_delay_alu instid0(VALU_DEP_2) | instskip(SKIP_1) | instid1(SALU_CYCLE_1)
	v_cmp_ne_u32_e32 vcc_lo, 0x7c, v1
                                        ; implicit-def: $vgpr1
	s_and_saveexec_b32 s13, vcc_lo
	s_xor_b32 s13, exec_lo, s13
	s_cbranch_execz .LBB6_2603
; %bb.2600:                             ;   in Loop: Header=BB6_357 Depth=4
	v_bfe_u32 v1, v2, 2, 5
	s_mov_b32 s73, exec_lo
	s_delay_alu instid0(VALU_DEP_1)
	v_cmpx_eq_u32_e32 0, v1
; %bb.2601:                             ;   in Loop: Header=BB6_357 Depth=4
	v_clz_i32_u32_e32 v1, v4
	s_delay_alu instid0(VALU_DEP_1) | instskip(NEXT) | instid1(VALU_DEP_1)
	v_min_u32_e32 v1, 32, v1
	v_subrev_nc_u32_e32 v4, 29, v1
	s_delay_alu instid0(VALU_DEP_1) | instskip(NEXT) | instid1(VALU_DEP_1)
	v_lshlrev_b64_e32 v[4:5], v4, v[2:3]
	v_dual_sub_nc_u32 v1, 30, v1 :: v_dual_bitop2_b32 v4, 3, v4 bitop3:0x40
; %bb.2602:                             ;   in Loop: Header=BB6_357 Depth=4
	s_or_b32 exec_lo, exec_lo, s73
	v_lshlrev_b32_e32 v5, 24, v2
	s_delay_alu instid0(VALU_DEP_1) | instskip(NEXT) | instid1(VALU_DEP_1)
	v_and_b32_e32 v5, 0x80000000, v5
	v_lshl_add_u32 v1, v1, 23, v5
                                        ; implicit-def: $vgpr5
	s_delay_alu instid0(VALU_DEP_1) | instskip(NEXT) | instid1(VALU_DEP_1)
	v_lshl_or_b32 v1, v4, 21, v1
                                        ; implicit-def: $vgpr4
	v_add_nc_u32_e32 v1, 0x38000000, v1
.LBB6_2603:                             ;   in Loop: Header=BB6_357 Depth=4
	s_and_not1_saveexec_b32 s73, s13
; %bb.2604:                             ;   in Loop: Header=BB6_357 Depth=4
	v_cmp_lt_i16_e64 s13, -1, v5
	v_mov_b32_e32 v1, 0x7f800000
	v_cmp_eq_u32_e32 vcc_lo, 0, v4
	s_delay_alu instid0(VALU_DEP_2) | instskip(NEXT) | instid1(VALU_DEP_1)
	v_cndmask_b32_e64 v1, 0xff800000, v1, s13
	v_cndmask_b32_e32 v1, 0x7f800001, v1, vcc_lo
; %bb.2605:                             ;   in Loop: Header=BB6_357 Depth=4
	s_or_b32 exec_lo, exec_lo, s73
.LBB6_2606:                             ;   in Loop: Header=BB6_357 Depth=4
	s_delay_alu instid0(SALU_CYCLE_1)
	s_or_b32 exec_lo, exec_lo, s72
.LBB6_2607:                             ;   in Loop: Header=BB6_357 Depth=4
	s_delay_alu instid0(SALU_CYCLE_1) | instskip(SKIP_2) | instid1(VALU_DEP_1)
	s_or_b32 exec_lo, exec_lo, s63
	v_and_b32_e32 v4, 0xff, v10
	s_mov_b32 s63, exec_lo
	v_cmpx_ne_u16_e32 0, v4
	s_cbranch_execz .LBB6_2617
; %bb.2608:                             ;   in Loop: Header=BB6_357 Depth=4
	v_bfe_i32 v5, v10, 0, 8
	v_bfrev_b32_e32 v0, 1
	s_mov_b32 s72, exec_lo
	s_delay_alu instid0(VALU_DEP_2)
	v_cmpx_ne_u16_e32 0xff80, v5
	s_cbranch_execz .LBB6_2616
; %bb.2609:                             ;   in Loop: Header=BB6_357 Depth=4
	v_and_b32_e32 v0, 0x7c, v10
	v_and_b32_e32 v4, 3, v10
	s_delay_alu instid0(VALU_DEP_2) | instskip(SKIP_1) | instid1(SALU_CYCLE_1)
	v_cmp_ne_u32_e32 vcc_lo, 0x7c, v0
                                        ; implicit-def: $vgpr0
	s_and_saveexec_b32 s13, vcc_lo
	s_xor_b32 s13, exec_lo, s13
	s_cbranch_execz .LBB6_2613
; %bb.2610:                             ;   in Loop: Header=BB6_357 Depth=4
	v_bfe_u32 v0, v10, 2, 5
	s_mov_b32 s73, exec_lo
	s_delay_alu instid0(VALU_DEP_1)
	v_cmpx_eq_u32_e32 0, v0
; %bb.2611:                             ;   in Loop: Header=BB6_357 Depth=4
	v_clz_i32_u32_e32 v0, v4
	s_delay_alu instid0(VALU_DEP_1) | instskip(NEXT) | instid1(VALU_DEP_1)
	v_min_u32_e32 v0, 32, v0
	v_subrev_nc_u32_e32 v4, 29, v0
	v_sub_nc_u32_e32 v0, 30, v0
	s_delay_alu instid0(VALU_DEP_2) | instskip(NEXT) | instid1(VALU_DEP_1)
	v_lshlrev_b64_e32 v[4:5], v4, v[10:11]
	v_and_b32_e32 v4, 3, v4
; %bb.2612:                             ;   in Loop: Header=BB6_357 Depth=4
	s_or_b32 exec_lo, exec_lo, s73
	v_lshlrev_b32_e32 v5, 24, v10
	s_delay_alu instid0(VALU_DEP_1) | instskip(NEXT) | instid1(VALU_DEP_1)
	v_and_b32_e32 v5, 0x80000000, v5
	v_lshl_add_u32 v0, v0, 23, v5
                                        ; implicit-def: $vgpr5
	s_delay_alu instid0(VALU_DEP_1) | instskip(NEXT) | instid1(VALU_DEP_1)
	v_lshl_or_b32 v0, v4, 21, v0
                                        ; implicit-def: $vgpr4
	v_add_nc_u32_e32 v0, 0x38000000, v0
.LBB6_2613:                             ;   in Loop: Header=BB6_357 Depth=4
	s_and_not1_saveexec_b32 s73, s13
; %bb.2614:                             ;   in Loop: Header=BB6_357 Depth=4
	v_cmp_lt_i16_e64 s13, -1, v5
	v_mov_b32_e32 v0, 0x7f800000
	v_cmp_eq_u32_e32 vcc_lo, 0, v4
	s_delay_alu instid0(VALU_DEP_2) | instskip(NEXT) | instid1(VALU_DEP_1)
	v_cndmask_b32_e64 v0, 0xff800000, v0, s13
	v_cndmask_b32_e32 v0, 0x7f800001, v0, vcc_lo
; %bb.2615:                             ;   in Loop: Header=BB6_357 Depth=4
	s_or_b32 exec_lo, exec_lo, s73
.LBB6_2616:                             ;   in Loop: Header=BB6_357 Depth=4
	s_delay_alu instid0(SALU_CYCLE_1)
	s_or_b32 exec_lo, exec_lo, s72
.LBB6_2617:                             ;   in Loop: Header=BB6_357 Depth=4
	s_delay_alu instid0(SALU_CYCLE_1) | instskip(NEXT) | instid1(VALU_DEP_1)
	s_or_b32 exec_lo, exec_lo, s63
	v_mul_f32_e32 v0, v1, v0
	v_mov_b32_e32 v5, v21
                                        ; implicit-def: $vgpr8
	s_mov_b32 s13, exec_lo
	s_delay_alu instid0(VALU_DEP_2) | instskip(SKIP_2) | instid1(VALU_DEP_3)
	v_and_b32_e32 v4, 0x7f800000, v0
	v_and_b32_e32 v20, 0x7fffff, v0
	v_lshrrev_b32_e32 v1, 24, v0
	v_cmpx_ne_u64_e32 0x7f800000, v[4:5]
	s_xor_b32 s63, exec_lo, s13
	s_cbranch_execz .LBB6_2631
; %bb.2618:                             ;   in Loop: Header=BB6_357 Depth=4
	v_and_b32_e32 v4, 0x7fffffff, v0
	v_mov_b32_e32 v5, v21
	v_and_b32_e32 v9, 0x80, v1
                                        ; implicit-def: $vgpr8
	s_mov_b32 s13, exec_lo
	s_delay_alu instid0(VALU_DEP_2)
	v_cmpx_gt_u64_e32 0x47600001, v[4:5]
	s_xor_b32 s72, exec_lo, s13
	s_cbranch_execz .LBB6_2628
; %bb.2619:                             ;   in Loop: Header=BB6_357 Depth=4
	v_mov_b32_e32 v8, 0
	s_mov_b32 s73, exec_lo
	v_cmpx_ne_u32_e32 0, v0
	s_cbranch_execz .LBB6_2627
; %bb.2620:                             ;   in Loop: Header=BB6_357 Depth=4
	v_bfe_u32 v8, v0, 23, 8
	v_or_b32_e32 v1, 0x800000, v20
	s_delay_alu instid0(VALU_DEP_2) | instskip(SKIP_2) | instid1(VALU_DEP_2)
	v_cmp_gt_u32_e64 s13, 0x72, v8
	v_sub_nc_u32_e32 v0, 0x71, v8
	v_cmp_eq_u32_e32 vcc_lo, 0, v8
	v_cndmask_b32_e64 v0, 0, v0, s13
	s_delay_alu instid0(VALU_DEP_1) | instskip(SKIP_1) | instid1(VALU_DEP_2)
	v_cndmask_b32_e64 v102, v0, 0x70, vcc_lo
	v_cndmask_b32_e32 v0, v1, v20, vcc_lo
	v_dual_mov_b32 v1, v21 :: v_dual_add_nc_u32 v4, 21, v102
	v_add_nc_u32_e32 v20, 20, v102
	s_delay_alu instid0(VALU_DEP_2) | instskip(NEXT) | instid1(VALU_DEP_2)
	v_lshlrev_b64_e64 v[4:5], v4, -1
	v_lshlrev_b64_e64 v[112:113], v20, 1
	s_delay_alu instid0(VALU_DEP_2) | instskip(SKIP_1) | instid1(VALU_DEP_4)
	v_bfi_b32 v4, v4, 0, v0
	v_lshrrev_b64 v[0:1], v102, v[0:1]
	v_bfi_b32 v5, v5, 0, 0
	s_delay_alu instid0(VALU_DEP_1) | instskip(NEXT) | instid1(VALU_DEP_3)
	v_cmp_eq_u64_e64 s13, v[4:5], v[112:113]
	v_mov_b64_e32 v[4:5], v[0:1]
	s_and_saveexec_b32 s74, s13
; %bb.2621:                             ;   in Loop: Header=BB6_357 Depth=4
	v_bfe_u32 v4, v0, 21, 1
	v_mov_b32_e32 v5, v21
	s_delay_alu instid0(VALU_DEP_1) | instskip(NEXT) | instid1(VALU_DEP_1)
	v_add_nc_u64_e32 v[4:5], v[0:1], v[4:5]
	v_add_nc_u64_e32 v[4:5], -1, v[4:5]
; %bb.2622:                             ;   in Loop: Header=BB6_357 Depth=4
	s_or_b32 exec_lo, exec_lo, s74
	v_add_nc_u32_e32 v1, 0xffffff81, v8
	v_lshrrev_b32_e32 v5, 23, v0
	s_mov_b32 s13, exec_lo
	s_delay_alu instid0(VALU_DEP_2) | instskip(NEXT) | instid1(VALU_DEP_1)
	v_cndmask_b32_e64 v1, v1, 0xffffff82, vcc_lo
	v_add3_u32 v8, v102, v1, v5
	v_and_b32_e32 v1, 0x1fffff, v4
                                        ; implicit-def: $vgpr4
	s_delay_alu instid0(VALU_DEP_2) | instskip(NEXT) | instid1(VALU_DEP_2)
	v_add_nc_u32_e32 v5, 14, v8
	v_add_nc_u32_e32 v20, v1, v0
                                        ; implicit-def: $vgpr0_vgpr1
	s_delay_alu instid0(VALU_DEP_2)
	v_cmpx_ne_u32_e32 0, v5
	s_xor_b32 s13, exec_lo, s13
; %bb.2623:                             ;   in Loop: Header=BB6_357 Depth=4
	s_delay_alu instid0(VALU_DEP_2) | instskip(SKIP_1) | instid1(VALU_DEP_1)
	v_cmp_lt_u64_e32 vcc_lo, 0xffffff, v[20:21]
	v_add_nc_u32_e32 v0, 15, v8
	v_cndmask_b32_e32 v4, v5, v0, vcc_lo
	v_cndmask_b32_e64 v0, 0, 1, vcc_lo
	s_delay_alu instid0(VALU_DEP_1)
	v_lshrrev_b64 v[0:1], v0, v[20:21]
; %bb.2624:                             ;   in Loop: Header=BB6_357 Depth=4
	s_and_not1_saveexec_b32 s13, s13
; %bb.2625:                             ;   in Loop: Header=BB6_357 Depth=4
	v_mov_b64_e32 v[0:1], v[20:21]
	v_bfe_u32 v4, v20, 23, 1
; %bb.2626:                             ;   in Loop: Header=BB6_357 Depth=4
	s_or_b32 exec_lo, exec_lo, s13
	s_delay_alu instid0(VALU_DEP_2) | instskip(NEXT) | instid1(VALU_DEP_2)
	v_lshrrev_b64 v[0:1], 21, v[0:1]
	v_cmp_gt_i32_e32 vcc_lo, 32, v4
	v_min_i32_e32 v5, 31, v4
	v_cmp_eq_u32_e64 s13, 0, v4
	s_delay_alu instid0(VALU_DEP_4) | instskip(NEXT) | instid1(VALU_DEP_3)
	v_cndmask_b32_e32 v1, 0, v1, vcc_lo
	v_dual_cndmask_b32 v0, 3, v0 :: v_dual_lshlrev_b32 v5, 2, v5
	s_delay_alu instid0(VALU_DEP_1) | instskip(NEXT) | instid1(VALU_DEP_2)
	v_and_b32_e32 v5, 0xfc, v5
	v_cmp_eq_u64_e32 vcc_lo, 0, v[0:1]
	s_delay_alu instid0(VALU_DEP_2)
	v_and_or_b32 v0, v0, 3, v5
	s_and_b32 s13, s13, vcc_lo
	s_delay_alu instid0(VALU_DEP_1) | instid1(SALU_CYCLE_1)
	v_cndmask_b32_e64 v0, v0, 0, s13
	s_delay_alu instid0(VALU_DEP_1)
	v_or_b32_e32 v8, v0, v9
.LBB6_2627:                             ;   in Loop: Header=BB6_357 Depth=4
	s_or_b32 exec_lo, exec_lo, s73
                                        ; implicit-def: $vgpr9
.LBB6_2628:                             ;   in Loop: Header=BB6_357 Depth=4
	s_and_not1_saveexec_b32 s13, s72
; %bb.2629:                             ;   in Loop: Header=BB6_357 Depth=4
	v_or_b32_e32 v8, 0x7b, v9
; %bb.2630:                             ;   in Loop: Header=BB6_357 Depth=4
	s_or_b32 exec_lo, exec_lo, s13
                                        ; implicit-def: $vgpr0
                                        ; implicit-def: $vgpr1
.LBB6_2631:                             ;   in Loop: Header=BB6_357 Depth=4
	s_and_not1_saveexec_b32 s13, s63
	s_cbranch_execz .LBB6_2637
; %bb.2632:                             ;   in Loop: Header=BB6_357 Depth=4
	s_mov_b32 s63, exec_lo
                                        ; implicit-def: $vgpr8
	v_cmpx_ne_u64_e32 0, v[20:21]
	s_xor_b32 s63, exec_lo, s63
; %bb.2633:                             ;   in Loop: Header=BB6_357 Depth=4
	v_or_b32_e32 v8, 0x7f, v1
                                        ; implicit-def: $vgpr0
; %bb.2634:                             ;   in Loop: Header=BB6_357 Depth=4
	s_and_not1_saveexec_b32 s63, s63
; %bb.2635:                             ;   in Loop: Header=BB6_357 Depth=4
	v_cmp_lt_i32_e32 vcc_lo, -1, v0
	v_mov_b32_e32 v0, 0x7c
	s_delay_alu instid0(VALU_DEP_1)
	v_cndmask_b32_e32 v8, 0xfc, v0, vcc_lo
; %bb.2636:                             ;   in Loop: Header=BB6_357 Depth=4
	s_or_b32 exec_lo, exec_lo, s63
.LBB6_2637:                             ;   in Loop: Header=BB6_357 Depth=4
	s_delay_alu instid0(SALU_CYCLE_1) | instskip(SKIP_3) | instid1(VALU_DEP_2)
	s_or_b32 exec_lo, exec_lo, s13
	v_lshrrev_b16 v0, 8, v2
	v_dual_mov_b32 v4, 0 :: v_dual_mov_b32 v5, 0
	s_mov_b32 s63, exec_lo
	v_cmpx_ne_u16_e32 0, v0
	s_cbranch_execz .LBB6_2647
; %bb.2638:                             ;   in Loop: Header=BB6_357 Depth=4
	v_bfrev_b32_e32 v5, 1
	s_mov_b32 s72, exec_lo
	v_cmpx_ne_u16_e32 0x80, v0
	s_cbranch_execz .LBB6_2646
; %bb.2639:                             ;   in Loop: Header=BB6_357 Depth=4
	v_and_b32_e32 v9, 0xffff, v0
	s_delay_alu instid0(VALU_DEP_1) | instskip(SKIP_1) | instid1(VALU_DEP_2)
	v_and_b32_e32 v5, 0x7c, v9
	v_and_b32_e32 v1, 3, v9
	v_cmp_ne_u32_e32 vcc_lo, 0x7c, v5
                                        ; implicit-def: $vgpr5
	s_and_saveexec_b32 s13, vcc_lo
	s_delay_alu instid0(SALU_CYCLE_1)
	s_xor_b32 s13, exec_lo, s13
	s_cbranch_execz .LBB6_2643
; %bb.2640:                             ;   in Loop: Header=BB6_357 Depth=4
	v_bfe_u32 v5, v9, 2, 5
	s_mov_b32 s73, exec_lo
	s_delay_alu instid0(VALU_DEP_1)
	v_cmpx_eq_u32_e32 0, v5
	s_cbranch_execz .LBB6_2642
; %bb.2641:                             ;   in Loop: Header=BB6_357 Depth=4
	v_clz_i32_u32_e32 v1, v1
	s_delay_alu instid0(VALU_DEP_1) | instskip(SKIP_1) | instid1(VALU_DEP_2)
	v_min_u32_e32 v5, 32, v1
	v_mov_b32_e32 v1, v21
	v_subrev_nc_u32_e32 v9, 29, v5
	v_sub_nc_u32_e32 v5, 30, v5
	s_delay_alu instid0(VALU_DEP_2) | instskip(NEXT) | instid1(VALU_DEP_1)
	v_lshlrev_b64_e32 v[0:1], v9, v[0:1]
	v_and_b32_e32 v1, 3, v0
.LBB6_2642:                             ;   in Loop: Header=BB6_357 Depth=4
	s_or_b32 exec_lo, exec_lo, s73
	v_lshlrev_b32_e32 v0, 16, v2
	s_delay_alu instid0(VALU_DEP_1) | instskip(NEXT) | instid1(VALU_DEP_1)
	v_and_b32_e32 v0, 0x80000000, v0
	v_lshl_add_u32 v0, v5, 23, v0
	s_delay_alu instid0(VALU_DEP_1) | instskip(NEXT) | instid1(VALU_DEP_1)
	v_lshl_or_b32 v0, v1, 21, v0
                                        ; implicit-def: $vgpr1
	v_add_nc_u32_e32 v5, 0x38000000, v0
.LBB6_2643:                             ;   in Loop: Header=BB6_357 Depth=4
	s_and_not1_saveexec_b32 s73, s13
; %bb.2644:                             ;   in Loop: Header=BB6_357 Depth=4
	v_cmp_lt_i16_e64 s13, -1, v2
	v_mov_b32_e32 v0, 0x7f800000
	v_cmp_eq_u32_e32 vcc_lo, 0, v1
	s_delay_alu instid0(VALU_DEP_2) | instskip(NEXT) | instid1(VALU_DEP_1)
	v_cndmask_b32_e64 v0, 0xff800000, v0, s13
	v_cndmask_b32_e32 v5, 0x7f800001, v0, vcc_lo
; %bb.2645:                             ;   in Loop: Header=BB6_357 Depth=4
	s_or_b32 exec_lo, exec_lo, s73
.LBB6_2646:                             ;   in Loop: Header=BB6_357 Depth=4
	s_delay_alu instid0(SALU_CYCLE_1)
	s_or_b32 exec_lo, exec_lo, s72
.LBB6_2647:                             ;   in Loop: Header=BB6_357 Depth=4
	s_delay_alu instid0(SALU_CYCLE_1) | instskip(SKIP_2) | instid1(VALU_DEP_1)
	s_or_b32 exec_lo, exec_lo, s63
	v_lshrrev_b16 v0, 8, v10
	s_mov_b32 s63, exec_lo
	v_cmpx_ne_u16_e32 0, v0
	s_cbranch_execz .LBB6_2657
; %bb.2648:                             ;   in Loop: Header=BB6_357 Depth=4
	v_bfrev_b32_e32 v4, 1
	s_mov_b32 s72, exec_lo
	v_cmpx_ne_u16_e32 0x80, v0
	s_cbranch_execz .LBB6_2656
; %bb.2649:                             ;   in Loop: Header=BB6_357 Depth=4
	v_and_b32_e32 v9, 0xffff, v0
	s_delay_alu instid0(VALU_DEP_1) | instskip(SKIP_1) | instid1(VALU_DEP_2)
	v_and_b32_e32 v4, 0x7c, v9
	v_and_b32_e32 v1, 3, v9
	v_cmp_ne_u32_e32 vcc_lo, 0x7c, v4
                                        ; implicit-def: $vgpr4
	s_and_saveexec_b32 s13, vcc_lo
	s_delay_alu instid0(SALU_CYCLE_1)
	s_xor_b32 s13, exec_lo, s13
	s_cbranch_execz .LBB6_2653
; %bb.2650:                             ;   in Loop: Header=BB6_357 Depth=4
	v_bfe_u32 v4, v9, 2, 5
	s_mov_b32 s73, exec_lo
	s_delay_alu instid0(VALU_DEP_1)
	v_cmpx_eq_u32_e32 0, v4
	s_cbranch_execz .LBB6_2652
; %bb.2651:                             ;   in Loop: Header=BB6_357 Depth=4
	v_clz_i32_u32_e32 v1, v1
	s_delay_alu instid0(VALU_DEP_1) | instskip(SKIP_1) | instid1(VALU_DEP_2)
	v_min_u32_e32 v4, 32, v1
	v_mov_b32_e32 v1, v21
	v_subrev_nc_u32_e32 v9, 29, v4
	v_sub_nc_u32_e32 v4, 30, v4
	s_delay_alu instid0(VALU_DEP_2) | instskip(NEXT) | instid1(VALU_DEP_1)
	v_lshlrev_b64_e32 v[0:1], v9, v[0:1]
	v_and_b32_e32 v1, 3, v0
.LBB6_2652:                             ;   in Loop: Header=BB6_357 Depth=4
	s_or_b32 exec_lo, exec_lo, s73
	v_lshlrev_b32_e32 v0, 16, v10
	s_delay_alu instid0(VALU_DEP_1) | instskip(NEXT) | instid1(VALU_DEP_1)
	v_and_b32_e32 v0, 0x80000000, v0
	v_lshl_add_u32 v0, v4, 23, v0
	s_delay_alu instid0(VALU_DEP_1) | instskip(NEXT) | instid1(VALU_DEP_1)
	v_lshl_or_b32 v0, v1, 21, v0
                                        ; implicit-def: $vgpr1
	v_add_nc_u32_e32 v4, 0x38000000, v0
.LBB6_2653:                             ;   in Loop: Header=BB6_357 Depth=4
	s_and_not1_saveexec_b32 s73, s13
; %bb.2654:                             ;   in Loop: Header=BB6_357 Depth=4
	v_cmp_lt_i16_e64 s13, -1, v10
	v_mov_b32_e32 v0, 0x7f800000
	v_cmp_eq_u32_e32 vcc_lo, 0, v1
	s_delay_alu instid0(VALU_DEP_2) | instskip(NEXT) | instid1(VALU_DEP_1)
	v_cndmask_b32_e64 v0, 0xff800000, v0, s13
	v_cndmask_b32_e32 v4, 0x7f800001, v0, vcc_lo
; %bb.2655:                             ;   in Loop: Header=BB6_357 Depth=4
	s_or_b32 exec_lo, exec_lo, s73
.LBB6_2656:                             ;   in Loop: Header=BB6_357 Depth=4
	s_delay_alu instid0(SALU_CYCLE_1)
	s_or_b32 exec_lo, exec_lo, s72
.LBB6_2657:                             ;   in Loop: Header=BB6_357 Depth=4
	s_delay_alu instid0(SALU_CYCLE_1) | instskip(NEXT) | instid1(VALU_DEP_1)
	s_or_b32 exec_lo, exec_lo, s63
	v_mul_f32_e32 v0, v5, v4
	v_mov_b32_e32 v5, v21
                                        ; implicit-def: $vgpr9
	s_mov_b32 s13, exec_lo
	s_delay_alu instid0(VALU_DEP_2) | instskip(SKIP_2) | instid1(VALU_DEP_3)
	v_and_b32_e32 v4, 0x7f800000, v0
	v_and_b32_e32 v20, 0x7fffff, v0
	v_lshrrev_b32_e32 v1, 24, v0
	v_cmpx_ne_u64_e32 0x7f800000, v[4:5]
	s_xor_b32 s63, exec_lo, s13
	s_cbranch_execz .LBB6_2671
; %bb.2658:                             ;   in Loop: Header=BB6_357 Depth=4
	v_and_b32_e32 v4, 0x7fffffff, v0
	v_mov_b32_e32 v5, v21
	v_and_b32_e32 v102, 0x80, v1
                                        ; implicit-def: $vgpr9
	s_mov_b32 s13, exec_lo
	s_delay_alu instid0(VALU_DEP_2)
	v_cmpx_gt_u64_e32 0x47600001, v[4:5]
	s_xor_b32 s72, exec_lo, s13
	s_cbranch_execz .LBB6_2668
; %bb.2659:                             ;   in Loop: Header=BB6_357 Depth=4
	v_mov_b32_e32 v9, 0
	s_mov_b32 s73, exec_lo
	v_cmpx_ne_u32_e32 0, v0
	s_cbranch_execz .LBB6_2667
; %bb.2660:                             ;   in Loop: Header=BB6_357 Depth=4
	v_bfe_u32 v9, v0, 23, 8
	v_or_b32_e32 v1, 0x800000, v20
	s_delay_alu instid0(VALU_DEP_2) | instskip(SKIP_2) | instid1(VALU_DEP_2)
	v_cmp_gt_u32_e64 s13, 0x72, v9
	v_sub_nc_u32_e32 v0, 0x71, v9
	v_cmp_eq_u32_e32 vcc_lo, 0, v9
	v_cndmask_b32_e64 v0, 0, v0, s13
	s_delay_alu instid0(VALU_DEP_1) | instskip(SKIP_1) | instid1(VALU_DEP_2)
	v_cndmask_b32_e64 v103, v0, 0x70, vcc_lo
	v_cndmask_b32_e32 v0, v1, v20, vcc_lo
	v_dual_mov_b32 v1, v21 :: v_dual_add_nc_u32 v4, 21, v103
	v_add_nc_u32_e32 v20, 20, v103
	s_delay_alu instid0(VALU_DEP_2) | instskip(NEXT) | instid1(VALU_DEP_2)
	v_lshlrev_b64_e64 v[4:5], v4, -1
	v_lshlrev_b64_e64 v[112:113], v20, 1
	s_delay_alu instid0(VALU_DEP_2) | instskip(SKIP_1) | instid1(VALU_DEP_4)
	v_bfi_b32 v4, v4, 0, v0
	v_lshrrev_b64 v[0:1], v103, v[0:1]
	v_bfi_b32 v5, v5, 0, 0
	s_delay_alu instid0(VALU_DEP_1) | instskip(NEXT) | instid1(VALU_DEP_3)
	v_cmp_eq_u64_e64 s13, v[4:5], v[112:113]
	v_mov_b64_e32 v[4:5], v[0:1]
	s_and_saveexec_b32 s74, s13
; %bb.2661:                             ;   in Loop: Header=BB6_357 Depth=4
	v_bfe_u32 v4, v0, 21, 1
	v_mov_b32_e32 v5, v21
	s_delay_alu instid0(VALU_DEP_1) | instskip(NEXT) | instid1(VALU_DEP_1)
	v_add_nc_u64_e32 v[4:5], v[0:1], v[4:5]
	v_add_nc_u64_e32 v[4:5], -1, v[4:5]
; %bb.2662:                             ;   in Loop: Header=BB6_357 Depth=4
	s_or_b32 exec_lo, exec_lo, s74
	v_add_nc_u32_e32 v1, 0xffffff81, v9
	v_lshrrev_b32_e32 v5, 23, v0
	s_mov_b32 s13, exec_lo
	s_delay_alu instid0(VALU_DEP_2) | instskip(NEXT) | instid1(VALU_DEP_1)
	v_cndmask_b32_e64 v1, v1, 0xffffff82, vcc_lo
	v_add3_u32 v9, v103, v1, v5
	v_and_b32_e32 v1, 0x1fffff, v4
                                        ; implicit-def: $vgpr4
	s_delay_alu instid0(VALU_DEP_1) | instskip(NEXT) | instid1(VALU_DEP_1)
	v_dual_add_nc_u32 v5, 14, v9 :: v_dual_add_nc_u32 v20, v1, v0
                                        ; implicit-def: $vgpr0_vgpr1
	v_cmpx_ne_u32_e32 0, v5
	s_xor_b32 s13, exec_lo, s13
; %bb.2663:                             ;   in Loop: Header=BB6_357 Depth=4
	s_delay_alu instid0(VALU_DEP_2) | instskip(SKIP_1) | instid1(VALU_DEP_1)
	v_cmp_lt_u64_e32 vcc_lo, 0xffffff, v[20:21]
	v_add_nc_u32_e32 v0, 15, v9
	v_cndmask_b32_e32 v4, v5, v0, vcc_lo
	v_cndmask_b32_e64 v0, 0, 1, vcc_lo
	s_delay_alu instid0(VALU_DEP_1)
	v_lshrrev_b64 v[0:1], v0, v[20:21]
; %bb.2664:                             ;   in Loop: Header=BB6_357 Depth=4
	s_and_not1_saveexec_b32 s13, s13
; %bb.2665:                             ;   in Loop: Header=BB6_357 Depth=4
	v_mov_b64_e32 v[0:1], v[20:21]
	v_bfe_u32 v4, v20, 23, 1
; %bb.2666:                             ;   in Loop: Header=BB6_357 Depth=4
	s_or_b32 exec_lo, exec_lo, s13
	s_delay_alu instid0(VALU_DEP_2) | instskip(NEXT) | instid1(VALU_DEP_2)
	v_lshrrev_b64 v[0:1], 21, v[0:1]
	v_cmp_gt_i32_e32 vcc_lo, 32, v4
	v_min_i32_e32 v5, 31, v4
	v_cmp_eq_u32_e64 s13, 0, v4
	s_delay_alu instid0(VALU_DEP_4) | instskip(NEXT) | instid1(VALU_DEP_3)
	v_cndmask_b32_e32 v1, 0, v1, vcc_lo
	v_dual_cndmask_b32 v0, 3, v0 :: v_dual_lshlrev_b32 v5, 2, v5
	s_delay_alu instid0(VALU_DEP_1) | instskip(NEXT) | instid1(VALU_DEP_2)
	v_and_b32_e32 v5, 0xfc, v5
	v_cmp_eq_u64_e32 vcc_lo, 0, v[0:1]
	s_delay_alu instid0(VALU_DEP_2)
	v_and_or_b32 v0, v0, 3, v5
	s_and_b32 s13, s13, vcc_lo
	s_delay_alu instid0(VALU_DEP_1) | instid1(SALU_CYCLE_1)
	v_cndmask_b32_e64 v0, v0, 0, s13
	s_delay_alu instid0(VALU_DEP_1)
	v_or_b32_e32 v9, v0, v102
.LBB6_2667:                             ;   in Loop: Header=BB6_357 Depth=4
	s_or_b32 exec_lo, exec_lo, s73
                                        ; implicit-def: $vgpr102
.LBB6_2668:                             ;   in Loop: Header=BB6_357 Depth=4
	s_and_not1_saveexec_b32 s13, s72
; %bb.2669:                             ;   in Loop: Header=BB6_357 Depth=4
	v_or_b32_e32 v9, 0x7b, v102
; %bb.2670:                             ;   in Loop: Header=BB6_357 Depth=4
	s_or_b32 exec_lo, exec_lo, s13
                                        ; implicit-def: $vgpr0
                                        ; implicit-def: $vgpr1
.LBB6_2671:                             ;   in Loop: Header=BB6_357 Depth=4
	s_and_not1_saveexec_b32 s13, s63
	s_cbranch_execz .LBB6_2677
; %bb.2672:                             ;   in Loop: Header=BB6_357 Depth=4
	s_mov_b32 s63, exec_lo
                                        ; implicit-def: $vgpr9
	v_cmpx_ne_u64_e32 0, v[20:21]
	s_xor_b32 s63, exec_lo, s63
; %bb.2673:                             ;   in Loop: Header=BB6_357 Depth=4
	v_or_b32_e32 v9, 0x7f, v1
                                        ; implicit-def: $vgpr0
; %bb.2674:                             ;   in Loop: Header=BB6_357 Depth=4
	s_and_not1_saveexec_b32 s63, s63
; %bb.2675:                             ;   in Loop: Header=BB6_357 Depth=4
	v_cmp_lt_i32_e32 vcc_lo, -1, v0
	v_mov_b32_e32 v0, 0x7c
	s_delay_alu instid0(VALU_DEP_1)
	v_cndmask_b32_e32 v9, 0xfc, v0, vcc_lo
; %bb.2676:                             ;   in Loop: Header=BB6_357 Depth=4
	s_or_b32 exec_lo, exec_lo, s63
.LBB6_2677:                             ;   in Loop: Header=BB6_357 Depth=4
	s_delay_alu instid0(SALU_CYCLE_1) | instskip(SKIP_3) | instid1(VALU_DEP_2)
	s_or_b32 exec_lo, exec_lo, s13
	v_dual_mov_b32 v1, 0 :: v_dual_lshrrev_b32 v0, 16, v2
	v_mov_b32_e32 v4, 0
	s_mov_b32 s63, exec_lo
	v_and_b32_e32 v5, 0xff, v0
	s_delay_alu instid0(VALU_DEP_1)
	v_cmpx_ne_u16_e32 0, v5
	s_cbranch_execz .LBB6_2687
; %bb.2678:                             ;   in Loop: Header=BB6_357 Depth=4
	v_bfrev_b32_e32 v4, 1
	s_mov_b32 s72, exec_lo
	v_cmpx_ne_u16_e32 0x80, v5
	s_cbranch_execz .LBB6_2686
; %bb.2679:                             ;   in Loop: Header=BB6_357 Depth=4
	v_and_b32_e32 v4, 0x7c0000, v2
	v_bfe_u32 v5, v2, 16, 2
	s_delay_alu instid0(VALU_DEP_2) | instskip(SKIP_1) | instid1(SALU_CYCLE_1)
	v_cmp_ne_u32_e32 vcc_lo, 0x7c0000, v4
                                        ; implicit-def: $vgpr4
	s_and_saveexec_b32 s13, vcc_lo
	s_xor_b32 s13, exec_lo, s13
	s_cbranch_execz .LBB6_2683
; %bb.2680:                             ;   in Loop: Header=BB6_357 Depth=4
	v_bfe_u32 v4, v2, 18, 5
	s_mov_b32 s73, exec_lo
	s_delay_alu instid0(VALU_DEP_1)
	v_cmpx_eq_u32_e32 0, v4
; %bb.2681:                             ;   in Loop: Header=BB6_357 Depth=4
	v_clz_i32_u32_e32 v4, v5
	s_delay_alu instid0(VALU_DEP_1) | instskip(NEXT) | instid1(VALU_DEP_1)
	v_min_u32_e32 v4, 32, v4
	v_subrev_nc_u32_e32 v5, 29, v4
	s_delay_alu instid0(VALU_DEP_1) | instskip(NEXT) | instid1(VALU_DEP_1)
	v_lshlrev_b64_e32 v[102:103], v5, v[0:1]
	v_dual_sub_nc_u32 v4, 30, v4 :: v_dual_bitop2_b32 v5, 3, v102 bitop3:0x40
; %bb.2682:                             ;   in Loop: Header=BB6_357 Depth=4
	s_or_b32 exec_lo, exec_lo, s73
	v_lshlrev_b32_e32 v0, 24, v0
	s_delay_alu instid0(VALU_DEP_1) | instskip(NEXT) | instid1(VALU_DEP_1)
	v_and_b32_e32 v0, 0x80000000, v0
	v_lshl_add_u32 v0, v4, 23, v0
	s_delay_alu instid0(VALU_DEP_1) | instskip(NEXT) | instid1(VALU_DEP_1)
	v_lshl_or_b32 v0, v5, 21, v0
                                        ; implicit-def: $vgpr5
	v_add_nc_u32_e32 v4, 0x38000000, v0
                                        ; implicit-def: $vgpr0
.LBB6_2683:                             ;   in Loop: Header=BB6_357 Depth=4
	s_and_not1_saveexec_b32 s73, s13
; %bb.2684:                             ;   in Loop: Header=BB6_357 Depth=4
	v_bfe_i32 v0, v0, 0, 8
	v_cmp_eq_u32_e32 vcc_lo, 0, v5
	s_delay_alu instid0(VALU_DEP_2) | instskip(SKIP_1) | instid1(VALU_DEP_1)
	v_cmp_lt_i16_e64 s13, -1, v0
	v_mov_b32_e32 v0, 0x7f800000
	v_cndmask_b32_e64 v0, 0xff800000, v0, s13
	s_delay_alu instid0(VALU_DEP_1)
	v_cndmask_b32_e32 v4, 0x7f800001, v0, vcc_lo
; %bb.2685:                             ;   in Loop: Header=BB6_357 Depth=4
	s_or_b32 exec_lo, exec_lo, s73
.LBB6_2686:                             ;   in Loop: Header=BB6_357 Depth=4
	s_delay_alu instid0(SALU_CYCLE_1)
	s_or_b32 exec_lo, exec_lo, s72
.LBB6_2687:                             ;   in Loop: Header=BB6_357 Depth=4
	s_delay_alu instid0(SALU_CYCLE_1) | instskip(SKIP_2) | instid1(VALU_DEP_1)
	s_or_b32 exec_lo, exec_lo, s63
	v_lshrrev_b32_e32 v0, 16, v10
	s_mov_b32 s63, exec_lo
	v_and_b32_e32 v5, 0xff, v0
	s_delay_alu instid0(VALU_DEP_1)
	v_cmpx_ne_u16_e32 0, v5
	s_cbranch_execz .LBB6_2697
; %bb.2688:                             ;   in Loop: Header=BB6_357 Depth=4
	v_bfrev_b32_e32 v1, 1
	s_mov_b32 s72, exec_lo
	v_cmpx_ne_u16_e32 0x80, v5
	s_cbranch_execz .LBB6_2696
; %bb.2689:                             ;   in Loop: Header=BB6_357 Depth=4
	v_and_b32_e32 v1, 0x7c0000, v10
	v_bfe_u32 v5, v10, 16, 2
	s_delay_alu instid0(VALU_DEP_2) | instskip(SKIP_1) | instid1(SALU_CYCLE_1)
	v_cmp_ne_u32_e32 vcc_lo, 0x7c0000, v1
                                        ; implicit-def: $vgpr1
	s_and_saveexec_b32 s13, vcc_lo
	s_xor_b32 s13, exec_lo, s13
	s_cbranch_execz .LBB6_2693
; %bb.2690:                             ;   in Loop: Header=BB6_357 Depth=4
	v_bfe_u32 v1, v10, 18, 5
	s_mov_b32 s73, exec_lo
	s_delay_alu instid0(VALU_DEP_1)
	v_cmpx_eq_u32_e32 0, v1
; %bb.2691:                             ;   in Loop: Header=BB6_357 Depth=4
	v_clz_i32_u32_e32 v1, v5
	s_delay_alu instid0(VALU_DEP_1) | instskip(NEXT) | instid1(VALU_DEP_1)
	v_min_u32_e32 v1, 32, v1
	v_subrev_nc_u32_e32 v5, 29, v1
	s_delay_alu instid0(VALU_DEP_1) | instskip(NEXT) | instid1(VALU_DEP_1)
	v_lshlrev_b64_e32 v[102:103], v5, v[0:1]
	v_dual_sub_nc_u32 v1, 30, v1 :: v_dual_bitop2_b32 v5, 3, v102 bitop3:0x40
; %bb.2692:                             ;   in Loop: Header=BB6_357 Depth=4
	s_or_b32 exec_lo, exec_lo, s73
	v_lshlrev_b32_e32 v0, 24, v0
	s_delay_alu instid0(VALU_DEP_1) | instskip(NEXT) | instid1(VALU_DEP_1)
	v_and_b32_e32 v0, 0x80000000, v0
	v_lshl_add_u32 v0, v1, 23, v0
	s_delay_alu instid0(VALU_DEP_1) | instskip(NEXT) | instid1(VALU_DEP_1)
	v_lshl_or_b32 v0, v5, 21, v0
                                        ; implicit-def: $vgpr5
	v_add_nc_u32_e32 v1, 0x38000000, v0
                                        ; implicit-def: $vgpr0
.LBB6_2693:                             ;   in Loop: Header=BB6_357 Depth=4
	s_and_not1_saveexec_b32 s73, s13
; %bb.2694:                             ;   in Loop: Header=BB6_357 Depth=4
	v_bfe_i32 v0, v0, 0, 8
	v_cmp_eq_u32_e32 vcc_lo, 0, v5
	s_delay_alu instid0(VALU_DEP_2) | instskip(SKIP_1) | instid1(VALU_DEP_1)
	v_cmp_lt_i16_e64 s13, -1, v0
	v_mov_b32_e32 v0, 0x7f800000
	v_cndmask_b32_e64 v0, 0xff800000, v0, s13
	s_delay_alu instid0(VALU_DEP_1)
	v_cndmask_b32_e32 v1, 0x7f800001, v0, vcc_lo
; %bb.2695:                             ;   in Loop: Header=BB6_357 Depth=4
	s_or_b32 exec_lo, exec_lo, s73
.LBB6_2696:                             ;   in Loop: Header=BB6_357 Depth=4
	s_delay_alu instid0(SALU_CYCLE_1)
	s_or_b32 exec_lo, exec_lo, s72
.LBB6_2697:                             ;   in Loop: Header=BB6_357 Depth=4
	s_delay_alu instid0(SALU_CYCLE_1) | instskip(NEXT) | instid1(VALU_DEP_1)
	s_or_b32 exec_lo, exec_lo, s63
	v_dual_mul_f32 v0, v4, v1 :: v_dual_mov_b32 v5, v21
                                        ; implicit-def: $vgpr102
	s_mov_b32 s13, exec_lo
	s_delay_alu instid0(VALU_DEP_1) | instskip(SKIP_2) | instid1(VALU_DEP_3)
	v_and_b32_e32 v4, 0x7f800000, v0
	v_and_b32_e32 v20, 0x7fffff, v0
	v_lshrrev_b32_e32 v1, 24, v0
	v_cmpx_ne_u64_e32 0x7f800000, v[4:5]
	s_xor_b32 s63, exec_lo, s13
	s_cbranch_execz .LBB6_2711
; %bb.2698:                             ;   in Loop: Header=BB6_357 Depth=4
	v_and_b32_e32 v4, 0x7fffffff, v0
	v_mov_b32_e32 v5, v21
	v_and_b32_e32 v103, 0x80, v1
                                        ; implicit-def: $vgpr102
	s_mov_b32 s13, exec_lo
	s_delay_alu instid0(VALU_DEP_2)
	v_cmpx_gt_u64_e32 0x47600001, v[4:5]
	s_xor_b32 s72, exec_lo, s13
	s_cbranch_execz .LBB6_2708
; %bb.2699:                             ;   in Loop: Header=BB6_357 Depth=4
	v_mov_b32_e32 v102, 0
	s_mov_b32 s73, exec_lo
	v_cmpx_ne_u32_e32 0, v0
	s_cbranch_execz .LBB6_2707
; %bb.2700:                             ;   in Loop: Header=BB6_357 Depth=4
	v_bfe_u32 v102, v0, 23, 8
	v_or_b32_e32 v1, 0x800000, v20
	s_delay_alu instid0(VALU_DEP_2) | instskip(SKIP_2) | instid1(VALU_DEP_2)
	v_cmp_gt_u32_e64 s13, 0x72, v102
	v_sub_nc_u32_e32 v0, 0x71, v102
	v_cmp_eq_u32_e32 vcc_lo, 0, v102
	v_cndmask_b32_e64 v0, 0, v0, s13
	s_delay_alu instid0(VALU_DEP_1) | instskip(SKIP_1) | instid1(VALU_DEP_2)
	v_cndmask_b32_e64 v112, v0, 0x70, vcc_lo
	v_cndmask_b32_e32 v0, v1, v20, vcc_lo
	v_dual_mov_b32 v1, v21 :: v_dual_add_nc_u32 v4, 21, v112
	v_add_nc_u32_e32 v20, 20, v112
	s_delay_alu instid0(VALU_DEP_2) | instskip(NEXT) | instid1(VALU_DEP_2)
	v_lshlrev_b64_e64 v[4:5], v4, -1
	v_lshlrev_b64_e64 v[114:115], v20, 1
	s_delay_alu instid0(VALU_DEP_2) | instskip(SKIP_1) | instid1(VALU_DEP_4)
	v_bfi_b32 v4, v4, 0, v0
	v_lshrrev_b64 v[0:1], v112, v[0:1]
	v_bfi_b32 v5, v5, 0, 0
	s_delay_alu instid0(VALU_DEP_1) | instskip(NEXT) | instid1(VALU_DEP_3)
	v_cmp_eq_u64_e64 s13, v[4:5], v[114:115]
	v_mov_b64_e32 v[4:5], v[0:1]
	s_and_saveexec_b32 s74, s13
; %bb.2701:                             ;   in Loop: Header=BB6_357 Depth=4
	v_bfe_u32 v4, v0, 21, 1
	v_mov_b32_e32 v5, v21
	s_delay_alu instid0(VALU_DEP_1) | instskip(NEXT) | instid1(VALU_DEP_1)
	v_add_nc_u64_e32 v[4:5], v[0:1], v[4:5]
	v_add_nc_u64_e32 v[4:5], -1, v[4:5]
; %bb.2702:                             ;   in Loop: Header=BB6_357 Depth=4
	s_or_b32 exec_lo, exec_lo, s74
	v_add_nc_u32_e32 v1, 0xffffff81, v102
	v_lshrrev_b32_e32 v5, 23, v0
	s_mov_b32 s13, exec_lo
	s_delay_alu instid0(VALU_DEP_2) | instskip(NEXT) | instid1(VALU_DEP_1)
	v_cndmask_b32_e64 v1, v1, 0xffffff82, vcc_lo
	v_add3_u32 v102, v112, v1, v5
	v_and_b32_e32 v1, 0x1fffff, v4
                                        ; implicit-def: $vgpr4
	s_delay_alu instid0(VALU_DEP_1) | instskip(NEXT) | instid1(VALU_DEP_1)
	v_dual_add_nc_u32 v5, 14, v102 :: v_dual_add_nc_u32 v20, v1, v0
                                        ; implicit-def: $vgpr0_vgpr1
	v_cmpx_ne_u32_e32 0, v5
	s_xor_b32 s13, exec_lo, s13
; %bb.2703:                             ;   in Loop: Header=BB6_357 Depth=4
	s_delay_alu instid0(VALU_DEP_2) | instskip(SKIP_1) | instid1(VALU_DEP_1)
	v_cmp_lt_u64_e32 vcc_lo, 0xffffff, v[20:21]
	v_add_nc_u32_e32 v0, 15, v102
	v_cndmask_b32_e32 v4, v5, v0, vcc_lo
	v_cndmask_b32_e64 v0, 0, 1, vcc_lo
	s_delay_alu instid0(VALU_DEP_1)
	v_lshrrev_b64 v[0:1], v0, v[20:21]
; %bb.2704:                             ;   in Loop: Header=BB6_357 Depth=4
	s_and_not1_saveexec_b32 s13, s13
; %bb.2705:                             ;   in Loop: Header=BB6_357 Depth=4
	v_mov_b64_e32 v[0:1], v[20:21]
	v_bfe_u32 v4, v20, 23, 1
; %bb.2706:                             ;   in Loop: Header=BB6_357 Depth=4
	s_or_b32 exec_lo, exec_lo, s13
	s_delay_alu instid0(VALU_DEP_2) | instskip(NEXT) | instid1(VALU_DEP_2)
	v_lshrrev_b64 v[0:1], 21, v[0:1]
	v_cmp_gt_i32_e32 vcc_lo, 32, v4
	v_min_i32_e32 v5, 31, v4
	v_cmp_eq_u32_e64 s13, 0, v4
	s_delay_alu instid0(VALU_DEP_4) | instskip(NEXT) | instid1(VALU_DEP_3)
	v_cndmask_b32_e32 v1, 0, v1, vcc_lo
	v_dual_cndmask_b32 v0, 3, v0 :: v_dual_lshlrev_b32 v5, 2, v5
	s_delay_alu instid0(VALU_DEP_1) | instskip(NEXT) | instid1(VALU_DEP_2)
	v_and_b32_e32 v5, 0xfc, v5
	v_cmp_eq_u64_e32 vcc_lo, 0, v[0:1]
	s_delay_alu instid0(VALU_DEP_2)
	v_and_or_b32 v0, v0, 3, v5
	s_and_b32 s13, s13, vcc_lo
	s_delay_alu instid0(VALU_DEP_1) | instid1(SALU_CYCLE_1)
	v_cndmask_b32_e64 v0, v0, 0, s13
	s_delay_alu instid0(VALU_DEP_1)
	v_or_b32_e32 v102, v0, v103
.LBB6_2707:                             ;   in Loop: Header=BB6_357 Depth=4
	s_or_b32 exec_lo, exec_lo, s73
                                        ; implicit-def: $vgpr103
.LBB6_2708:                             ;   in Loop: Header=BB6_357 Depth=4
	s_and_not1_saveexec_b32 s13, s72
; %bb.2709:                             ;   in Loop: Header=BB6_357 Depth=4
	v_or_b32_e32 v102, 0x7b, v103
; %bb.2710:                             ;   in Loop: Header=BB6_357 Depth=4
	s_or_b32 exec_lo, exec_lo, s13
                                        ; implicit-def: $vgpr0
                                        ; implicit-def: $vgpr1
.LBB6_2711:                             ;   in Loop: Header=BB6_357 Depth=4
	s_and_not1_saveexec_b32 s13, s63
	s_cbranch_execz .LBB6_2717
; %bb.2712:                             ;   in Loop: Header=BB6_357 Depth=4
	s_mov_b32 s63, exec_lo
                                        ; implicit-def: $vgpr102
	v_cmpx_ne_u64_e32 0, v[20:21]
	s_xor_b32 s63, exec_lo, s63
; %bb.2713:                             ;   in Loop: Header=BB6_357 Depth=4
	v_or_b32_e32 v102, 0x7f, v1
                                        ; implicit-def: $vgpr0
; %bb.2714:                             ;   in Loop: Header=BB6_357 Depth=4
	s_and_not1_saveexec_b32 s63, s63
; %bb.2715:                             ;   in Loop: Header=BB6_357 Depth=4
	v_cmp_lt_i32_e32 vcc_lo, -1, v0
	v_mov_b32_e32 v0, 0x7c
	s_delay_alu instid0(VALU_DEP_1)
	v_cndmask_b32_e32 v102, 0xfc, v0, vcc_lo
; %bb.2716:                             ;   in Loop: Header=BB6_357 Depth=4
	s_or_b32 exec_lo, exec_lo, s63
.LBB6_2717:                             ;   in Loop: Header=BB6_357 Depth=4
	s_delay_alu instid0(SALU_CYCLE_1)
	s_or_b32 exec_lo, exec_lo, s13
	v_dual_mov_b32 v1, 0 :: v_dual_mov_b32 v4, 0
	s_mov_b32 s63, exec_lo
	v_cmpx_lt_u32_e32 0xffffff, v2
	s_cbranch_execz .LBB6_2727
; %bb.2718:                             ;   in Loop: Header=BB6_357 Depth=4
	v_lshrrev_b32_e32 v0, 24, v2
	v_bfrev_b32_e32 v4, 1
	s_mov_b32 s72, exec_lo
	s_delay_alu instid0(VALU_DEP_2)
	v_cmpx_ne_u32_e32 0x80, v0
	s_cbranch_execz .LBB6_2726
; %bb.2719:                             ;   in Loop: Header=BB6_357 Depth=4
	v_and_b32_e32 v4, 0x7c000000, v2
	v_bfe_u32 v5, v2, 24, 2
	s_delay_alu instid0(VALU_DEP_2) | instskip(SKIP_1) | instid1(SALU_CYCLE_1)
	v_cmp_ne_u32_e32 vcc_lo, 0x7c000000, v4
                                        ; implicit-def: $vgpr4
	s_and_saveexec_b32 s13, vcc_lo
	s_xor_b32 s13, exec_lo, s13
	s_cbranch_execz .LBB6_2723
; %bb.2720:                             ;   in Loop: Header=BB6_357 Depth=4
	v_bfe_u32 v4, v2, 26, 5
	s_mov_b32 s73, exec_lo
	s_delay_alu instid0(VALU_DEP_1)
	v_cmpx_eq_u32_e32 0, v4
; %bb.2721:                             ;   in Loop: Header=BB6_357 Depth=4
	v_clz_i32_u32_e32 v4, v5
	s_delay_alu instid0(VALU_DEP_1) | instskip(NEXT) | instid1(VALU_DEP_1)
	v_min_u32_e32 v4, 32, v4
	v_subrev_nc_u32_e32 v5, 29, v4
	v_sub_nc_u32_e32 v4, 30, v4
	s_delay_alu instid0(VALU_DEP_2) | instskip(NEXT) | instid1(VALU_DEP_1)
	v_lshlrev_b64_e32 v[112:113], v5, v[0:1]
	v_and_b32_e32 v5, 3, v112
; %bb.2722:                             ;   in Loop: Header=BB6_357 Depth=4
	s_or_b32 exec_lo, exec_lo, s73
	v_and_b32_e32 v0, 0x80000000, v2
	s_delay_alu instid0(VALU_DEP_1) | instskip(NEXT) | instid1(VALU_DEP_1)
	v_lshl_add_u32 v0, v4, 23, v0
	v_lshl_or_b32 v0, v5, 21, v0
                                        ; implicit-def: $vgpr5
	s_delay_alu instid0(VALU_DEP_1)
	v_add_nc_u32_e32 v4, 0x38000000, v0
.LBB6_2723:                             ;   in Loop: Header=BB6_357 Depth=4
	s_and_not1_saveexec_b32 s73, s13
; %bb.2724:                             ;   in Loop: Header=BB6_357 Depth=4
	v_cmp_lt_i32_e64 s13, -1, v2
	v_mov_b32_e32 v0, 0x7f800000
	v_cmp_eq_u32_e32 vcc_lo, 0, v5
	s_delay_alu instid0(VALU_DEP_2) | instskip(NEXT) | instid1(VALU_DEP_1)
	v_cndmask_b32_e64 v0, 0xff800000, v0, s13
	v_cndmask_b32_e32 v4, 0x7f800001, v0, vcc_lo
; %bb.2725:                             ;   in Loop: Header=BB6_357 Depth=4
	s_or_b32 exec_lo, exec_lo, s73
.LBB6_2726:                             ;   in Loop: Header=BB6_357 Depth=4
	s_delay_alu instid0(SALU_CYCLE_1)
	s_or_b32 exec_lo, exec_lo, s72
.LBB6_2727:                             ;   in Loop: Header=BB6_357 Depth=4
	s_delay_alu instid0(SALU_CYCLE_1) | instskip(NEXT) | instid1(SALU_CYCLE_1)
	s_or_b32 exec_lo, exec_lo, s63
	s_mov_b32 s63, exec_lo
	v_cmpx_lt_u32_e32 0xffffff, v10
	s_cbranch_execz .LBB6_2737
; %bb.2728:                             ;   in Loop: Header=BB6_357 Depth=4
	v_lshrrev_b32_e32 v0, 24, v10
	v_bfrev_b32_e32 v1, 1
	s_mov_b32 s72, exec_lo
	s_delay_alu instid0(VALU_DEP_2)
	v_cmpx_ne_u32_e32 0x80, v0
	s_cbranch_execz .LBB6_2736
; %bb.2729:                             ;   in Loop: Header=BB6_357 Depth=4
	v_and_b32_e32 v1, 0x7c000000, v10
	v_bfe_u32 v5, v10, 24, 2
	s_delay_alu instid0(VALU_DEP_2) | instskip(SKIP_1) | instid1(SALU_CYCLE_1)
	v_cmp_ne_u32_e32 vcc_lo, 0x7c000000, v1
                                        ; implicit-def: $vgpr1
	s_and_saveexec_b32 s13, vcc_lo
	s_xor_b32 s13, exec_lo, s13
	s_cbranch_execz .LBB6_2733
; %bb.2730:                             ;   in Loop: Header=BB6_357 Depth=4
	v_bfe_u32 v1, v10, 26, 5
	s_mov_b32 s73, exec_lo
	s_delay_alu instid0(VALU_DEP_1)
	v_cmpx_eq_u32_e32 0, v1
; %bb.2731:                             ;   in Loop: Header=BB6_357 Depth=4
	v_clz_i32_u32_e32 v1, v5
	s_delay_alu instid0(VALU_DEP_1) | instskip(NEXT) | instid1(VALU_DEP_1)
	v_min_u32_e32 v5, 32, v1
	v_subrev_nc_u32_e32 v1, 29, v5
	s_delay_alu instid0(VALU_DEP_1) | instskip(NEXT) | instid1(VALU_DEP_1)
	v_lshlrev_b64_e32 v[0:1], v1, v[0:1]
	v_dual_sub_nc_u32 v1, 30, v5 :: v_dual_bitop2_b32 v5, 3, v0 bitop3:0x40
; %bb.2732:                             ;   in Loop: Header=BB6_357 Depth=4
	s_or_b32 exec_lo, exec_lo, s73
	v_and_b32_e32 v0, 0x80000000, v10
	s_delay_alu instid0(VALU_DEP_1) | instskip(NEXT) | instid1(VALU_DEP_1)
	v_lshl_add_u32 v0, v1, 23, v0
	v_lshl_or_b32 v0, v5, 21, v0
                                        ; implicit-def: $vgpr5
	s_delay_alu instid0(VALU_DEP_1)
	v_add_nc_u32_e32 v1, 0x38000000, v0
.LBB6_2733:                             ;   in Loop: Header=BB6_357 Depth=4
	s_and_not1_saveexec_b32 s73, s13
; %bb.2734:                             ;   in Loop: Header=BB6_357 Depth=4
	v_cmp_lt_i32_e64 s13, -1, v10
	v_mov_b32_e32 v0, 0x7f800000
	v_cmp_eq_u32_e32 vcc_lo, 0, v5
	s_delay_alu instid0(VALU_DEP_2) | instskip(NEXT) | instid1(VALU_DEP_1)
	v_cndmask_b32_e64 v0, 0xff800000, v0, s13
	v_cndmask_b32_e32 v1, 0x7f800001, v0, vcc_lo
; %bb.2735:                             ;   in Loop: Header=BB6_357 Depth=4
	s_or_b32 exec_lo, exec_lo, s73
.LBB6_2736:                             ;   in Loop: Header=BB6_357 Depth=4
	s_delay_alu instid0(SALU_CYCLE_1)
	s_or_b32 exec_lo, exec_lo, s72
.LBB6_2737:                             ;   in Loop: Header=BB6_357 Depth=4
	s_delay_alu instid0(SALU_CYCLE_1) | instskip(NEXT) | instid1(VALU_DEP_1)
	s_or_b32 exec_lo, exec_lo, s63
	v_dual_mul_f32 v0, v4, v1 :: v_dual_mov_b32 v5, v21
                                        ; implicit-def: $vgpr103
	s_mov_b32 s13, exec_lo
	s_delay_alu instid0(VALU_DEP_1) | instskip(SKIP_2) | instid1(VALU_DEP_3)
	v_and_b32_e32 v4, 0x7f800000, v0
	v_and_b32_e32 v20, 0x7fffff, v0
	v_lshrrev_b32_e32 v1, 24, v0
	v_cmpx_ne_u64_e32 0x7f800000, v[4:5]
	s_xor_b32 s63, exec_lo, s13
	s_cbranch_execz .LBB6_2751
; %bb.2738:                             ;   in Loop: Header=BB6_357 Depth=4
	v_and_b32_e32 v4, 0x7fffffff, v0
	v_mov_b32_e32 v5, v21
	v_and_b32_e32 v112, 0x80, v1
                                        ; implicit-def: $vgpr103
	s_mov_b32 s13, exec_lo
	s_delay_alu instid0(VALU_DEP_2)
	v_cmpx_gt_u64_e32 0x47600001, v[4:5]
	s_xor_b32 s72, exec_lo, s13
	s_cbranch_execz .LBB6_2748
; %bb.2739:                             ;   in Loop: Header=BB6_357 Depth=4
	v_mov_b32_e32 v103, 0
	s_mov_b32 s73, exec_lo
	v_cmpx_ne_u32_e32 0, v0
	s_cbranch_execz .LBB6_2747
; %bb.2740:                             ;   in Loop: Header=BB6_357 Depth=4
	v_bfe_u32 v103, v0, 23, 8
	v_or_b32_e32 v1, 0x800000, v20
	s_delay_alu instid0(VALU_DEP_2) | instskip(SKIP_2) | instid1(VALU_DEP_2)
	v_cmp_gt_u32_e64 s13, 0x72, v103
	v_sub_nc_u32_e32 v0, 0x71, v103
	v_cmp_eq_u32_e32 vcc_lo, 0, v103
	v_cndmask_b32_e64 v0, 0, v0, s13
	s_delay_alu instid0(VALU_DEP_1) | instskip(SKIP_1) | instid1(VALU_DEP_2)
	v_cndmask_b32_e64 v113, v0, 0x70, vcc_lo
	v_cndmask_b32_e32 v0, v1, v20, vcc_lo
	v_dual_mov_b32 v1, v21 :: v_dual_add_nc_u32 v4, 21, v113
	v_add_nc_u32_e32 v20, 20, v113
	s_delay_alu instid0(VALU_DEP_2) | instskip(NEXT) | instid1(VALU_DEP_2)
	v_lshlrev_b64_e64 v[4:5], v4, -1
	v_lshlrev_b64_e64 v[114:115], v20, 1
	s_delay_alu instid0(VALU_DEP_2) | instskip(SKIP_1) | instid1(VALU_DEP_4)
	v_bfi_b32 v4, v4, 0, v0
	v_lshrrev_b64 v[0:1], v113, v[0:1]
	v_bfi_b32 v5, v5, 0, 0
	s_delay_alu instid0(VALU_DEP_1) | instskip(NEXT) | instid1(VALU_DEP_3)
	v_cmp_eq_u64_e64 s13, v[4:5], v[114:115]
	v_mov_b64_e32 v[4:5], v[0:1]
	s_and_saveexec_b32 s74, s13
; %bb.2741:                             ;   in Loop: Header=BB6_357 Depth=4
	v_bfe_u32 v4, v0, 21, 1
	v_mov_b32_e32 v5, v21
	s_delay_alu instid0(VALU_DEP_1) | instskip(NEXT) | instid1(VALU_DEP_1)
	v_add_nc_u64_e32 v[4:5], v[0:1], v[4:5]
	v_add_nc_u64_e32 v[4:5], -1, v[4:5]
; %bb.2742:                             ;   in Loop: Header=BB6_357 Depth=4
	s_or_b32 exec_lo, exec_lo, s74
	v_add_nc_u32_e32 v1, 0xffffff81, v103
	v_lshrrev_b32_e32 v5, 23, v0
	s_mov_b32 s13, exec_lo
	s_delay_alu instid0(VALU_DEP_2) | instskip(NEXT) | instid1(VALU_DEP_1)
	v_cndmask_b32_e64 v1, v1, 0xffffff82, vcc_lo
	v_add3_u32 v103, v113, v1, v5
	v_and_b32_e32 v1, 0x1fffff, v4
                                        ; implicit-def: $vgpr4
	s_delay_alu instid0(VALU_DEP_1) | instskip(NEXT) | instid1(VALU_DEP_1)
	v_dual_add_nc_u32 v5, 14, v103 :: v_dual_add_nc_u32 v20, v1, v0
                                        ; implicit-def: $vgpr0_vgpr1
	v_cmpx_ne_u32_e32 0, v5
	s_xor_b32 s13, exec_lo, s13
; %bb.2743:                             ;   in Loop: Header=BB6_357 Depth=4
	s_delay_alu instid0(VALU_DEP_2) | instskip(SKIP_1) | instid1(VALU_DEP_1)
	v_cmp_lt_u64_e32 vcc_lo, 0xffffff, v[20:21]
	v_add_nc_u32_e32 v0, 15, v103
	v_cndmask_b32_e32 v4, v5, v0, vcc_lo
	v_cndmask_b32_e64 v0, 0, 1, vcc_lo
	s_delay_alu instid0(VALU_DEP_1)
	v_lshrrev_b64 v[0:1], v0, v[20:21]
; %bb.2744:                             ;   in Loop: Header=BB6_357 Depth=4
	s_and_not1_saveexec_b32 s13, s13
; %bb.2745:                             ;   in Loop: Header=BB6_357 Depth=4
	v_mov_b64_e32 v[0:1], v[20:21]
	v_bfe_u32 v4, v20, 23, 1
; %bb.2746:                             ;   in Loop: Header=BB6_357 Depth=4
	s_or_b32 exec_lo, exec_lo, s13
	s_delay_alu instid0(VALU_DEP_2) | instskip(NEXT) | instid1(VALU_DEP_2)
	v_lshrrev_b64 v[0:1], 21, v[0:1]
	v_cmp_gt_i32_e32 vcc_lo, 32, v4
	v_min_i32_e32 v5, 31, v4
	v_cmp_eq_u32_e64 s13, 0, v4
	s_delay_alu instid0(VALU_DEP_4) | instskip(NEXT) | instid1(VALU_DEP_3)
	v_cndmask_b32_e32 v1, 0, v1, vcc_lo
	v_dual_cndmask_b32 v0, 3, v0 :: v_dual_lshlrev_b32 v5, 2, v5
	s_delay_alu instid0(VALU_DEP_1) | instskip(NEXT) | instid1(VALU_DEP_2)
	v_and_b32_e32 v5, 0xfc, v5
	v_cmp_eq_u64_e32 vcc_lo, 0, v[0:1]
	s_delay_alu instid0(VALU_DEP_2)
	v_and_or_b32 v0, v0, 3, v5
	s_and_b32 s13, s13, vcc_lo
	s_delay_alu instid0(VALU_DEP_1) | instid1(SALU_CYCLE_1)
	v_cndmask_b32_e64 v0, v0, 0, s13
	s_delay_alu instid0(VALU_DEP_1)
	v_or_b32_e32 v103, v0, v112
.LBB6_2747:                             ;   in Loop: Header=BB6_357 Depth=4
	s_or_b32 exec_lo, exec_lo, s73
                                        ; implicit-def: $vgpr112
.LBB6_2748:                             ;   in Loop: Header=BB6_357 Depth=4
	s_and_not1_saveexec_b32 s13, s72
; %bb.2749:                             ;   in Loop: Header=BB6_357 Depth=4
	v_or_b32_e32 v103, 0x7b, v112
; %bb.2750:                             ;   in Loop: Header=BB6_357 Depth=4
	s_or_b32 exec_lo, exec_lo, s13
                                        ; implicit-def: $vgpr0
                                        ; implicit-def: $vgpr1
.LBB6_2751:                             ;   in Loop: Header=BB6_357 Depth=4
	s_and_not1_saveexec_b32 s13, s63
	s_cbranch_execz .LBB6_2757
; %bb.2752:                             ;   in Loop: Header=BB6_357 Depth=4
	s_mov_b32 s63, exec_lo
                                        ; implicit-def: $vgpr103
	v_cmpx_ne_u64_e32 0, v[20:21]
	s_xor_b32 s63, exec_lo, s63
; %bb.2753:                             ;   in Loop: Header=BB6_357 Depth=4
	v_or_b32_e32 v103, 0x7f, v1
                                        ; implicit-def: $vgpr0
; %bb.2754:                             ;   in Loop: Header=BB6_357 Depth=4
	s_and_not1_saveexec_b32 s63, s63
; %bb.2755:                             ;   in Loop: Header=BB6_357 Depth=4
	v_cmp_lt_i32_e32 vcc_lo, -1, v0
	v_mov_b32_e32 v0, 0x7c
	s_delay_alu instid0(VALU_DEP_1)
	v_cndmask_b32_e32 v103, 0xfc, v0, vcc_lo
; %bb.2756:                             ;   in Loop: Header=BB6_357 Depth=4
	s_or_b32 exec_lo, exec_lo, s63
.LBB6_2757:                             ;   in Loop: Header=BB6_357 Depth=4
	s_delay_alu instid0(SALU_CYCLE_1) | instskip(SKIP_4) | instid1(VALU_DEP_3)
	s_or_b32 exec_lo, exec_lo, s13
	v_and_b32_e32 v4, 0xff, v3
	v_dual_mov_b32 v20, v3 :: v_dual_mov_b32 v1, 0
	v_mov_b32_e32 v0, 0
	s_mov_b32 s63, exec_lo
	v_cmpx_ne_u16_e32 0, v4
	s_cbranch_execz .LBB6_2767
; %bb.2758:                             ;   in Loop: Header=BB6_357 Depth=4
	v_bfrev_b32_e32 v0, 1
	s_mov_b32 s72, exec_lo
	v_cmpx_ne_u16_e32 0x80, v4
	s_cbranch_execz .LBB6_2766
; %bb.2759:                             ;   in Loop: Header=BB6_357 Depth=4
	v_and_b32_e32 v0, 0x7c, v3
	v_and_b32_e32 v4, 3, v3
	s_delay_alu instid0(VALU_DEP_2) | instskip(SKIP_1) | instid1(SALU_CYCLE_1)
	v_cmp_ne_u32_e32 vcc_lo, 0x7c, v0
                                        ; implicit-def: $vgpr0
	s_and_saveexec_b32 s13, vcc_lo
	s_xor_b32 s13, exec_lo, s13
	s_cbranch_execz .LBB6_2763
; %bb.2760:                             ;   in Loop: Header=BB6_357 Depth=4
	v_bfe_u32 v0, v3, 2, 5
	s_mov_b32 s73, exec_lo
	s_delay_alu instid0(VALU_DEP_1)
	v_cmpx_eq_u32_e32 0, v0
; %bb.2761:                             ;   in Loop: Header=BB6_357 Depth=4
	v_clz_i32_u32_e32 v0, v4
	s_delay_alu instid0(VALU_DEP_1) | instskip(NEXT) | instid1(VALU_DEP_1)
	v_min_u32_e32 v0, 32, v0
	v_subrev_nc_u32_e32 v4, 29, v0
	v_sub_nc_u32_e32 v0, 30, v0
	s_delay_alu instid0(VALU_DEP_2) | instskip(NEXT) | instid1(VALU_DEP_1)
	v_lshlrev_b64_e32 v[4:5], v4, v[20:21]
	v_and_b32_e32 v4, 3, v4
; %bb.2762:                             ;   in Loop: Header=BB6_357 Depth=4
	s_or_b32 exec_lo, exec_lo, s73
	v_lshlrev_b32_e32 v5, 24, v3
	s_delay_alu instid0(VALU_DEP_1) | instskip(NEXT) | instid1(VALU_DEP_1)
	v_and_b32_e32 v5, 0x80000000, v5
	v_lshl_add_u32 v0, v0, 23, v5
	s_delay_alu instid0(VALU_DEP_1) | instskip(NEXT) | instid1(VALU_DEP_1)
	v_lshl_or_b32 v0, v4, 21, v0
                                        ; implicit-def: $vgpr4
	v_add_nc_u32_e32 v0, 0x38000000, v0
.LBB6_2763:                             ;   in Loop: Header=BB6_357 Depth=4
	s_and_not1_saveexec_b32 s73, s13
; %bb.2764:                             ;   in Loop: Header=BB6_357 Depth=4
	v_bfe_i32 v0, v3, 0, 8
	v_cmp_eq_u32_e32 vcc_lo, 0, v4
	s_delay_alu instid0(VALU_DEP_2) | instskip(SKIP_1) | instid1(VALU_DEP_1)
	v_cmp_lt_i16_e64 s13, -1, v0
	v_mov_b32_e32 v0, 0x7f800000
	v_cndmask_b32_e64 v0, 0xff800000, v0, s13
	s_delay_alu instid0(VALU_DEP_1)
	v_cndmask_b32_e32 v0, 0x7f800001, v0, vcc_lo
; %bb.2765:                             ;   in Loop: Header=BB6_357 Depth=4
	s_or_b32 exec_lo, exec_lo, s73
.LBB6_2766:                             ;   in Loop: Header=BB6_357 Depth=4
	s_delay_alu instid0(SALU_CYCLE_1)
	s_or_b32 exec_lo, exec_lo, s72
.LBB6_2767:                             ;   in Loop: Header=BB6_357 Depth=4
	s_delay_alu instid0(SALU_CYCLE_1) | instskip(SKIP_2) | instid1(VALU_DEP_1)
	s_or_b32 exec_lo, exec_lo, s63
	v_and_b32_e32 v4, 0xff, v11
	s_mov_b32 s63, exec_lo
	v_cmpx_ne_u16_e32 0, v4
	s_cbranch_execz .LBB6_2777
; %bb.2768:                             ;   in Loop: Header=BB6_357 Depth=4
	v_bfrev_b32_e32 v1, 1
	s_mov_b32 s72, exec_lo
	v_cmpx_ne_u16_e32 0x80, v4
	s_cbranch_execz .LBB6_2776
; %bb.2769:                             ;   in Loop: Header=BB6_357 Depth=4
	v_and_b32_e32 v1, 0x7c, v11
	v_and_b32_e32 v4, 3, v11
	s_delay_alu instid0(VALU_DEP_2) | instskip(SKIP_1) | instid1(SALU_CYCLE_1)
	v_cmp_ne_u32_e32 vcc_lo, 0x7c, v1
                                        ; implicit-def: $vgpr1
	s_and_saveexec_b32 s13, vcc_lo
	s_xor_b32 s13, exec_lo, s13
	s_cbranch_execz .LBB6_2773
; %bb.2770:                             ;   in Loop: Header=BB6_357 Depth=4
	v_bfe_u32 v1, v11, 2, 5
	s_mov_b32 s73, exec_lo
	s_delay_alu instid0(VALU_DEP_1)
	v_cmpx_eq_u32_e32 0, v1
; %bb.2771:                             ;   in Loop: Header=BB6_357 Depth=4
	v_clz_i32_u32_e32 v1, v4
	v_dual_mov_b32 v4, v11 :: v_dual_mov_b32 v5, v21
	s_delay_alu instid0(VALU_DEP_2) | instskip(NEXT) | instid1(VALU_DEP_1)
	v_min_u32_e32 v1, 32, v1
	v_subrev_nc_u32_e32 v112, 29, v1
	s_delay_alu instid0(VALU_DEP_1) | instskip(NEXT) | instid1(VALU_DEP_1)
	v_lshlrev_b64_e32 v[4:5], v112, v[4:5]
	v_dual_sub_nc_u32 v1, 30, v1 :: v_dual_bitop2_b32 v4, 3, v4 bitop3:0x40
; %bb.2772:                             ;   in Loop: Header=BB6_357 Depth=4
	s_or_b32 exec_lo, exec_lo, s73
	v_lshlrev_b32_e32 v5, 24, v11
	s_delay_alu instid0(VALU_DEP_1) | instskip(NEXT) | instid1(VALU_DEP_1)
	v_and_b32_e32 v5, 0x80000000, v5
	v_lshl_add_u32 v1, v1, 23, v5
	s_delay_alu instid0(VALU_DEP_1) | instskip(NEXT) | instid1(VALU_DEP_1)
	v_lshl_or_b32 v1, v4, 21, v1
                                        ; implicit-def: $vgpr4
	v_add_nc_u32_e32 v1, 0x38000000, v1
.LBB6_2773:                             ;   in Loop: Header=BB6_357 Depth=4
	s_and_not1_saveexec_b32 s73, s13
; %bb.2774:                             ;   in Loop: Header=BB6_357 Depth=4
	v_bfe_i32 v1, v11, 0, 8
	v_cmp_eq_u32_e32 vcc_lo, 0, v4
	s_delay_alu instid0(VALU_DEP_2) | instskip(SKIP_1) | instid1(VALU_DEP_1)
	v_cmp_lt_i16_e64 s13, -1, v1
	v_mov_b32_e32 v1, 0x7f800000
	v_cndmask_b32_e64 v1, 0xff800000, v1, s13
	s_delay_alu instid0(VALU_DEP_1)
	v_cndmask_b32_e32 v1, 0x7f800001, v1, vcc_lo
; %bb.2775:                             ;   in Loop: Header=BB6_357 Depth=4
	s_or_b32 exec_lo, exec_lo, s73
.LBB6_2776:                             ;   in Loop: Header=BB6_357 Depth=4
	s_delay_alu instid0(SALU_CYCLE_1)
	s_or_b32 exec_lo, exec_lo, s72
.LBB6_2777:                             ;   in Loop: Header=BB6_357 Depth=4
	s_delay_alu instid0(SALU_CYCLE_1) | instskip(NEXT) | instid1(VALU_DEP_1)
	s_or_b32 exec_lo, exec_lo, s63
	v_dual_mul_f32 v4, v0, v1 :: v_dual_mov_b32 v113, v21
	s_delay_alu instid0(VALU_DEP_1) | instskip(SKIP_2) | instid1(VALU_DEP_2)
	v_dual_mov_b32 v1, v21 :: v_dual_lshrrev_b32 v5, 24, v4
	v_and_b32_e32 v112, 0x7f800000, v4
	v_and_b32_e32 v0, 0x7fffff, v4
	v_cmp_ne_u64_e32 vcc_lo, 0x7f800000, v[112:113]
                                        ; implicit-def: $vgpr112
	s_and_saveexec_b32 s13, vcc_lo
	s_delay_alu instid0(SALU_CYCLE_1)
	s_xor_b32 s63, exec_lo, s13
	s_cbranch_execz .LBB6_2791
; %bb.2778:                             ;   in Loop: Header=BB6_357 Depth=4
	v_and_b32_e32 v112, 0x7fffffff, v4
	v_mov_b32_e32 v113, v21
	s_delay_alu instid0(VALU_DEP_1) | instskip(SKIP_2) | instid1(SALU_CYCLE_1)
	v_cmp_gt_u64_e32 vcc_lo, 0x47600001, v[112:113]
	v_and_b32_e32 v113, 0x80, v5
                                        ; implicit-def: $vgpr112
	s_and_saveexec_b32 s13, vcc_lo
	s_xor_b32 s72, exec_lo, s13
	s_cbranch_execz .LBB6_2788
; %bb.2779:                             ;   in Loop: Header=BB6_357 Depth=4
	v_mov_b32_e32 v112, 0
	s_mov_b32 s73, exec_lo
	v_cmpx_ne_u32_e32 0, v4
	s_cbranch_execz .LBB6_2787
; %bb.2780:                             ;   in Loop: Header=BB6_357 Depth=4
	v_bfe_u32 v112, v4, 23, 8
	v_or_b32_e32 v5, 0x800000, v0
	s_delay_alu instid0(VALU_DEP_2) | instskip(SKIP_2) | instid1(VALU_DEP_2)
	v_cmp_gt_u32_e64 s13, 0x72, v112
	v_sub_nc_u32_e32 v4, 0x71, v112
	v_cmp_eq_u32_e32 vcc_lo, 0, v112
	v_cndmask_b32_e64 v4, 0, v4, s13
	s_delay_alu instid0(VALU_DEP_1) | instskip(NEXT) | instid1(VALU_DEP_1)
	v_cndmask_b32_e64 v114, v4, 0x70, vcc_lo
	v_dual_cndmask_b32 v0, v5, v0, vcc_lo :: v_dual_add_nc_u32 v4, 21, v114
	v_add_nc_u32_e32 v115, 20, v114
	s_delay_alu instid0(VALU_DEP_2) | instskip(NEXT) | instid1(VALU_DEP_2)
	v_lshlrev_b64_e64 v[4:5], v4, -1
	v_lshlrev_b64_e64 v[116:117], v115, 1
	s_delay_alu instid0(VALU_DEP_2) | instskip(SKIP_1) | instid1(VALU_DEP_4)
	v_bfi_b32 v4, v4, 0, v0
	v_lshrrev_b64 v[0:1], v114, v[0:1]
	v_bfi_b32 v5, v5, 0, 0
	s_delay_alu instid0(VALU_DEP_1) | instskip(NEXT) | instid1(VALU_DEP_3)
	v_cmp_eq_u64_e64 s13, v[4:5], v[116:117]
	v_mov_b64_e32 v[4:5], v[0:1]
	s_and_saveexec_b32 s74, s13
; %bb.2781:                             ;   in Loop: Header=BB6_357 Depth=4
	v_bfe_u32 v4, v0, 21, 1
	v_mov_b32_e32 v5, v21
	s_delay_alu instid0(VALU_DEP_1) | instskip(NEXT) | instid1(VALU_DEP_1)
	v_add_nc_u64_e32 v[4:5], v[0:1], v[4:5]
	v_add_nc_u64_e32 v[4:5], -1, v[4:5]
; %bb.2782:                             ;   in Loop: Header=BB6_357 Depth=4
	s_or_b32 exec_lo, exec_lo, s74
	v_add_nc_u32_e32 v1, 0xffffff81, v112
	v_lshrrev_b32_e32 v5, 23, v0
	s_mov_b32 s13, exec_lo
	s_delay_alu instid0(VALU_DEP_2) | instskip(NEXT) | instid1(VALU_DEP_1)
	v_cndmask_b32_e64 v1, v1, 0xffffff82, vcc_lo
	v_add3_u32 v112, v114, v1, v5
	v_and_b32_e32 v1, 0x1fffff, v4
                                        ; implicit-def: $vgpr4
	s_delay_alu instid0(VALU_DEP_2) | instskip(NEXT) | instid1(VALU_DEP_2)
	v_add_nc_u32_e32 v5, 14, v112
	v_add_nc_u32_e32 v0, v1, v0
	v_mov_b32_e32 v1, v21
	s_delay_alu instid0(VALU_DEP_3)
	v_cmpx_ne_u32_e32 0, v5
	s_xor_b32 s13, exec_lo, s13
; %bb.2783:                             ;   in Loop: Header=BB6_357 Depth=4
	s_delay_alu instid0(VALU_DEP_2) | instskip(SKIP_1) | instid1(VALU_DEP_1)
	v_cmp_lt_u64_e32 vcc_lo, 0xffffff, v[0:1]
	v_add_nc_u32_e32 v4, 15, v112
	v_cndmask_b32_e32 v4, v5, v4, vcc_lo
	v_cndmask_b32_e64 v5, 0, 1, vcc_lo
	s_delay_alu instid0(VALU_DEP_1)
	v_lshrrev_b64 v[0:1], v5, v[0:1]
; %bb.2784:                             ;   in Loop: Header=BB6_357 Depth=4
	s_and_not1_saveexec_b32 s13, s13
; %bb.2785:                             ;   in Loop: Header=BB6_357 Depth=4
	s_delay_alu instid0(VALU_DEP_1)
	v_bfe_u32 v4, v0, 23, 1
; %bb.2786:                             ;   in Loop: Header=BB6_357 Depth=4
	s_or_b32 exec_lo, exec_lo, s13
	s_delay_alu instid0(VALU_DEP_2) | instskip(NEXT) | instid1(VALU_DEP_2)
	v_lshrrev_b64 v[0:1], 21, v[0:1]
	v_cmp_gt_i32_e32 vcc_lo, 32, v4
	v_min_i32_e32 v5, 31, v4
	v_cmp_eq_u32_e64 s13, 0, v4
	s_delay_alu instid0(VALU_DEP_4) | instskip(NEXT) | instid1(VALU_DEP_3)
	v_cndmask_b32_e32 v1, 0, v1, vcc_lo
	v_dual_cndmask_b32 v0, 3, v0 :: v_dual_lshlrev_b32 v5, 2, v5
	s_delay_alu instid0(VALU_DEP_1) | instskip(NEXT) | instid1(VALU_DEP_2)
	v_and_b32_e32 v5, 0xfc, v5
	v_cmp_eq_u64_e32 vcc_lo, 0, v[0:1]
	s_delay_alu instid0(VALU_DEP_2)
	v_and_or_b32 v0, v0, 3, v5
	s_and_b32 s13, s13, vcc_lo
	s_delay_alu instid0(VALU_DEP_1) | instid1(SALU_CYCLE_1)
	v_cndmask_b32_e64 v0, v0, 0, s13
	s_delay_alu instid0(VALU_DEP_1)
	v_or_b32_e32 v112, v0, v113
.LBB6_2787:                             ;   in Loop: Header=BB6_357 Depth=4
	s_or_b32 exec_lo, exec_lo, s73
                                        ; implicit-def: $vgpr113
.LBB6_2788:                             ;   in Loop: Header=BB6_357 Depth=4
	s_and_not1_saveexec_b32 s13, s72
; %bb.2789:                             ;   in Loop: Header=BB6_357 Depth=4
	v_or_b32_e32 v112, 0x7b, v113
; %bb.2790:                             ;   in Loop: Header=BB6_357 Depth=4
	s_or_b32 exec_lo, exec_lo, s13
                                        ; implicit-def: $vgpr4
                                        ; implicit-def: $vgpr0_vgpr1
                                        ; implicit-def: $vgpr5
.LBB6_2791:                             ;   in Loop: Header=BB6_357 Depth=4
	s_and_not1_saveexec_b32 s13, s63
	s_cbranch_execz .LBB6_2797
; %bb.2792:                             ;   in Loop: Header=BB6_357 Depth=4
	s_mov_b32 s63, exec_lo
                                        ; implicit-def: $vgpr112
	v_cmpx_ne_u64_e32 0, v[0:1]
	s_xor_b32 s63, exec_lo, s63
; %bb.2793:                             ;   in Loop: Header=BB6_357 Depth=4
	v_or_b32_e32 v112, 0x7f, v5
                                        ; implicit-def: $vgpr4
; %bb.2794:                             ;   in Loop: Header=BB6_357 Depth=4
	s_and_not1_saveexec_b32 s63, s63
; %bb.2795:                             ;   in Loop: Header=BB6_357 Depth=4
	v_cmp_lt_i32_e32 vcc_lo, -1, v4
	v_mov_b32_e32 v0, 0x7c
	s_delay_alu instid0(VALU_DEP_1)
	v_cndmask_b32_e32 v112, 0xfc, v0, vcc_lo
; %bb.2796:                             ;   in Loop: Header=BB6_357 Depth=4
	s_or_b32 exec_lo, exec_lo, s63
.LBB6_2797:                             ;   in Loop: Header=BB6_357 Depth=4
	s_delay_alu instid0(SALU_CYCLE_1) | instskip(SKIP_3) | instid1(VALU_DEP_2)
	s_or_b32 exec_lo, exec_lo, s13
	v_lshrrev_b16 v0, 8, v20
	v_dual_mov_b32 v4, 0 :: v_dual_mov_b32 v5, 0
	s_mov_b32 s63, exec_lo
	v_cmpx_ne_u16_e32 0, v0
	s_cbranch_execz .LBB6_2807
; %bb.2798:                             ;   in Loop: Header=BB6_357 Depth=4
	v_bfrev_b32_e32 v5, 1
	s_mov_b32 s72, exec_lo
	v_cmpx_ne_u16_e32 0x80, v0
	s_cbranch_execz .LBB6_2806
; %bb.2799:                             ;   in Loop: Header=BB6_357 Depth=4
	v_and_b32_e32 v113, 0xffff, v0
	s_delay_alu instid0(VALU_DEP_1) | instskip(SKIP_1) | instid1(VALU_DEP_2)
	v_and_b32_e32 v5, 0x7c, v113
	v_and_b32_e32 v1, 3, v113
	v_cmp_ne_u32_e32 vcc_lo, 0x7c, v5
                                        ; implicit-def: $vgpr5
	s_and_saveexec_b32 s13, vcc_lo
	s_delay_alu instid0(SALU_CYCLE_1)
	s_xor_b32 s13, exec_lo, s13
	s_cbranch_execz .LBB6_2803
; %bb.2800:                             ;   in Loop: Header=BB6_357 Depth=4
	v_bfe_u32 v5, v113, 2, 5
	s_mov_b32 s73, exec_lo
	s_delay_alu instid0(VALU_DEP_1)
	v_cmpx_eq_u32_e32 0, v5
	s_cbranch_execz .LBB6_2802
; %bb.2801:                             ;   in Loop: Header=BB6_357 Depth=4
	v_clz_i32_u32_e32 v1, v1
	s_delay_alu instid0(VALU_DEP_1) | instskip(SKIP_1) | instid1(VALU_DEP_2)
	v_min_u32_e32 v5, 32, v1
	v_mov_b32_e32 v1, v21
	v_subrev_nc_u32_e32 v113, 29, v5
	v_sub_nc_u32_e32 v5, 30, v5
	s_delay_alu instid0(VALU_DEP_2) | instskip(NEXT) | instid1(VALU_DEP_1)
	v_lshlrev_b64_e32 v[0:1], v113, v[0:1]
	v_and_b32_e32 v1, 3, v0
.LBB6_2802:                             ;   in Loop: Header=BB6_357 Depth=4
	s_or_b32 exec_lo, exec_lo, s73
	v_lshlrev_b32_e32 v0, 16, v20
	s_delay_alu instid0(VALU_DEP_1) | instskip(NEXT) | instid1(VALU_DEP_1)
	v_and_b32_e32 v0, 0x80000000, v0
	v_lshl_add_u32 v0, v5, 23, v0
	s_delay_alu instid0(VALU_DEP_1) | instskip(NEXT) | instid1(VALU_DEP_1)
	v_lshl_or_b32 v0, v1, 21, v0
                                        ; implicit-def: $vgpr1
	v_add_nc_u32_e32 v5, 0x38000000, v0
.LBB6_2803:                             ;   in Loop: Header=BB6_357 Depth=4
	s_and_not1_saveexec_b32 s73, s13
; %bb.2804:                             ;   in Loop: Header=BB6_357 Depth=4
	v_cmp_lt_i16_e64 s13, -1, v20
	v_mov_b32_e32 v0, 0x7f800000
	v_cmp_eq_u32_e32 vcc_lo, 0, v1
	s_delay_alu instid0(VALU_DEP_2) | instskip(NEXT) | instid1(VALU_DEP_1)
	v_cndmask_b32_e64 v0, 0xff800000, v0, s13
	v_cndmask_b32_e32 v5, 0x7f800001, v0, vcc_lo
; %bb.2805:                             ;   in Loop: Header=BB6_357 Depth=4
	s_or_b32 exec_lo, exec_lo, s73
.LBB6_2806:                             ;   in Loop: Header=BB6_357 Depth=4
	s_delay_alu instid0(SALU_CYCLE_1)
	s_or_b32 exec_lo, exec_lo, s72
.LBB6_2807:                             ;   in Loop: Header=BB6_357 Depth=4
	s_delay_alu instid0(SALU_CYCLE_1) | instskip(SKIP_2) | instid1(VALU_DEP_1)
	s_or_b32 exec_lo, exec_lo, s63
	v_lshrrev_b16 v0, 8, v11
	s_mov_b32 s63, exec_lo
	v_cmpx_ne_u16_e32 0, v0
	s_cbranch_execz .LBB6_2817
; %bb.2808:                             ;   in Loop: Header=BB6_357 Depth=4
	v_bfrev_b32_e32 v4, 1
	s_mov_b32 s72, exec_lo
	v_cmpx_ne_u16_e32 0x80, v0
	s_cbranch_execz .LBB6_2816
; %bb.2809:                             ;   in Loop: Header=BB6_357 Depth=4
	v_and_b32_e32 v20, 0xffff, v0
	s_delay_alu instid0(VALU_DEP_1) | instskip(SKIP_1) | instid1(VALU_DEP_2)
	v_and_b32_e32 v4, 0x7c, v20
	v_and_b32_e32 v1, 3, v20
	v_cmp_ne_u32_e32 vcc_lo, 0x7c, v4
                                        ; implicit-def: $vgpr4
	s_and_saveexec_b32 s13, vcc_lo
	s_delay_alu instid0(SALU_CYCLE_1)
	s_xor_b32 s13, exec_lo, s13
	s_cbranch_execz .LBB6_2813
; %bb.2810:                             ;   in Loop: Header=BB6_357 Depth=4
	v_bfe_u32 v4, v20, 2, 5
	s_mov_b32 s73, exec_lo
	s_delay_alu instid0(VALU_DEP_1)
	v_cmpx_eq_u32_e32 0, v4
	s_cbranch_execz .LBB6_2812
; %bb.2811:                             ;   in Loop: Header=BB6_357 Depth=4
	v_clz_i32_u32_e32 v1, v1
	s_delay_alu instid0(VALU_DEP_1) | instskip(SKIP_1) | instid1(VALU_DEP_2)
	v_min_u32_e32 v4, 32, v1
	v_mov_b32_e32 v1, v21
	v_subrev_nc_u32_e32 v20, 29, v4
	v_sub_nc_u32_e32 v4, 30, v4
	s_delay_alu instid0(VALU_DEP_2) | instskip(NEXT) | instid1(VALU_DEP_1)
	v_lshlrev_b64_e32 v[0:1], v20, v[0:1]
	v_and_b32_e32 v1, 3, v0
.LBB6_2812:                             ;   in Loop: Header=BB6_357 Depth=4
	s_or_b32 exec_lo, exec_lo, s73
	v_lshlrev_b32_e32 v0, 16, v11
	s_delay_alu instid0(VALU_DEP_1) | instskip(NEXT) | instid1(VALU_DEP_1)
	v_and_b32_e32 v0, 0x80000000, v0
	v_lshl_add_u32 v0, v4, 23, v0
	s_delay_alu instid0(VALU_DEP_1) | instskip(NEXT) | instid1(VALU_DEP_1)
	v_lshl_or_b32 v0, v1, 21, v0
                                        ; implicit-def: $vgpr1
	v_add_nc_u32_e32 v4, 0x38000000, v0
.LBB6_2813:                             ;   in Loop: Header=BB6_357 Depth=4
	s_and_not1_saveexec_b32 s73, s13
; %bb.2814:                             ;   in Loop: Header=BB6_357 Depth=4
	v_cmp_lt_i16_e64 s13, -1, v11
	v_mov_b32_e32 v0, 0x7f800000
	v_cmp_eq_u32_e32 vcc_lo, 0, v1
	s_delay_alu instid0(VALU_DEP_2) | instskip(NEXT) | instid1(VALU_DEP_1)
	v_cndmask_b32_e64 v0, 0xff800000, v0, s13
	v_cndmask_b32_e32 v4, 0x7f800001, v0, vcc_lo
; %bb.2815:                             ;   in Loop: Header=BB6_357 Depth=4
	s_or_b32 exec_lo, exec_lo, s73
.LBB6_2816:                             ;   in Loop: Header=BB6_357 Depth=4
	s_delay_alu instid0(SALU_CYCLE_1)
	s_or_b32 exec_lo, exec_lo, s72
.LBB6_2817:                             ;   in Loop: Header=BB6_357 Depth=4
	s_delay_alu instid0(SALU_CYCLE_1) | instskip(NEXT) | instid1(VALU_DEP_1)
	s_or_b32 exec_lo, exec_lo, s63
	v_mul_f32_e32 v0, v5, v4
	v_mov_b32_e32 v5, v21
                                        ; implicit-def: $vgpr113
	s_mov_b32 s13, exec_lo
	s_delay_alu instid0(VALU_DEP_2) | instskip(SKIP_2) | instid1(VALU_DEP_3)
	v_and_b32_e32 v4, 0x7f800000, v0
	v_and_b32_e32 v20, 0x7fffff, v0
	v_lshrrev_b32_e32 v1, 24, v0
	v_cmpx_ne_u64_e32 0x7f800000, v[4:5]
	s_xor_b32 s63, exec_lo, s13
	s_cbranch_execz .LBB6_2831
; %bb.2818:                             ;   in Loop: Header=BB6_357 Depth=4
	v_and_b32_e32 v4, 0x7fffffff, v0
	v_mov_b32_e32 v5, v21
	v_and_b32_e32 v114, 0x80, v1
                                        ; implicit-def: $vgpr113
	s_mov_b32 s13, exec_lo
	s_delay_alu instid0(VALU_DEP_2)
	v_cmpx_gt_u64_e32 0x47600001, v[4:5]
	s_xor_b32 s72, exec_lo, s13
	s_cbranch_execz .LBB6_2828
; %bb.2819:                             ;   in Loop: Header=BB6_357 Depth=4
	v_mov_b32_e32 v113, 0
	s_mov_b32 s73, exec_lo
	v_cmpx_ne_u32_e32 0, v0
	s_cbranch_execz .LBB6_2827
; %bb.2820:                             ;   in Loop: Header=BB6_357 Depth=4
	v_bfe_u32 v113, v0, 23, 8
	v_or_b32_e32 v1, 0x800000, v20
	s_delay_alu instid0(VALU_DEP_2) | instskip(SKIP_2) | instid1(VALU_DEP_2)
	v_cmp_gt_u32_e64 s13, 0x72, v113
	v_sub_nc_u32_e32 v0, 0x71, v113
	v_cmp_eq_u32_e32 vcc_lo, 0, v113
	v_cndmask_b32_e64 v0, 0, v0, s13
	s_delay_alu instid0(VALU_DEP_1) | instskip(SKIP_1) | instid1(VALU_DEP_2)
	v_cndmask_b32_e64 v115, v0, 0x70, vcc_lo
	v_cndmask_b32_e32 v0, v1, v20, vcc_lo
	v_dual_mov_b32 v1, v21 :: v_dual_add_nc_u32 v4, 21, v115
	v_add_nc_u32_e32 v20, 20, v115
	s_delay_alu instid0(VALU_DEP_2) | instskip(NEXT) | instid1(VALU_DEP_2)
	v_lshlrev_b64_e64 v[4:5], v4, -1
	v_lshlrev_b64_e64 v[116:117], v20, 1
	s_delay_alu instid0(VALU_DEP_2) | instskip(SKIP_1) | instid1(VALU_DEP_4)
	v_bfi_b32 v4, v4, 0, v0
	v_lshrrev_b64 v[0:1], v115, v[0:1]
	v_bfi_b32 v5, v5, 0, 0
	s_delay_alu instid0(VALU_DEP_1) | instskip(NEXT) | instid1(VALU_DEP_3)
	v_cmp_eq_u64_e64 s13, v[4:5], v[116:117]
	v_mov_b64_e32 v[4:5], v[0:1]
	s_and_saveexec_b32 s74, s13
; %bb.2821:                             ;   in Loop: Header=BB6_357 Depth=4
	v_bfe_u32 v4, v0, 21, 1
	v_mov_b32_e32 v5, v21
	s_delay_alu instid0(VALU_DEP_1) | instskip(NEXT) | instid1(VALU_DEP_1)
	v_add_nc_u64_e32 v[4:5], v[0:1], v[4:5]
	v_add_nc_u64_e32 v[4:5], -1, v[4:5]
; %bb.2822:                             ;   in Loop: Header=BB6_357 Depth=4
	s_or_b32 exec_lo, exec_lo, s74
	v_add_nc_u32_e32 v1, 0xffffff81, v113
	v_lshrrev_b32_e32 v5, 23, v0
	s_mov_b32 s13, exec_lo
	s_delay_alu instid0(VALU_DEP_2) | instskip(NEXT) | instid1(VALU_DEP_1)
	v_cndmask_b32_e64 v1, v1, 0xffffff82, vcc_lo
	v_add3_u32 v113, v115, v1, v5
	v_and_b32_e32 v1, 0x1fffff, v4
                                        ; implicit-def: $vgpr4
	s_delay_alu instid0(VALU_DEP_1) | instskip(NEXT) | instid1(VALU_DEP_1)
	v_dual_add_nc_u32 v5, 14, v113 :: v_dual_add_nc_u32 v20, v1, v0
                                        ; implicit-def: $vgpr0_vgpr1
	v_cmpx_ne_u32_e32 0, v5
	s_xor_b32 s13, exec_lo, s13
; %bb.2823:                             ;   in Loop: Header=BB6_357 Depth=4
	s_delay_alu instid0(VALU_DEP_2) | instskip(SKIP_1) | instid1(VALU_DEP_1)
	v_cmp_lt_u64_e32 vcc_lo, 0xffffff, v[20:21]
	v_add_nc_u32_e32 v0, 15, v113
	v_cndmask_b32_e32 v4, v5, v0, vcc_lo
	v_cndmask_b32_e64 v0, 0, 1, vcc_lo
	s_delay_alu instid0(VALU_DEP_1)
	v_lshrrev_b64 v[0:1], v0, v[20:21]
; %bb.2824:                             ;   in Loop: Header=BB6_357 Depth=4
	s_and_not1_saveexec_b32 s13, s13
; %bb.2825:                             ;   in Loop: Header=BB6_357 Depth=4
	v_mov_b64_e32 v[0:1], v[20:21]
	v_bfe_u32 v4, v20, 23, 1
; %bb.2826:                             ;   in Loop: Header=BB6_357 Depth=4
	s_or_b32 exec_lo, exec_lo, s13
	s_delay_alu instid0(VALU_DEP_2) | instskip(NEXT) | instid1(VALU_DEP_2)
	v_lshrrev_b64 v[0:1], 21, v[0:1]
	v_cmp_gt_i32_e32 vcc_lo, 32, v4
	v_min_i32_e32 v5, 31, v4
	v_cmp_eq_u32_e64 s13, 0, v4
	s_delay_alu instid0(VALU_DEP_4) | instskip(NEXT) | instid1(VALU_DEP_3)
	v_cndmask_b32_e32 v1, 0, v1, vcc_lo
	v_dual_cndmask_b32 v0, 3, v0 :: v_dual_lshlrev_b32 v5, 2, v5
	s_delay_alu instid0(VALU_DEP_1) | instskip(NEXT) | instid1(VALU_DEP_2)
	v_and_b32_e32 v5, 0xfc, v5
	v_cmp_eq_u64_e32 vcc_lo, 0, v[0:1]
	s_delay_alu instid0(VALU_DEP_2)
	v_and_or_b32 v0, v0, 3, v5
	s_and_b32 s13, s13, vcc_lo
	s_delay_alu instid0(VALU_DEP_1) | instid1(SALU_CYCLE_1)
	v_cndmask_b32_e64 v0, v0, 0, s13
	s_delay_alu instid0(VALU_DEP_1)
	v_or_b32_e32 v113, v0, v114
.LBB6_2827:                             ;   in Loop: Header=BB6_357 Depth=4
	s_or_b32 exec_lo, exec_lo, s73
                                        ; implicit-def: $vgpr114
.LBB6_2828:                             ;   in Loop: Header=BB6_357 Depth=4
	s_and_not1_saveexec_b32 s13, s72
; %bb.2829:                             ;   in Loop: Header=BB6_357 Depth=4
	v_or_b32_e32 v113, 0x7b, v114
; %bb.2830:                             ;   in Loop: Header=BB6_357 Depth=4
	s_or_b32 exec_lo, exec_lo, s13
                                        ; implicit-def: $vgpr0
                                        ; implicit-def: $vgpr1
.LBB6_2831:                             ;   in Loop: Header=BB6_357 Depth=4
	s_and_not1_saveexec_b32 s13, s63
	s_cbranch_execz .LBB6_2837
; %bb.2832:                             ;   in Loop: Header=BB6_357 Depth=4
	s_mov_b32 s63, exec_lo
                                        ; implicit-def: $vgpr113
	v_cmpx_ne_u64_e32 0, v[20:21]
	s_xor_b32 s63, exec_lo, s63
; %bb.2833:                             ;   in Loop: Header=BB6_357 Depth=4
	v_or_b32_e32 v113, 0x7f, v1
                                        ; implicit-def: $vgpr0
; %bb.2834:                             ;   in Loop: Header=BB6_357 Depth=4
	s_and_not1_saveexec_b32 s63, s63
; %bb.2835:                             ;   in Loop: Header=BB6_357 Depth=4
	v_cmp_lt_i32_e32 vcc_lo, -1, v0
	v_mov_b32_e32 v0, 0x7c
	s_delay_alu instid0(VALU_DEP_1)
	v_cndmask_b32_e32 v113, 0xfc, v0, vcc_lo
; %bb.2836:                             ;   in Loop: Header=BB6_357 Depth=4
	s_or_b32 exec_lo, exec_lo, s63
.LBB6_2837:                             ;   in Loop: Header=BB6_357 Depth=4
	s_delay_alu instid0(SALU_CYCLE_1) | instskip(SKIP_3) | instid1(VALU_DEP_2)
	s_or_b32 exec_lo, exec_lo, s13
	v_dual_mov_b32 v1, 0 :: v_dual_lshrrev_b32 v0, 16, v3
	v_mov_b32_e32 v4, 0
	s_mov_b32 s63, exec_lo
	v_and_b32_e32 v5, 0xff, v0
	s_delay_alu instid0(VALU_DEP_1)
	v_cmpx_ne_u16_e32 0, v5
	s_cbranch_execz .LBB6_2847
; %bb.2838:                             ;   in Loop: Header=BB6_357 Depth=4
	v_bfrev_b32_e32 v4, 1
	s_mov_b32 s72, exec_lo
	v_cmpx_ne_u16_e32 0x80, v5
	s_cbranch_execz .LBB6_2846
; %bb.2839:                             ;   in Loop: Header=BB6_357 Depth=4
	v_and_b32_e32 v4, 0x7c0000, v3
	v_bfe_u32 v5, v3, 16, 2
	s_delay_alu instid0(VALU_DEP_2) | instskip(SKIP_1) | instid1(SALU_CYCLE_1)
	v_cmp_ne_u32_e32 vcc_lo, 0x7c0000, v4
                                        ; implicit-def: $vgpr4
	s_and_saveexec_b32 s13, vcc_lo
	s_xor_b32 s13, exec_lo, s13
	s_cbranch_execz .LBB6_2843
; %bb.2840:                             ;   in Loop: Header=BB6_357 Depth=4
	v_bfe_u32 v4, v3, 18, 5
	s_mov_b32 s73, exec_lo
	s_delay_alu instid0(VALU_DEP_1)
	v_cmpx_eq_u32_e32 0, v4
; %bb.2841:                             ;   in Loop: Header=BB6_357 Depth=4
	v_clz_i32_u32_e32 v4, v5
	s_delay_alu instid0(VALU_DEP_1) | instskip(NEXT) | instid1(VALU_DEP_1)
	v_min_u32_e32 v4, 32, v4
	v_subrev_nc_u32_e32 v5, 29, v4
	s_delay_alu instid0(VALU_DEP_1) | instskip(NEXT) | instid1(VALU_DEP_1)
	v_lshlrev_b64_e32 v[114:115], v5, v[0:1]
	v_dual_sub_nc_u32 v4, 30, v4 :: v_dual_bitop2_b32 v5, 3, v114 bitop3:0x40
; %bb.2842:                             ;   in Loop: Header=BB6_357 Depth=4
	s_or_b32 exec_lo, exec_lo, s73
	v_lshlrev_b32_e32 v0, 24, v0
	s_delay_alu instid0(VALU_DEP_1) | instskip(NEXT) | instid1(VALU_DEP_1)
	v_and_b32_e32 v0, 0x80000000, v0
	v_lshl_add_u32 v0, v4, 23, v0
	s_delay_alu instid0(VALU_DEP_1) | instskip(NEXT) | instid1(VALU_DEP_1)
	v_lshl_or_b32 v0, v5, 21, v0
                                        ; implicit-def: $vgpr5
	v_add_nc_u32_e32 v4, 0x38000000, v0
                                        ; implicit-def: $vgpr0
.LBB6_2843:                             ;   in Loop: Header=BB6_357 Depth=4
	s_and_not1_saveexec_b32 s73, s13
; %bb.2844:                             ;   in Loop: Header=BB6_357 Depth=4
	v_bfe_i32 v0, v0, 0, 8
	v_cmp_eq_u32_e32 vcc_lo, 0, v5
	s_delay_alu instid0(VALU_DEP_2) | instskip(SKIP_1) | instid1(VALU_DEP_1)
	v_cmp_lt_i16_e64 s13, -1, v0
	v_mov_b32_e32 v0, 0x7f800000
	v_cndmask_b32_e64 v0, 0xff800000, v0, s13
	s_delay_alu instid0(VALU_DEP_1)
	v_cndmask_b32_e32 v4, 0x7f800001, v0, vcc_lo
; %bb.2845:                             ;   in Loop: Header=BB6_357 Depth=4
	s_or_b32 exec_lo, exec_lo, s73
.LBB6_2846:                             ;   in Loop: Header=BB6_357 Depth=4
	s_delay_alu instid0(SALU_CYCLE_1)
	s_or_b32 exec_lo, exec_lo, s72
.LBB6_2847:                             ;   in Loop: Header=BB6_357 Depth=4
	s_delay_alu instid0(SALU_CYCLE_1) | instskip(SKIP_2) | instid1(VALU_DEP_1)
	s_or_b32 exec_lo, exec_lo, s63
	v_lshrrev_b32_e32 v0, 16, v11
	s_mov_b32 s63, exec_lo
	v_and_b32_e32 v5, 0xff, v0
	s_delay_alu instid0(VALU_DEP_1)
	v_cmpx_ne_u16_e32 0, v5
	s_cbranch_execz .LBB6_2857
; %bb.2848:                             ;   in Loop: Header=BB6_357 Depth=4
	v_bfrev_b32_e32 v1, 1
	s_mov_b32 s72, exec_lo
	v_cmpx_ne_u16_e32 0x80, v5
	s_cbranch_execz .LBB6_2856
; %bb.2849:                             ;   in Loop: Header=BB6_357 Depth=4
	v_and_b32_e32 v1, 0x7c0000, v11
	v_bfe_u32 v5, v11, 16, 2
	s_delay_alu instid0(VALU_DEP_2) | instskip(SKIP_1) | instid1(SALU_CYCLE_1)
	v_cmp_ne_u32_e32 vcc_lo, 0x7c0000, v1
                                        ; implicit-def: $vgpr1
	s_and_saveexec_b32 s13, vcc_lo
	s_xor_b32 s13, exec_lo, s13
	s_cbranch_execz .LBB6_2853
; %bb.2850:                             ;   in Loop: Header=BB6_357 Depth=4
	v_bfe_u32 v1, v11, 18, 5
	s_mov_b32 s73, exec_lo
	s_delay_alu instid0(VALU_DEP_1)
	v_cmpx_eq_u32_e32 0, v1
; %bb.2851:                             ;   in Loop: Header=BB6_357 Depth=4
	v_clz_i32_u32_e32 v1, v5
	s_delay_alu instid0(VALU_DEP_1) | instskip(NEXT) | instid1(VALU_DEP_1)
	v_min_u32_e32 v1, 32, v1
	v_subrev_nc_u32_e32 v5, 29, v1
	s_delay_alu instid0(VALU_DEP_1) | instskip(NEXT) | instid1(VALU_DEP_1)
	v_lshlrev_b64_e32 v[114:115], v5, v[0:1]
	v_dual_sub_nc_u32 v1, 30, v1 :: v_dual_bitop2_b32 v5, 3, v114 bitop3:0x40
; %bb.2852:                             ;   in Loop: Header=BB6_357 Depth=4
	s_or_b32 exec_lo, exec_lo, s73
	v_lshlrev_b32_e32 v0, 24, v0
	s_delay_alu instid0(VALU_DEP_1) | instskip(NEXT) | instid1(VALU_DEP_1)
	v_and_b32_e32 v0, 0x80000000, v0
	v_lshl_add_u32 v0, v1, 23, v0
	s_delay_alu instid0(VALU_DEP_1) | instskip(NEXT) | instid1(VALU_DEP_1)
	v_lshl_or_b32 v0, v5, 21, v0
                                        ; implicit-def: $vgpr5
	v_add_nc_u32_e32 v1, 0x38000000, v0
                                        ; implicit-def: $vgpr0
.LBB6_2853:                             ;   in Loop: Header=BB6_357 Depth=4
	s_and_not1_saveexec_b32 s73, s13
; %bb.2854:                             ;   in Loop: Header=BB6_357 Depth=4
	v_bfe_i32 v0, v0, 0, 8
	v_cmp_eq_u32_e32 vcc_lo, 0, v5
	s_delay_alu instid0(VALU_DEP_2) | instskip(SKIP_1) | instid1(VALU_DEP_1)
	v_cmp_lt_i16_e64 s13, -1, v0
	v_mov_b32_e32 v0, 0x7f800000
	v_cndmask_b32_e64 v0, 0xff800000, v0, s13
	s_delay_alu instid0(VALU_DEP_1)
	v_cndmask_b32_e32 v1, 0x7f800001, v0, vcc_lo
; %bb.2855:                             ;   in Loop: Header=BB6_357 Depth=4
	s_or_b32 exec_lo, exec_lo, s73
.LBB6_2856:                             ;   in Loop: Header=BB6_357 Depth=4
	s_delay_alu instid0(SALU_CYCLE_1)
	s_or_b32 exec_lo, exec_lo, s72
.LBB6_2857:                             ;   in Loop: Header=BB6_357 Depth=4
	s_delay_alu instid0(SALU_CYCLE_1) | instskip(NEXT) | instid1(VALU_DEP_1)
	s_or_b32 exec_lo, exec_lo, s63
	v_dual_mul_f32 v0, v4, v1 :: v_dual_mov_b32 v5, v21
	s_delay_alu instid0(VALU_DEP_1) | instskip(SKIP_2) | instid1(VALU_DEP_3)
	v_and_b32_e32 v4, 0x7f800000, v0
	v_and_b32_e32 v20, 0x7fffff, v0
	v_lshrrev_b32_e32 v1, 24, v0
	v_cmp_ne_u64_e32 vcc_lo, 0x7f800000, v[4:5]
                                        ; implicit-def: $vgpr4
	s_and_saveexec_b32 s13, vcc_lo
	s_delay_alu instid0(SALU_CYCLE_1)
	s_xor_b32 s63, exec_lo, s13
	s_cbranch_execz .LBB6_2871
; %bb.2858:                             ;   in Loop: Header=BB6_357 Depth=4
	v_and_b32_e32 v4, 0x7fffffff, v0
	v_mov_b32_e32 v5, v21
	v_and_b32_e32 v114, 0x80, v1
	s_delay_alu instid0(VALU_DEP_2) | instskip(SKIP_1) | instid1(SALU_CYCLE_1)
	v_cmp_gt_u64_e32 vcc_lo, 0x47600001, v[4:5]
                                        ; implicit-def: $vgpr4
	s_and_saveexec_b32 s13, vcc_lo
	s_xor_b32 s72, exec_lo, s13
	s_cbranch_execz .LBB6_2868
; %bb.2859:                             ;   in Loop: Header=BB6_357 Depth=4
	v_mov_b32_e32 v4, 0
	s_mov_b32 s73, exec_lo
	v_cmpx_ne_u32_e32 0, v0
	s_cbranch_execz .LBB6_2867
; %bb.2860:                             ;   in Loop: Header=BB6_357 Depth=4
	v_bfe_u32 v115, v0, 23, 8
	v_or_b32_e32 v1, 0x800000, v20
	s_delay_alu instid0(VALU_DEP_2) | instskip(SKIP_2) | instid1(VALU_DEP_2)
	v_cmp_gt_u32_e64 s13, 0x72, v115
	v_sub_nc_u32_e32 v0, 0x71, v115
	v_cmp_eq_u32_e32 vcc_lo, 0, v115
	v_cndmask_b32_e64 v0, 0, v0, s13
	s_delay_alu instid0(VALU_DEP_1) | instskip(SKIP_1) | instid1(VALU_DEP_2)
	v_cndmask_b32_e64 v116, v0, 0x70, vcc_lo
	v_cndmask_b32_e32 v0, v1, v20, vcc_lo
	v_dual_mov_b32 v1, v21 :: v_dual_add_nc_u32 v4, 21, v116
	v_add_nc_u32_e32 v20, 20, v116
	s_delay_alu instid0(VALU_DEP_2) | instskip(NEXT) | instid1(VALU_DEP_2)
	v_lshlrev_b64_e64 v[4:5], v4, -1
	v_lshlrev_b64_e64 v[118:119], v20, 1
	s_delay_alu instid0(VALU_DEP_2) | instskip(SKIP_1) | instid1(VALU_DEP_4)
	v_bfi_b32 v4, v4, 0, v0
	v_lshrrev_b64 v[0:1], v116, v[0:1]
	v_bfi_b32 v5, v5, 0, 0
	s_delay_alu instid0(VALU_DEP_1) | instskip(NEXT) | instid1(VALU_DEP_3)
	v_cmp_eq_u64_e64 s13, v[4:5], v[118:119]
	v_mov_b64_e32 v[4:5], v[0:1]
	s_and_saveexec_b32 s74, s13
; %bb.2861:                             ;   in Loop: Header=BB6_357 Depth=4
	v_bfe_u32 v4, v0, 21, 1
	v_mov_b32_e32 v5, v21
	s_delay_alu instid0(VALU_DEP_1) | instskip(NEXT) | instid1(VALU_DEP_1)
	v_add_nc_u64_e32 v[4:5], v[0:1], v[4:5]
	v_add_nc_u64_e32 v[4:5], -1, v[4:5]
; %bb.2862:                             ;   in Loop: Header=BB6_357 Depth=4
	s_or_b32 exec_lo, exec_lo, s74
	v_add_nc_u32_e32 v1, 0xffffff81, v115
	v_lshrrev_b32_e32 v5, 23, v0
	s_mov_b32 s13, exec_lo
	s_delay_alu instid0(VALU_DEP_2) | instskip(NEXT) | instid1(VALU_DEP_1)
	v_cndmask_b32_e64 v1, v1, 0xffffff82, vcc_lo
	v_add3_u32 v115, v116, v1, v5
	v_and_b32_e32 v1, 0x1fffff, v4
                                        ; implicit-def: $vgpr4
	s_delay_alu instid0(VALU_DEP_1) | instskip(NEXT) | instid1(VALU_DEP_1)
	v_dual_add_nc_u32 v5, 14, v115 :: v_dual_add_nc_u32 v20, v1, v0
                                        ; implicit-def: $vgpr0_vgpr1
	v_cmpx_ne_u32_e32 0, v5
	s_xor_b32 s13, exec_lo, s13
; %bb.2863:                             ;   in Loop: Header=BB6_357 Depth=4
	s_delay_alu instid0(VALU_DEP_2) | instskip(SKIP_1) | instid1(VALU_DEP_1)
	v_cmp_lt_u64_e32 vcc_lo, 0xffffff, v[20:21]
	v_add_nc_u32_e32 v0, 15, v115
	v_cndmask_b32_e32 v4, v5, v0, vcc_lo
	v_cndmask_b32_e64 v0, 0, 1, vcc_lo
	s_delay_alu instid0(VALU_DEP_1)
	v_lshrrev_b64 v[0:1], v0, v[20:21]
; %bb.2864:                             ;   in Loop: Header=BB6_357 Depth=4
	s_and_not1_saveexec_b32 s13, s13
; %bb.2865:                             ;   in Loop: Header=BB6_357 Depth=4
	v_mov_b64_e32 v[0:1], v[20:21]
	v_bfe_u32 v4, v20, 23, 1
; %bb.2866:                             ;   in Loop: Header=BB6_357 Depth=4
	s_or_b32 exec_lo, exec_lo, s13
	s_delay_alu instid0(VALU_DEP_2) | instskip(NEXT) | instid1(VALU_DEP_2)
	v_lshrrev_b64 v[0:1], 21, v[0:1]
	v_cmp_gt_i32_e32 vcc_lo, 32, v4
	v_min_i32_e32 v5, 31, v4
	v_cmp_eq_u32_e64 s13, 0, v4
	s_delay_alu instid0(VALU_DEP_4) | instskip(NEXT) | instid1(VALU_DEP_3)
	v_cndmask_b32_e32 v1, 0, v1, vcc_lo
	v_dual_cndmask_b32 v0, 3, v0 :: v_dual_lshlrev_b32 v5, 2, v5
	s_delay_alu instid0(VALU_DEP_1) | instskip(NEXT) | instid1(VALU_DEP_2)
	v_and_b32_e32 v5, 0xfc, v5
	v_cmp_eq_u64_e32 vcc_lo, 0, v[0:1]
	s_delay_alu instid0(VALU_DEP_2)
	v_and_or_b32 v0, v0, 3, v5
	s_and_b32 s13, s13, vcc_lo
	s_delay_alu instid0(VALU_DEP_1) | instid1(SALU_CYCLE_1)
	v_cndmask_b32_e64 v0, v0, 0, s13
	s_delay_alu instid0(VALU_DEP_1)
	v_or_b32_e32 v4, v0, v114
.LBB6_2867:                             ;   in Loop: Header=BB6_357 Depth=4
	s_or_b32 exec_lo, exec_lo, s73
                                        ; implicit-def: $vgpr114
.LBB6_2868:                             ;   in Loop: Header=BB6_357 Depth=4
	s_and_not1_saveexec_b32 s13, s72
; %bb.2869:                             ;   in Loop: Header=BB6_357 Depth=4
	v_or_b32_e32 v4, 0x7b, v114
; %bb.2870:                             ;   in Loop: Header=BB6_357 Depth=4
	s_or_b32 exec_lo, exec_lo, s13
                                        ; implicit-def: $vgpr0
                                        ; implicit-def: $vgpr1
.LBB6_2871:                             ;   in Loop: Header=BB6_357 Depth=4
	s_and_not1_saveexec_b32 s13, s63
	s_cbranch_execz .LBB6_2877
; %bb.2872:                             ;   in Loop: Header=BB6_357 Depth=4
	s_mov_b32 s63, exec_lo
                                        ; implicit-def: $vgpr4
	v_cmpx_ne_u64_e32 0, v[20:21]
	s_xor_b32 s63, exec_lo, s63
; %bb.2873:                             ;   in Loop: Header=BB6_357 Depth=4
	v_or_b32_e32 v4, 0x7f, v1
                                        ; implicit-def: $vgpr0
; %bb.2874:                             ;   in Loop: Header=BB6_357 Depth=4
	s_and_not1_saveexec_b32 s63, s63
; %bb.2875:                             ;   in Loop: Header=BB6_357 Depth=4
	v_cmp_lt_i32_e32 vcc_lo, -1, v0
	v_mov_b32_e32 v0, 0x7c
	s_delay_alu instid0(VALU_DEP_1)
	v_cndmask_b32_e32 v4, 0xfc, v0, vcc_lo
; %bb.2876:                             ;   in Loop: Header=BB6_357 Depth=4
	s_or_b32 exec_lo, exec_lo, s63
.LBB6_2877:                             ;   in Loop: Header=BB6_357 Depth=4
	s_delay_alu instid0(SALU_CYCLE_1)
	s_or_b32 exec_lo, exec_lo, s13
	v_dual_mov_b32 v1, 0 :: v_dual_mov_b32 v5, 0
	s_mov_b32 s63, exec_lo
	v_cmpx_lt_u64_e64 s[22:23], v[2:3]
	s_cbranch_execz .LBB6_2887
; %bb.2878:                             ;   in Loop: Header=BB6_357 Depth=4
	v_lshrrev_b32_e32 v0, 24, v3
	v_bfrev_b32_e32 v5, 1
	s_mov_b32 s72, exec_lo
	s_delay_alu instid0(VALU_DEP_2)
	v_cmpx_ne_u32_e32 0x80, v0
	s_cbranch_execz .LBB6_2886
; %bb.2879:                             ;   in Loop: Header=BB6_357 Depth=4
	v_and_b32_e32 v5, 0x7c000000, v3
	v_bfe_u32 v20, v3, 24, 2
	s_delay_alu instid0(VALU_DEP_2) | instskip(SKIP_1) | instid1(SALU_CYCLE_1)
	v_cmp_ne_u32_e32 vcc_lo, 0x7c000000, v5
                                        ; implicit-def: $vgpr5
	s_and_saveexec_b32 s13, vcc_lo
	s_xor_b32 s13, exec_lo, s13
	s_cbranch_execz .LBB6_2883
; %bb.2880:                             ;   in Loop: Header=BB6_357 Depth=4
	v_bfe_u32 v2, v3, 26, 5
	s_mov_b32 s73, exec_lo
	s_delay_alu instid0(VALU_DEP_1)
	v_cmpx_eq_u32_e32 0, v2
; %bb.2881:                             ;   in Loop: Header=BB6_357 Depth=4
	v_clz_i32_u32_e32 v2, v20
	s_delay_alu instid0(VALU_DEP_1) | instskip(NEXT) | instid1(VALU_DEP_1)
	v_min_u32_e32 v2, 32, v2
	v_subrev_nc_u32_e32 v5, 29, v2
	v_sub_nc_u32_e32 v2, 30, v2
	s_delay_alu instid0(VALU_DEP_2) | instskip(NEXT) | instid1(VALU_DEP_1)
	v_lshlrev_b64_e32 v[114:115], v5, v[0:1]
	v_and_b32_e32 v20, 3, v114
; %bb.2882:                             ;   in Loop: Header=BB6_357 Depth=4
	s_or_b32 exec_lo, exec_lo, s73
	v_and_b32_e32 v0, 0x80000000, v3
	s_delay_alu instid0(VALU_DEP_1) | instskip(NEXT) | instid1(VALU_DEP_1)
	v_lshl_add_u32 v0, v2, 23, v0
                                        ; implicit-def: $vgpr2_vgpr3
	v_lshl_or_b32 v0, v20, 21, v0
                                        ; implicit-def: $vgpr20
	s_delay_alu instid0(VALU_DEP_1)
	v_add_nc_u32_e32 v5, 0x38000000, v0
.LBB6_2883:                             ;   in Loop: Header=BB6_357 Depth=4
	s_and_not1_saveexec_b32 s73, s13
; %bb.2884:                             ;   in Loop: Header=BB6_357 Depth=4
	v_cmp_lt_i64_e64 s13, -1, v[2:3]
	v_mov_b32_e32 v0, 0x7f800000
	v_cmp_eq_u32_e32 vcc_lo, 0, v20
	s_delay_alu instid0(VALU_DEP_2) | instskip(NEXT) | instid1(VALU_DEP_1)
	v_cndmask_b32_e64 v0, 0xff800000, v0, s13
	v_cndmask_b32_e32 v5, 0x7f800001, v0, vcc_lo
; %bb.2885:                             ;   in Loop: Header=BB6_357 Depth=4
	s_or_b32 exec_lo, exec_lo, s73
.LBB6_2886:                             ;   in Loop: Header=BB6_357 Depth=4
	s_delay_alu instid0(SALU_CYCLE_1)
	s_or_b32 exec_lo, exec_lo, s72
.LBB6_2887:                             ;   in Loop: Header=BB6_357 Depth=4
	s_delay_alu instid0(SALU_CYCLE_1) | instskip(NEXT) | instid1(SALU_CYCLE_1)
	s_or_b32 exec_lo, exec_lo, s63
	s_mov_b32 s63, exec_lo
	v_cmpx_lt_u64_e64 s[22:23], v[10:11]
	s_cbranch_execz .LBB6_2897
; %bb.2888:                             ;   in Loop: Header=BB6_357 Depth=4
	v_lshrrev_b32_e32 v0, 24, v11
	v_bfrev_b32_e32 v1, 1
	s_mov_b32 s72, exec_lo
	s_delay_alu instid0(VALU_DEP_2)
	v_cmpx_ne_u32_e32 0x80, v0
	s_cbranch_execz .LBB6_2896
; %bb.2889:                             ;   in Loop: Header=BB6_357 Depth=4
	v_and_b32_e32 v1, 0x7c000000, v11
	v_bfe_u32 v2, v11, 24, 2
	s_delay_alu instid0(VALU_DEP_2) | instskip(SKIP_1) | instid1(SALU_CYCLE_1)
	v_cmp_ne_u32_e32 vcc_lo, 0x7c000000, v1
                                        ; implicit-def: $vgpr1
	s_and_saveexec_b32 s13, vcc_lo
	s_xor_b32 s13, exec_lo, s13
	s_cbranch_execz .LBB6_2893
; %bb.2890:                             ;   in Loop: Header=BB6_357 Depth=4
	v_bfe_u32 v1, v11, 26, 5
	s_mov_b32 s73, exec_lo
	s_delay_alu instid0(VALU_DEP_1)
	v_cmpx_eq_u32_e32 0, v1
; %bb.2891:                             ;   in Loop: Header=BB6_357 Depth=4
	v_clz_i32_u32_e32 v1, v2
	s_delay_alu instid0(VALU_DEP_1) | instskip(NEXT) | instid1(VALU_DEP_1)
	v_min_u32_e32 v2, 32, v1
	v_subrev_nc_u32_e32 v1, 29, v2
	s_delay_alu instid0(VALU_DEP_1) | instskip(NEXT) | instid1(VALU_DEP_1)
	v_lshlrev_b64_e32 v[0:1], v1, v[0:1]
	v_dual_sub_nc_u32 v1, 30, v2 :: v_dual_bitop2_b32 v2, 3, v0 bitop3:0x40
; %bb.2892:                             ;   in Loop: Header=BB6_357 Depth=4
	s_or_b32 exec_lo, exec_lo, s73
	v_and_b32_e32 v0, 0x80000000, v11
                                        ; implicit-def: $vgpr10_vgpr11
	s_delay_alu instid0(VALU_DEP_1) | instskip(NEXT) | instid1(VALU_DEP_1)
	v_lshl_add_u32 v0, v1, 23, v0
	v_lshl_or_b32 v0, v2, 21, v0
                                        ; implicit-def: $vgpr2
	s_delay_alu instid0(VALU_DEP_1)
	v_add_nc_u32_e32 v1, 0x38000000, v0
.LBB6_2893:                             ;   in Loop: Header=BB6_357 Depth=4
	s_and_not1_saveexec_b32 s73, s13
; %bb.2894:                             ;   in Loop: Header=BB6_357 Depth=4
	v_cmp_lt_i64_e64 s13, -1, v[10:11]
	v_mov_b32_e32 v0, 0x7f800000
	v_cmp_eq_u32_e32 vcc_lo, 0, v2
	s_delay_alu instid0(VALU_DEP_2) | instskip(NEXT) | instid1(VALU_DEP_1)
	v_cndmask_b32_e64 v0, 0xff800000, v0, s13
	v_cndmask_b32_e32 v1, 0x7f800001, v0, vcc_lo
; %bb.2895:                             ;   in Loop: Header=BB6_357 Depth=4
	s_or_b32 exec_lo, exec_lo, s73
.LBB6_2896:                             ;   in Loop: Header=BB6_357 Depth=4
	s_delay_alu instid0(SALU_CYCLE_1)
	s_or_b32 exec_lo, exec_lo, s72
.LBB6_2897:                             ;   in Loop: Header=BB6_357 Depth=4
	s_delay_alu instid0(SALU_CYCLE_1) | instskip(NEXT) | instid1(VALU_DEP_1)
	s_or_b32 exec_lo, exec_lo, s63
	v_mul_f32_e32 v1, v5, v1
	v_mov_b32_e32 v3, v21
                                        ; implicit-def: $vgpr0
	s_delay_alu instid0(VALU_DEP_2) | instskip(SKIP_1) | instid1(VALU_DEP_2)
	v_and_b32_e32 v2, 0x7f800000, v1
	v_and_b32_e32 v20, 0x7fffff, v1
	v_cmp_ne_u64_e32 vcc_lo, 0x7f800000, v[2:3]
	v_lshrrev_b32_e32 v2, 24, v1
	s_and_saveexec_b32 s13, vcc_lo
	s_delay_alu instid0(SALU_CYCLE_1)
	s_xor_b32 s63, exec_lo, s13
	s_cbranch_execz .LBB6_2911
; %bb.2898:                             ;   in Loop: Header=BB6_357 Depth=4
	v_and_b32_e32 v10, 0x7fffffff, v1
	v_mov_b32_e32 v11, v21
	v_and_b32_e32 v5, 0x80, v2
                                        ; implicit-def: $vgpr0
	s_mov_b32 s13, exec_lo
	s_delay_alu instid0(VALU_DEP_2)
	v_cmpx_gt_u64_e32 0x47600001, v[10:11]
	s_xor_b32 s72, exec_lo, s13
	s_cbranch_execz .LBB6_2908
; %bb.2899:                             ;   in Loop: Header=BB6_357 Depth=4
	v_mov_b32_e32 v0, 0
	s_mov_b32 s73, exec_lo
	v_cmpx_ne_u32_e32 0, v1
	s_cbranch_execz .LBB6_2907
; %bb.2900:                             ;   in Loop: Header=BB6_357 Depth=4
	v_bfe_u32 v10, v1, 23, 8
	v_or_b32_e32 v1, 0x800000, v20
	s_delay_alu instid0(VALU_DEP_2) | instskip(SKIP_2) | instid1(VALU_DEP_2)
	v_cmp_gt_u32_e64 s13, 0x72, v10
	v_sub_nc_u32_e32 v0, 0x71, v10
	v_cmp_eq_u32_e32 vcc_lo, 0, v10
	v_cndmask_b32_e64 v0, 0, v0, s13
	s_delay_alu instid0(VALU_DEP_1) | instskip(SKIP_1) | instid1(VALU_DEP_2)
	v_cndmask_b32_e64 v11, v0, 0x70, vcc_lo
	v_cndmask_b32_e32 v0, v1, v20, vcc_lo
	v_dual_mov_b32 v1, v21 :: v_dual_add_nc_u32 v2, 21, v11
	v_add_nc_u32_e32 v20, 20, v11
	s_delay_alu instid0(VALU_DEP_2) | instskip(NEXT) | instid1(VALU_DEP_2)
	v_lshlrev_b64_e64 v[2:3], v2, -1
	v_lshlrev_b64_e64 v[114:115], v20, 1
	s_delay_alu instid0(VALU_DEP_2) | instskip(SKIP_1) | instid1(VALU_DEP_4)
	v_bfi_b32 v2, v2, 0, v0
	v_lshrrev_b64 v[0:1], v11, v[0:1]
	v_bfi_b32 v3, v3, 0, 0
	s_delay_alu instid0(VALU_DEP_1) | instskip(NEXT) | instid1(VALU_DEP_3)
	v_cmp_eq_u64_e64 s13, v[2:3], v[114:115]
	v_mov_b64_e32 v[2:3], v[0:1]
	s_and_saveexec_b32 s74, s13
; %bb.2901:                             ;   in Loop: Header=BB6_357 Depth=4
	v_bfe_u32 v2, v0, 21, 1
	v_mov_b32_e32 v3, v21
	s_delay_alu instid0(VALU_DEP_1) | instskip(NEXT) | instid1(VALU_DEP_1)
	v_add_nc_u64_e32 v[2:3], v[0:1], v[2:3]
	v_add_nc_u64_e32 v[2:3], -1, v[2:3]
; %bb.2902:                             ;   in Loop: Header=BB6_357 Depth=4
	s_or_b32 exec_lo, exec_lo, s74
	v_add_nc_u32_e32 v1, 0xffffff81, v10
	v_lshrrev_b32_e32 v3, 23, v0
	s_mov_b32 s13, exec_lo
	s_delay_alu instid0(VALU_DEP_2) | instskip(NEXT) | instid1(VALU_DEP_1)
	v_cndmask_b32_e64 v1, v1, 0xffffff82, vcc_lo
	v_add3_u32 v10, v11, v1, v3
	v_and_b32_e32 v1, 0x1fffff, v2
                                        ; implicit-def: $vgpr2
	s_delay_alu instid0(VALU_DEP_1) | instskip(NEXT) | instid1(VALU_DEP_1)
	v_dual_add_nc_u32 v3, 14, v10 :: v_dual_add_nc_u32 v20, v1, v0
                                        ; implicit-def: $vgpr0_vgpr1
	v_cmpx_ne_u32_e32 0, v3
	s_xor_b32 s13, exec_lo, s13
; %bb.2903:                             ;   in Loop: Header=BB6_357 Depth=4
	s_delay_alu instid0(VALU_DEP_2) | instskip(SKIP_1) | instid1(VALU_DEP_1)
	v_cmp_lt_u64_e32 vcc_lo, 0xffffff, v[20:21]
	v_add_nc_u32_e32 v0, 15, v10
	v_cndmask_b32_e32 v2, v3, v0, vcc_lo
	v_cndmask_b32_e64 v0, 0, 1, vcc_lo
	s_delay_alu instid0(VALU_DEP_1)
	v_lshrrev_b64 v[0:1], v0, v[20:21]
; %bb.2904:                             ;   in Loop: Header=BB6_357 Depth=4
	s_and_not1_saveexec_b32 s13, s13
; %bb.2905:                             ;   in Loop: Header=BB6_357 Depth=4
	v_mov_b64_e32 v[0:1], v[20:21]
	v_bfe_u32 v2, v20, 23, 1
; %bb.2906:                             ;   in Loop: Header=BB6_357 Depth=4
	s_or_b32 exec_lo, exec_lo, s13
	s_delay_alu instid0(VALU_DEP_2) | instskip(NEXT) | instid1(VALU_DEP_2)
	v_lshrrev_b64 v[0:1], 21, v[0:1]
	v_cmp_gt_i32_e32 vcc_lo, 32, v2
	v_min_i32_e32 v3, 31, v2
	v_cmp_eq_u32_e64 s13, 0, v2
	s_delay_alu instid0(VALU_DEP_2) | instskip(SKIP_1) | instid1(VALU_DEP_2)
	v_dual_cndmask_b32 v1, 0, v1, vcc_lo :: v_dual_lshlrev_b32 v3, 2, v3
	v_cndmask_b32_e32 v0, 3, v0, vcc_lo
	v_and_b32_e32 v3, 0xfc, v3
	s_delay_alu instid0(VALU_DEP_2) | instskip(NEXT) | instid1(VALU_DEP_2)
	v_cmp_eq_u64_e32 vcc_lo, 0, v[0:1]
	v_and_or_b32 v0, v0, 3, v3
	s_and_b32 s13, s13, vcc_lo
	s_delay_alu instid0(VALU_DEP_1) | instid1(SALU_CYCLE_1)
	v_cndmask_b32_e64 v0, v0, 0, s13
	s_delay_alu instid0(VALU_DEP_1)
	v_or_b32_e32 v0, v0, v5
.LBB6_2907:                             ;   in Loop: Header=BB6_357 Depth=4
	s_or_b32 exec_lo, exec_lo, s73
                                        ; implicit-def: $vgpr5
.LBB6_2908:                             ;   in Loop: Header=BB6_357 Depth=4
	s_and_not1_saveexec_b32 s13, s72
; %bb.2909:                             ;   in Loop: Header=BB6_357 Depth=4
	v_or_b32_e32 v0, 0x7b, v5
; %bb.2910:                             ;   in Loop: Header=BB6_357 Depth=4
	s_or_b32 exec_lo, exec_lo, s13
                                        ; implicit-def: $vgpr1
                                        ; implicit-def: $vgpr2
.LBB6_2911:                             ;   in Loop: Header=BB6_357 Depth=4
	s_and_not1_saveexec_b32 s13, s63
	s_cbranch_execz .LBB6_356
; %bb.2912:                             ;   in Loop: Header=BB6_357 Depth=4
	s_mov_b32 s63, exec_lo
                                        ; implicit-def: $vgpr0
	v_cmpx_ne_u64_e32 0, v[20:21]
	s_xor_b32 s63, exec_lo, s63
; %bb.2913:                             ;   in Loop: Header=BB6_357 Depth=4
	v_or_b32_e32 v0, 0x7f, v2
                                        ; implicit-def: $vgpr1
; %bb.2914:                             ;   in Loop: Header=BB6_357 Depth=4
	s_and_not1_saveexec_b32 s63, s63
	s_cbranch_execz .LBB6_355
; %bb.2915:                             ;   in Loop: Header=BB6_357 Depth=4
	v_cmp_lt_i32_e32 vcc_lo, -1, v1
	v_mov_b32_e32 v0, 0x7c
	s_delay_alu instid0(VALU_DEP_1)
	v_cndmask_b32_e32 v0, 0xfc, v0, vcc_lo
	s_branch .LBB6_355
.LBB6_2916:                             ;   in Loop: Header=BB6_274 Depth=3
	s_or_b32 exec_lo, exec_lo, s62
	s_clause 0x5
	scratch_load_b32 v80, off, s33 offset:364
	scratch_load_b128 v[82:85], off, s33 offset:368
	scratch_load_b64 v[86:87], off, s33 offset:384
	scratch_load_b64 v[96:97], off, s33 offset:392
	;; [unrolled: 1-line block ×4, first 2 shown]
	s_wait_loadcnt 0x4
	v_mov_b64_e32 v[84:85], v[42:43]
	v_mov_b64_e32 v[102:103], v[44:45]
	s_clause 0xc
	scratch_load_b64 v[114:115], off, s33 offset:416
	scratch_load_b64 v[42:43], off, s33 offset:348
	;; [unrolled: 1-line block ×8, first 2 shown]
	scratch_load_b32 v41, off, s33 offset:464
	scratch_load_b64 v[74:75], off, s33 offset:468
	scratch_load_b64 v[76:77], off, s33 offset:476
	;; [unrolled: 1-line block ×4, first 2 shown]
	v_mov_b64_e32 v[116:117], 0
	v_mov_b64_e32 v[94:95], v[56:57]
	v_dual_mov_b32 v81, v40 :: v_dual_mov_b32 v118, 1
	v_mov_b32_e32 v119, 0x90
	v_mov_b32_e32 v40, 0x88
.LBB6_2917:                             ;   in Loop: Header=BB6_274 Depth=3
	s_wait_xcnt 0x0
	s_or_b32 exec_lo, exec_lo, s14
	v_dual_mov_b32 v8, 0 :: v_dual_lshlrev_b32 v23, 11, v23
	s_mov_b32 s13, 0
	s_mov_b32 s62, exec_lo
                                        ; implicit-def: $vgpr4
                                        ; implicit-def: $vgpr5
                                        ; implicit-def: $vgpr0
	s_delay_alu instid0(VALU_DEP_1)
	v_cmpx_ne_u32_e64 v107, v23
	s_cbranch_execz .LBB6_3501
; %bb.2918:                             ;   in Loop: Header=BB6_274 Depth=3
	scratch_load_b32 v1, off, s33 offset:492 ; 4-byte Folded Reload
	v_dual_lshlrev_b32 v0, 5, v22 :: v_dual_sub_nc_u32 v2, v107, v23
	s_mov_b32 s63, exec_lo
	s_delay_alu instid0(VALU_DEP_1) | instskip(SKIP_1) | instid1(VALU_DEP_1)
	v_ashrrev_i32_e32 v3, 31, v2
	s_wait_loadcnt 0x0
	v_dual_lshrrev_b32 v3, 23, v3 :: v_dual_sub_nc_u32 v0, v1, v0
	s_delay_alu instid0(VALU_DEP_1) | instskip(NEXT) | instid1(VALU_DEP_1)
	v_ashrrev_i32_e32 v1, 31, v0
	v_lshrrev_b32_e32 v1, 27, v1
	s_delay_alu instid0(VALU_DEP_1) | instskip(NEXT) | instid1(VALU_DEP_1)
	v_add_nc_u32_e32 v1, v0, v1
	v_and_b32_e32 v4, 0xffffffe0, v1
	s_delay_alu instid0(VALU_DEP_1) | instskip(NEXT) | instid1(VALU_DEP_1)
	v_dual_add_nc_u32 v3, v2, v3 :: v_dual_sub_nc_u32 v24, v0, v4
	v_and_b32_e32 v22, 0xfffffe00, v3
	v_dual_ashrrev_i32 v1, 5, v1 :: v_dual_ashrrev_i32 v3, 9, v3
	s_delay_alu instid0(VALU_DEP_2) | instskip(NEXT) | instid1(VALU_DEP_1)
	v_dual_lshlrev_b32 v0, 4, v24 :: v_dual_sub_nc_u32 v25, v2, v22
	v_lshl_add_u32 v0, v1, 9, v0
	s_delay_alu instid0(VALU_DEP_2) | instskip(NEXT) | instid1(VALU_DEP_4)
	v_cmp_lt_i32_e32 vcc_lo, 15, v25
	v_add_co_ci_u32_e64 v3, null, 0, v3, vcc_lo
	s_delay_alu instid0(VALU_DEP_1) | instskip(SKIP_1) | instid1(VALU_DEP_1)
	v_dual_sub_nc_u32 v27, v2, v0 :: v_dual_sub_nc_u32 v26, v3, v1
	s_wait_xcnt 0x0
	v_cmpx_lt_i32_e32 15, v27
	s_cbranch_execz .LBB6_3498
; %bb.2919:                             ;   in Loop: Header=BB6_274 Depth=3
	s_trap 2
	ds_load_b64 v[2:3], v0
	v_add_nc_u32_e32 v0, v0, v23
	s_mov_b32 s72, 0
	s_delay_alu instid0(VALU_DEP_1) | instskip(NEXT) | instid1(VALU_DEP_1)
	v_ashrrev_i32_e32 v1, 31, v0
	v_add_nc_u64_e32 v[4:5], v[0:1], v[88:89]
	v_add_nc_u64_e32 v[14:15], v[0:1], v[90:91]
	s_wait_dscnt 0x0
	v_add_nc_u64_e32 v[6:7], v[2:3], v[0:1]
	s_branch .LBB6_2922
.LBB6_2920:                             ;   in Loop: Header=BB6_2922 Depth=4
	s_or_b32 exec_lo, exec_lo, s73
.LBB6_2921:                             ;   in Loop: Header=BB6_2922 Depth=4
	s_delay_alu instid0(SALU_CYCLE_1)
	s_or_b32 exec_lo, exec_lo, s14
	v_lshl_or_b32 v1, v19, 8, v18
	v_dual_lshlrev_b32 v2, 16, v16 :: v_dual_lshlrev_b32 v3, 24, v17
	v_lshl_or_b32 v9, v29, 8, v28
	v_dual_lshlrev_b32 v10, 16, v30 :: v_dual_lshlrev_b32 v11, 24, v31
	;; [unrolled: 2-line block ×3, first 2 shown]
	v_dual_lshlrev_b32 v19, 24, v0 :: v_dual_sub_nc_u32 v27, v27, v46
	v_lshlrev_b32_e32 v8, 16, v8
	v_lshl_or_b32 v12, v13, 8, v12
	v_or3_b32 v1, v1, v2, v3
	v_or3_b32 v0, v9, v10, v11
	;; [unrolled: 1-line block ×3, first 2 shown]
	v_add_nc_u64_e32 v[4:5], v[4:5], v[46:47]
	v_or3_b32 v3, v12, v8, v19
	v_add_nc_u64_e32 v[6:7], v[6:7], v[46:47]
	v_cmp_gt_i32_e64 s13, 16, v27
	global_store_b128 v[14:15], v[0:3], off th:TH_STORE_NT
	scratch_load_b64 v[0:1], off, s33 offset:188 ; 8-byte Folded Reload
	v_add_nc_u64_e32 v[14:15], v[14:15], v[46:47]
	s_or_b32 s72, s13, s72
	s_wait_loadcnt 0x0
	v_sub_nc_u32_e32 v26, v26, v0
	s_wait_xcnt 0x0
	s_and_not1_b32 exec_lo, exec_lo, s72
	s_cbranch_execz .LBB6_3497
.LBB6_2922:                             ;   Parent Loop BB6_47 Depth=1
                                        ;     Parent Loop BB6_271 Depth=2
                                        ;       Parent Loop BB6_274 Depth=3
                                        ; =>      This Inner Loop Header: Depth=4
	global_load_b128 v[0:3], v[4:5], off th:TH_LOAD_NT
	global_load_b128 v[8:11], v[6:7], off th:TH_LOAD_NT
	s_wait_loadcnt 0x1
	v_and_b32_e32 v12, 0xff, v0
	s_delay_alu instid0(VALU_DEP_1)
	v_cmp_ne_u16_e64 s13, 0, v12
	v_mov_b32_e32 v12, 0
	s_wait_xcnt 0x0
	s_and_saveexec_b32 s14, s13
	s_cbranch_execz .LBB6_2932
; %bb.2923:                             ;   in Loop: Header=BB6_2922 Depth=4
	v_bfe_i32 v16, v0, 0, 8
	v_bfrev_b32_e32 v12, 1
	s_mov_b32 s73, exec_lo
	s_delay_alu instid0(VALU_DEP_2)
	v_cmpx_ne_u16_e32 0xff80, v16
	s_cbranch_execz .LBB6_2931
; %bb.2924:                             ;   in Loop: Header=BB6_2922 Depth=4
	v_and_b32_e32 v12, 0x7c, v0
	v_and_b32_e32 v13, 3, v0
	s_delay_alu instid0(VALU_DEP_2) | instskip(SKIP_1) | instid1(SALU_CYCLE_1)
	v_cmp_ne_u32_e64 s13, 0x7c, v12
                                        ; implicit-def: $vgpr12
	s_and_saveexec_b32 s74, s13
	s_xor_b32 s74, exec_lo, s74
	s_cbranch_execz .LBB6_2928
; %bb.2925:                             ;   in Loop: Header=BB6_2922 Depth=4
	v_bfe_u32 v12, v0, 2, 5
	s_mov_b32 s75, exec_lo
	s_delay_alu instid0(VALU_DEP_1)
	v_cmpx_eq_u32_e32 0, v12
; %bb.2926:                             ;   in Loop: Header=BB6_2922 Depth=4
	v_clz_i32_u32_e32 v12, v13
	s_delay_alu instid0(VALU_DEP_1) | instskip(NEXT) | instid1(VALU_DEP_1)
	v_min_u32_e32 v12, 32, v12
	v_subrev_nc_u32_e32 v13, 29, v12
	v_sub_nc_u32_e32 v12, 30, v12
	s_delay_alu instid0(VALU_DEP_2) | instskip(NEXT) | instid1(VALU_DEP_1)
	v_lshlrev_b64_e32 v[16:17], v13, v[0:1]
	v_and_b32_e32 v13, 3, v16
; %bb.2927:                             ;   in Loop: Header=BB6_2922 Depth=4
	s_or_b32 exec_lo, exec_lo, s75
	v_lshlrev_b32_e32 v16, 24, v0
	s_delay_alu instid0(VALU_DEP_1) | instskip(NEXT) | instid1(VALU_DEP_1)
	v_and_b32_e32 v16, 0x80000000, v16
	v_lshl_add_u32 v12, v12, 23, v16
                                        ; implicit-def: $vgpr16
	s_delay_alu instid0(VALU_DEP_1) | instskip(NEXT) | instid1(VALU_DEP_1)
	v_lshl_or_b32 v12, v13, 21, v12
                                        ; implicit-def: $vgpr13
	v_add_nc_u32_e32 v12, 0x38000000, v12
.LBB6_2928:                             ;   in Loop: Header=BB6_2922 Depth=4
	s_and_not1_saveexec_b32 s74, s74
; %bb.2929:                             ;   in Loop: Header=BB6_2922 Depth=4
	v_cmp_lt_i16_e64 s13, -1, v16
	v_mov_b32_e32 v12, 0x7f800000
	s_delay_alu instid0(VALU_DEP_1) | instskip(SKIP_1) | instid1(VALU_DEP_1)
	v_cndmask_b32_e64 v12, 0xff800000, v12, s13
	v_cmp_eq_u32_e64 s13, 0, v13
	v_cndmask_b32_e64 v12, 0x7f800001, v12, s13
; %bb.2930:                             ;   in Loop: Header=BB6_2922 Depth=4
	s_or_b32 exec_lo, exec_lo, s74
.LBB6_2931:                             ;   in Loop: Header=BB6_2922 Depth=4
	s_delay_alu instid0(SALU_CYCLE_1)
	s_or_b32 exec_lo, exec_lo, s73
.LBB6_2932:                             ;   in Loop: Header=BB6_2922 Depth=4
	s_delay_alu instid0(SALU_CYCLE_1) | instskip(SKIP_4) | instid1(VALU_DEP_1)
	s_or_b32 exec_lo, exec_lo, s14
	s_wait_loadcnt 0x0
	v_and_b32_e32 v16, 0xff, v8
	s_mov_b32 s73, 0
	s_mov_b32 s14, exec_lo
	v_cmpx_lt_i16_e32 0x7f, v16
	s_xor_b32 s14, exec_lo, s14
	s_cbranch_execz .LBB6_3473
; %bb.2933:                             ;   in Loop: Header=BB6_2922 Depth=4
	s_mov_b32 s73, -1
	s_mov_b32 s74, exec_lo
	v_cmpx_eq_u16_e32 0x80, v16
; %bb.2934:                             ;   in Loop: Header=BB6_2922 Depth=4
	s_xor_b32 s73, exec_lo, -1
; %bb.2935:                             ;   in Loop: Header=BB6_2922 Depth=4
	s_or_b32 exec_lo, exec_lo, s74
	s_delay_alu instid0(SALU_CYCLE_1)
	s_and_b32 s73, s73, exec_lo
                                        ; implicit-def: $vgpr16
	s_or_saveexec_b32 s14, s14
	v_bfrev_b32_e32 v13, 1
	s_xor_b32 exec_lo, exec_lo, s14
	s_cbranch_execnz .LBB6_3474
.LBB6_2936:                             ;   in Loop: Header=BB6_2922 Depth=4
	s_or_b32 exec_lo, exec_lo, s14
	s_and_saveexec_b32 s14, s73
	s_cbranch_execz .LBB6_2938
.LBB6_2937:                             ;   in Loop: Header=BB6_2922 Depth=4
	v_and_b32_e32 v13, 3, v8
	v_bfe_u32 v19, v8, 2, 5
	s_delay_alu instid0(VALU_DEP_2) | instskip(NEXT) | instid1(VALU_DEP_2)
	v_clz_i32_u32_e32 v16, v13
	v_cmp_eq_u32_e64 s13, 0, v19
	s_delay_alu instid0(VALU_DEP_2) | instskip(NEXT) | instid1(VALU_DEP_1)
	v_min_u32_e32 v18, 32, v16
	v_subrev_nc_u32_e32 v16, 29, v18
	s_delay_alu instid0(VALU_DEP_1) | instskip(SKIP_1) | instid1(VALU_DEP_1)
	v_lshlrev_b64_e32 v[16:17], v16, v[8:9]
	v_dual_lshlrev_b32 v17, 24, v8 :: v_dual_sub_nc_u32 v18, 30, v18
	v_and_b32_e32 v17, 0x80000000, v17
	s_delay_alu instid0(VALU_DEP_2) | instskip(SKIP_1) | instid1(VALU_DEP_2)
	v_dual_cndmask_b32 v18, v19, v18, s13 :: v_dual_bitop2_b32 v16, 3, v16 bitop3:0x40
	v_bfe_i32 v19, v8, 0, 8
	v_cndmask_b32_e64 v16, v13, v16, s13
	s_delay_alu instid0(VALU_DEP_3) | instskip(NEXT) | instid1(VALU_DEP_3)
	v_lshl_add_u32 v17, v18, 23, v17
	v_cmp_lt_i16_e64 s13, -1, v19
	v_mov_b32_e32 v18, 0x7f800000
	s_delay_alu instid0(VALU_DEP_3) | instskip(SKIP_1) | instid1(VALU_DEP_3)
	v_lshl_or_b32 v16, v16, 21, v17
	v_and_b32_e32 v17, 0x7c, v8
	v_cndmask_b32_e64 v18, 0xff800000, v18, s13
	v_cmp_eq_u32_e64 s13, 0, v13
	s_delay_alu instid0(VALU_DEP_4) | instskip(NEXT) | instid1(VALU_DEP_2)
	v_add_nc_u32_e32 v16, 0x38000000, v16
	v_cndmask_b32_e64 v13, 0x7f800001, v18, s13
	v_cmp_eq_u32_e64 s13, 0x7c, v17
	s_delay_alu instid0(VALU_DEP_1)
	v_cndmask_b32_e64 v13, v16, v13, s13
.LBB6_2938:                             ;   in Loop: Header=BB6_2922 Depth=4
	s_or_b32 exec_lo, exec_lo, s14
	s_delay_alu instid0(VALU_DEP_1) | instskip(SKIP_1) | instid1(VALU_DEP_1)
	v_dual_mul_f32 v12, v12, v13 :: v_dual_mov_b32 v17, v21
                                        ; implicit-def: $vgpr28
	s_mov_b32 s14, exec_lo
	v_and_b32_e32 v16, 0x7f800000, v12
	v_and_b32_e32 v20, 0x7fffff, v12
	v_lshrrev_b32_e32 v13, 24, v12
	s_delay_alu instid0(VALU_DEP_3)
	v_cmpx_ne_u64_e32 0x7f800000, v[16:17]
	s_xor_b32 s73, exec_lo, s14
	s_cbranch_execz .LBB6_2952
; %bb.2939:                             ;   in Loop: Header=BB6_2922 Depth=4
	v_and_b32_e32 v16, 0x7fffffff, v12
	v_mov_b32_e32 v17, v21
	v_and_b32_e32 v18, 0x80, v13
                                        ; implicit-def: $vgpr28
	s_mov_b32 s14, exec_lo
	s_delay_alu instid0(VALU_DEP_2)
	v_cmpx_gt_u64_e32 0x47600001, v[16:17]
	s_xor_b32 s74, exec_lo, s14
	s_cbranch_execz .LBB6_2949
; %bb.2940:                             ;   in Loop: Header=BB6_2922 Depth=4
	v_mov_b32_e32 v28, 0
	s_mov_b32 s75, exec_lo
	v_cmpx_ne_u32_e32 0, v12
	s_cbranch_execz .LBB6_2948
; %bb.2941:                             ;   in Loop: Header=BB6_2922 Depth=4
	v_bfe_u32 v19, v12, 23, 8
	v_or_b32_e32 v16, 0x800000, v20
	s_mov_b32 s76, exec_lo
	s_delay_alu instid0(VALU_DEP_2) | instskip(SKIP_1) | instid1(VALU_DEP_1)
	v_dual_mov_b32 v17, v21 :: v_dual_sub_nc_u32 v12, 0x71, v19
	v_cmp_gt_u32_e64 s13, 0x72, v19
	v_cndmask_b32_e64 v12, 0, v12, s13
	v_cmp_eq_u32_e64 s13, 0, v19
	s_delay_alu instid0(VALU_DEP_1) | instskip(SKIP_1) | instid1(VALU_DEP_2)
	v_cndmask_b32_e64 v28, v12, 0x70, s13
	v_cndmask_b32_e64 v16, v16, v20, s13
	v_dual_add_nc_u32 v12, 21, v28 :: v_dual_add_nc_u32 v29, 20, v28
	s_delay_alu instid0(VALU_DEP_1) | instskip(NEXT) | instid1(VALU_DEP_2)
	v_lshlrev_b64_e64 v[12:13], v12, -1
	v_lshlrev_b64_e64 v[30:31], v29, 1
	s_delay_alu instid0(VALU_DEP_2) | instskip(NEXT) | instid1(VALU_DEP_3)
	v_bfi_b32 v33, v13, 0, 0
	v_bfi_b32 v32, v12, 0, v16
	v_lshrrev_b64 v[12:13], v28, v[16:17]
	s_delay_alu instid0(VALU_DEP_1) | instskip(NEXT) | instid1(VALU_DEP_3)
	v_mov_b64_e32 v[16:17], v[12:13]
	v_cmpx_eq_u64_e64 v[32:33], v[30:31]
; %bb.2942:                             ;   in Loop: Header=BB6_2922 Depth=4
	v_bfe_u32 v16, v12, 21, 1
	v_mov_b32_e32 v17, v21
	s_delay_alu instid0(VALU_DEP_1) | instskip(NEXT) | instid1(VALU_DEP_1)
	v_add_nc_u64_e32 v[16:17], v[12:13], v[16:17]
	v_add_nc_u64_e32 v[16:17], -1, v[16:17]
; %bb.2943:                             ;   in Loop: Header=BB6_2922 Depth=4
	s_or_b32 exec_lo, exec_lo, s76
	v_add_nc_u32_e32 v13, 0xffffff81, v19
	v_lshrrev_b32_e32 v17, 23, v12
	s_mov_b32 s14, exec_lo
	s_delay_alu instid0(VALU_DEP_2) | instskip(NEXT) | instid1(VALU_DEP_1)
	v_cndmask_b32_e64 v13, v13, 0xffffff82, s13
	v_add3_u32 v17, v28, v13, v17
	v_and_b32_e32 v13, 0x1fffff, v16
                                        ; implicit-def: $vgpr16
	s_delay_alu instid0(VALU_DEP_1) | instskip(NEXT) | instid1(VALU_DEP_1)
	v_dual_add_nc_u32 v19, 14, v17 :: v_dual_add_nc_u32 v20, v13, v12
                                        ; implicit-def: $vgpr12_vgpr13
	v_cmpx_ne_u32_e32 0, v19
	s_xor_b32 s14, exec_lo, s14
; %bb.2944:                             ;   in Loop: Header=BB6_2922 Depth=4
	s_delay_alu instid0(VALU_DEP_2) | instskip(SKIP_1) | instid1(VALU_DEP_1)
	v_cmp_lt_u64_e64 s13, 0xffffff, v[20:21]
	v_add_nc_u32_e32 v12, 15, v17
	v_cndmask_b32_e64 v16, v19, v12, s13
	v_cndmask_b32_e64 v12, 0, 1, s13
	s_delay_alu instid0(VALU_DEP_1)
	v_lshrrev_b64 v[12:13], v12, v[20:21]
; %bb.2945:                             ;   in Loop: Header=BB6_2922 Depth=4
	s_and_not1_saveexec_b32 s13, s14
; %bb.2946:                             ;   in Loop: Header=BB6_2922 Depth=4
	v_mov_b64_e32 v[12:13], v[20:21]
	v_bfe_u32 v16, v20, 23, 1
; %bb.2947:                             ;   in Loop: Header=BB6_2922 Depth=4
	s_or_b32 exec_lo, exec_lo, s13
	s_delay_alu instid0(VALU_DEP_2) | instskip(NEXT) | instid1(VALU_DEP_2)
	v_lshrrev_b64 v[12:13], 21, v[12:13]
	v_cmp_gt_i32_e64 s13, 32, v16
	v_min_i32_e32 v17, 31, v16
	v_cmp_eq_u32_e64 s14, 0, v16
	s_delay_alu instid0(VALU_DEP_3) | instskip(NEXT) | instid1(VALU_DEP_3)
	v_cndmask_b32_e64 v13, 0, v13, s13
	v_dual_lshlrev_b32 v17, 2, v17 :: v_dual_cndmask_b32 v12, 3, v12, s13
	s_delay_alu instid0(VALU_DEP_1) | instskip(NEXT) | instid1(VALU_DEP_2)
	v_and_b32_e32 v17, 0xfc, v17
	v_cmp_eq_u64_e64 s13, 0, v[12:13]
	s_delay_alu instid0(VALU_DEP_2)
	v_and_or_b32 v12, v12, 3, v17
	s_and_b32 s13, s14, s13
	s_delay_alu instid0(VALU_DEP_1) | instid1(SALU_CYCLE_1)
	v_cndmask_b32_e64 v12, v12, 0, s13
	s_delay_alu instid0(VALU_DEP_1)
	v_or_b32_e32 v28, v12, v18
.LBB6_2948:                             ;   in Loop: Header=BB6_2922 Depth=4
	s_or_b32 exec_lo, exec_lo, s75
                                        ; implicit-def: $vgpr18
.LBB6_2949:                             ;   in Loop: Header=BB6_2922 Depth=4
	s_and_not1_saveexec_b32 s13, s74
; %bb.2950:                             ;   in Loop: Header=BB6_2922 Depth=4
	v_or_b32_e32 v28, 0x7b, v18
; %bb.2951:                             ;   in Loop: Header=BB6_2922 Depth=4
	s_or_b32 exec_lo, exec_lo, s13
                                        ; implicit-def: $vgpr12
                                        ; implicit-def: $vgpr13
.LBB6_2952:                             ;   in Loop: Header=BB6_2922 Depth=4
	s_and_not1_saveexec_b32 s14, s73
	s_cbranch_execz .LBB6_2958
; %bb.2953:                             ;   in Loop: Header=BB6_2922 Depth=4
	v_cmp_ne_u64_e64 s13, 0, v[20:21]
                                        ; implicit-def: $vgpr28
	s_and_saveexec_b32 s73, s13
	s_delay_alu instid0(SALU_CYCLE_1)
	s_xor_b32 s13, exec_lo, s73
; %bb.2954:                             ;   in Loop: Header=BB6_2922 Depth=4
	v_or_b32_e32 v28, 0x7f, v13
                                        ; implicit-def: $vgpr12
; %bb.2955:                             ;   in Loop: Header=BB6_2922 Depth=4
	s_and_not1_saveexec_b32 s73, s13
; %bb.2956:                             ;   in Loop: Header=BB6_2922 Depth=4
	v_cmp_lt_i32_e64 s13, -1, v12
	v_mov_b32_e32 v12, 0x7c
	s_delay_alu instid0(VALU_DEP_1)
	v_cndmask_b32_e64 v28, 0xfc, v12, s13
; %bb.2957:                             ;   in Loop: Header=BB6_2922 Depth=4
	s_or_b32 exec_lo, exec_lo, s73
.LBB6_2958:                             ;   in Loop: Header=BB6_2922 Depth=4
	s_delay_alu instid0(SALU_CYCLE_1) | instskip(SKIP_3) | instid1(VALU_DEP_2)
	s_or_b32 exec_lo, exec_lo, s14
	v_lshrrev_b16 v12, 8, v0
	v_mov_b32_e32 v16, 0
	s_mov_b32 s14, exec_lo
	v_cmpx_ne_u16_e32 0, v12
	s_cbranch_execz .LBB6_2968
; %bb.2959:                             ;   in Loop: Header=BB6_2922 Depth=4
	v_bfrev_b32_e32 v16, 1
	s_mov_b32 s73, exec_lo
	v_cmpx_ne_u16_e32 0x80, v12
	s_cbranch_execz .LBB6_2967
; %bb.2960:                             ;   in Loop: Header=BB6_2922 Depth=4
	v_and_b32_e32 v17, 0xffff, v12
	s_delay_alu instid0(VALU_DEP_1) | instskip(SKIP_1) | instid1(VALU_DEP_2)
	v_and_b32_e32 v16, 0x7c, v17
	v_and_b32_e32 v13, 3, v17
	v_cmp_ne_u32_e64 s13, 0x7c, v16
                                        ; implicit-def: $vgpr16
	s_and_saveexec_b32 s74, s13
	s_delay_alu instid0(SALU_CYCLE_1)
	s_xor_b32 s74, exec_lo, s74
	s_cbranch_execz .LBB6_2964
; %bb.2961:                             ;   in Loop: Header=BB6_2922 Depth=4
	v_bfe_u32 v16, v17, 2, 5
	s_mov_b32 s75, exec_lo
	s_delay_alu instid0(VALU_DEP_1)
	v_cmpx_eq_u32_e32 0, v16
	s_cbranch_execz .LBB6_2963
; %bb.2962:                             ;   in Loop: Header=BB6_2922 Depth=4
	v_clz_i32_u32_e32 v13, v13
	s_delay_alu instid0(VALU_DEP_1) | instskip(SKIP_1) | instid1(VALU_DEP_2)
	v_min_u32_e32 v16, 32, v13
	v_mov_b32_e32 v13, v21
	v_subrev_nc_u32_e32 v17, 29, v16
	v_sub_nc_u32_e32 v16, 30, v16
	s_delay_alu instid0(VALU_DEP_2) | instskip(NEXT) | instid1(VALU_DEP_1)
	v_lshlrev_b64_e32 v[12:13], v17, v[12:13]
	v_and_b32_e32 v13, 3, v12
.LBB6_2963:                             ;   in Loop: Header=BB6_2922 Depth=4
	s_or_b32 exec_lo, exec_lo, s75
	v_lshlrev_b32_e32 v12, 16, v0
	s_delay_alu instid0(VALU_DEP_1) | instskip(NEXT) | instid1(VALU_DEP_1)
	v_and_b32_e32 v12, 0x80000000, v12
	v_lshl_add_u32 v12, v16, 23, v12
	s_delay_alu instid0(VALU_DEP_1) | instskip(NEXT) | instid1(VALU_DEP_1)
	v_lshl_or_b32 v12, v13, 21, v12
                                        ; implicit-def: $vgpr13
	v_add_nc_u32_e32 v16, 0x38000000, v12
.LBB6_2964:                             ;   in Loop: Header=BB6_2922 Depth=4
	s_and_not1_saveexec_b32 s74, s74
; %bb.2965:                             ;   in Loop: Header=BB6_2922 Depth=4
	v_cmp_lt_i16_e64 s13, -1, v0
	v_mov_b32_e32 v12, 0x7f800000
	s_delay_alu instid0(VALU_DEP_1) | instskip(SKIP_1) | instid1(VALU_DEP_1)
	v_cndmask_b32_e64 v12, 0xff800000, v12, s13
	v_cmp_eq_u32_e64 s13, 0, v13
	v_cndmask_b32_e64 v16, 0x7f800001, v12, s13
; %bb.2966:                             ;   in Loop: Header=BB6_2922 Depth=4
	s_or_b32 exec_lo, exec_lo, s74
.LBB6_2967:                             ;   in Loop: Header=BB6_2922 Depth=4
	s_delay_alu instid0(SALU_CYCLE_1)
	s_or_b32 exec_lo, exec_lo, s73
.LBB6_2968:                             ;   in Loop: Header=BB6_2922 Depth=4
	s_delay_alu instid0(SALU_CYCLE_1) | instskip(SKIP_3) | instid1(VALU_DEP_1)
	s_or_b32 exec_lo, exec_lo, s14
	v_lshrrev_b16 v12, 8, v8
	s_mov_b32 s73, 0
	s_mov_b32 s14, exec_lo
	v_cmpx_lt_i16_e32 0x7f, v12
	s_xor_b32 s14, exec_lo, s14
	s_cbranch_execz .LBB6_3475
; %bb.2969:                             ;   in Loop: Header=BB6_2922 Depth=4
	s_mov_b32 s73, -1
	s_mov_b32 s74, exec_lo
	v_cmpx_eq_u16_e32 0x80, v12
; %bb.2970:                             ;   in Loop: Header=BB6_2922 Depth=4
	s_xor_b32 s73, exec_lo, -1
; %bb.2971:                             ;   in Loop: Header=BB6_2922 Depth=4
	s_or_b32 exec_lo, exec_lo, s74
	s_delay_alu instid0(SALU_CYCLE_1)
	s_and_b32 s73, s73, exec_lo
	s_or_saveexec_b32 s14, s14
	v_bfrev_b32_e32 v13, 1
	s_xor_b32 exec_lo, exec_lo, s14
	s_cbranch_execnz .LBB6_3476
.LBB6_2972:                             ;   in Loop: Header=BB6_2922 Depth=4
	s_or_b32 exec_lo, exec_lo, s14
	s_and_saveexec_b32 s14, s73
	s_cbranch_execz .LBB6_2974
.LBB6_2973:                             ;   in Loop: Header=BB6_2922 Depth=4
	v_and_b32_e32 v17, 0xffff, v12
	s_delay_alu instid0(VALU_DEP_1) | instskip(NEXT) | instid1(VALU_DEP_1)
	v_and_b32_e32 v20, 3, v17
	v_clz_i32_u32_e32 v13, v20
	s_delay_alu instid0(VALU_DEP_1) | instskip(SKIP_1) | instid1(VALU_DEP_2)
	v_min_u32_e32 v29, 32, v13
	v_mov_b32_e32 v13, v21
	v_subrev_nc_u32_e32 v18, 29, v29
	s_delay_alu instid0(VALU_DEP_1) | instskip(SKIP_3) | instid1(VALU_DEP_3)
	v_lshlrev_b64_e32 v[18:19], v18, v[12:13]
	v_bfe_u32 v13, v17, 2, 5
	v_dual_lshlrev_b32 v12, 24, v12 :: v_dual_sub_nc_u32 v19, 30, v29
	v_and_b32_e32 v17, 0x7c, v17
	v_cmp_eq_u32_e64 s13, 0, v13
	s_delay_alu instid0(VALU_DEP_3) | instskip(NEXT) | instid1(VALU_DEP_2)
	v_and_b32_e32 v12, 0x80000000, v12
	v_dual_cndmask_b32 v13, v13, v19, s13 :: v_dual_bitop2_b32 v18, 3, v18 bitop3:0x40
	s_delay_alu instid0(VALU_DEP_1) | instskip(SKIP_1) | instid1(VALU_DEP_3)
	v_cndmask_b32_e64 v18, v20, v18, s13
	v_cmp_lt_i16_e64 s13, -1, v8
	v_lshl_add_u32 v12, v13, 23, v12
	v_mov_b32_e32 v13, 0x7f800000
	s_delay_alu instid0(VALU_DEP_2) | instskip(NEXT) | instid1(VALU_DEP_2)
	v_lshl_or_b32 v12, v18, 21, v12
	v_cndmask_b32_e64 v13, 0xff800000, v13, s13
	v_cmp_eq_u32_e64 s13, 0, v20
	s_delay_alu instid0(VALU_DEP_3) | instskip(NEXT) | instid1(VALU_DEP_2)
	v_add_nc_u32_e32 v12, 0x38000000, v12
	v_cndmask_b32_e64 v13, 0x7f800001, v13, s13
	v_cmp_eq_u32_e64 s13, 0x7c, v17
	s_delay_alu instid0(VALU_DEP_1)
	v_cndmask_b32_e64 v13, v12, v13, s13
.LBB6_2974:                             ;   in Loop: Header=BB6_2922 Depth=4
	s_or_b32 exec_lo, exec_lo, s14
	s_delay_alu instid0(VALU_DEP_1) | instskip(SKIP_1) | instid1(VALU_DEP_1)
	v_dual_mul_f32 v12, v16, v13 :: v_dual_mov_b32 v17, v21
                                        ; implicit-def: $vgpr29
	s_mov_b32 s14, exec_lo
	v_and_b32_e32 v16, 0x7f800000, v12
	v_and_b32_e32 v20, 0x7fffff, v12
	v_lshrrev_b32_e32 v13, 24, v12
	s_delay_alu instid0(VALU_DEP_3)
	v_cmpx_ne_u64_e32 0x7f800000, v[16:17]
	s_xor_b32 s73, exec_lo, s14
	s_cbranch_execz .LBB6_2988
; %bb.2975:                             ;   in Loop: Header=BB6_2922 Depth=4
	v_and_b32_e32 v16, 0x7fffffff, v12
	v_mov_b32_e32 v17, v21
	v_and_b32_e32 v18, 0x80, v13
                                        ; implicit-def: $vgpr29
	s_mov_b32 s14, exec_lo
	s_delay_alu instid0(VALU_DEP_2)
	v_cmpx_gt_u64_e32 0x47600001, v[16:17]
	s_xor_b32 s74, exec_lo, s14
	s_cbranch_execz .LBB6_2985
; %bb.2976:                             ;   in Loop: Header=BB6_2922 Depth=4
	v_mov_b32_e32 v29, 0
	s_mov_b32 s75, exec_lo
	v_cmpx_ne_u32_e32 0, v12
	s_cbranch_execz .LBB6_2984
; %bb.2977:                             ;   in Loop: Header=BB6_2922 Depth=4
	v_bfe_u32 v19, v12, 23, 8
	v_or_b32_e32 v16, 0x800000, v20
	s_mov_b32 s76, exec_lo
	s_delay_alu instid0(VALU_DEP_2) | instskip(SKIP_1) | instid1(VALU_DEP_1)
	v_dual_mov_b32 v17, v21 :: v_dual_sub_nc_u32 v12, 0x71, v19
	v_cmp_gt_u32_e64 s13, 0x72, v19
	v_cndmask_b32_e64 v12, 0, v12, s13
	v_cmp_eq_u32_e64 s13, 0, v19
	s_delay_alu instid0(VALU_DEP_1) | instskip(NEXT) | instid1(VALU_DEP_1)
	v_cndmask_b32_e64 v29, v12, 0x70, s13
	v_dual_cndmask_b32 v16, v16, v20, s13 :: v_dual_add_nc_u32 v12, 21, v29
	v_add_nc_u32_e32 v30, 20, v29
	s_delay_alu instid0(VALU_DEP_2) | instskip(NEXT) | instid1(VALU_DEP_2)
	v_lshlrev_b64_e64 v[12:13], v12, -1
	v_lshlrev_b64_e64 v[30:31], v30, 1
	s_delay_alu instid0(VALU_DEP_2) | instskip(NEXT) | instid1(VALU_DEP_3)
	v_bfi_b32 v33, v13, 0, 0
	v_bfi_b32 v32, v12, 0, v16
	v_lshrrev_b64 v[12:13], v29, v[16:17]
	s_delay_alu instid0(VALU_DEP_1) | instskip(NEXT) | instid1(VALU_DEP_3)
	v_mov_b64_e32 v[16:17], v[12:13]
	v_cmpx_eq_u64_e64 v[32:33], v[30:31]
; %bb.2978:                             ;   in Loop: Header=BB6_2922 Depth=4
	v_bfe_u32 v16, v12, 21, 1
	v_mov_b32_e32 v17, v21
	s_delay_alu instid0(VALU_DEP_1) | instskip(NEXT) | instid1(VALU_DEP_1)
	v_add_nc_u64_e32 v[16:17], v[12:13], v[16:17]
	v_add_nc_u64_e32 v[16:17], -1, v[16:17]
; %bb.2979:                             ;   in Loop: Header=BB6_2922 Depth=4
	s_or_b32 exec_lo, exec_lo, s76
	v_add_nc_u32_e32 v13, 0xffffff81, v19
	v_lshrrev_b32_e32 v17, 23, v12
	s_mov_b32 s14, exec_lo
	s_delay_alu instid0(VALU_DEP_2) | instskip(NEXT) | instid1(VALU_DEP_1)
	v_cndmask_b32_e64 v13, v13, 0xffffff82, s13
	v_add3_u32 v17, v29, v13, v17
	v_and_b32_e32 v13, 0x1fffff, v16
                                        ; implicit-def: $vgpr16
	s_delay_alu instid0(VALU_DEP_1) | instskip(NEXT) | instid1(VALU_DEP_1)
	v_dual_add_nc_u32 v19, 14, v17 :: v_dual_add_nc_u32 v20, v13, v12
                                        ; implicit-def: $vgpr12_vgpr13
	v_cmpx_ne_u32_e32 0, v19
	s_xor_b32 s14, exec_lo, s14
; %bb.2980:                             ;   in Loop: Header=BB6_2922 Depth=4
	s_delay_alu instid0(VALU_DEP_2) | instskip(SKIP_1) | instid1(VALU_DEP_1)
	v_cmp_lt_u64_e64 s13, 0xffffff, v[20:21]
	v_add_nc_u32_e32 v12, 15, v17
	v_cndmask_b32_e64 v16, v19, v12, s13
	v_cndmask_b32_e64 v12, 0, 1, s13
	s_delay_alu instid0(VALU_DEP_1)
	v_lshrrev_b64 v[12:13], v12, v[20:21]
; %bb.2981:                             ;   in Loop: Header=BB6_2922 Depth=4
	s_and_not1_saveexec_b32 s13, s14
; %bb.2982:                             ;   in Loop: Header=BB6_2922 Depth=4
	v_mov_b64_e32 v[12:13], v[20:21]
	v_bfe_u32 v16, v20, 23, 1
; %bb.2983:                             ;   in Loop: Header=BB6_2922 Depth=4
	s_or_b32 exec_lo, exec_lo, s13
	s_delay_alu instid0(VALU_DEP_2) | instskip(NEXT) | instid1(VALU_DEP_2)
	v_lshrrev_b64 v[12:13], 21, v[12:13]
	v_cmp_gt_i32_e64 s13, 32, v16
	v_min_i32_e32 v17, 31, v16
	v_cmp_eq_u32_e64 s14, 0, v16
	s_delay_alu instid0(VALU_DEP_3) | instskip(NEXT) | instid1(VALU_DEP_3)
	v_cndmask_b32_e64 v13, 0, v13, s13
	v_dual_lshlrev_b32 v17, 2, v17 :: v_dual_cndmask_b32 v12, 3, v12, s13
	s_delay_alu instid0(VALU_DEP_1) | instskip(NEXT) | instid1(VALU_DEP_2)
	v_and_b32_e32 v17, 0xfc, v17
	v_cmp_eq_u64_e64 s13, 0, v[12:13]
	s_delay_alu instid0(VALU_DEP_2)
	v_and_or_b32 v12, v12, 3, v17
	s_and_b32 s13, s14, s13
	s_delay_alu instid0(VALU_DEP_1) | instid1(SALU_CYCLE_1)
	v_cndmask_b32_e64 v12, v12, 0, s13
	s_delay_alu instid0(VALU_DEP_1)
	v_or_b32_e32 v29, v12, v18
.LBB6_2984:                             ;   in Loop: Header=BB6_2922 Depth=4
	s_or_b32 exec_lo, exec_lo, s75
                                        ; implicit-def: $vgpr18
.LBB6_2985:                             ;   in Loop: Header=BB6_2922 Depth=4
	s_and_not1_saveexec_b32 s13, s74
; %bb.2986:                             ;   in Loop: Header=BB6_2922 Depth=4
	v_or_b32_e32 v29, 0x7b, v18
; %bb.2987:                             ;   in Loop: Header=BB6_2922 Depth=4
	s_or_b32 exec_lo, exec_lo, s13
                                        ; implicit-def: $vgpr12
                                        ; implicit-def: $vgpr13
.LBB6_2988:                             ;   in Loop: Header=BB6_2922 Depth=4
	s_and_not1_saveexec_b32 s14, s73
	s_cbranch_execz .LBB6_2994
; %bb.2989:                             ;   in Loop: Header=BB6_2922 Depth=4
	v_cmp_ne_u64_e64 s13, 0, v[20:21]
                                        ; implicit-def: $vgpr29
	s_and_saveexec_b32 s73, s13
	s_delay_alu instid0(SALU_CYCLE_1)
	s_xor_b32 s13, exec_lo, s73
; %bb.2990:                             ;   in Loop: Header=BB6_2922 Depth=4
	v_or_b32_e32 v29, 0x7f, v13
                                        ; implicit-def: $vgpr12
; %bb.2991:                             ;   in Loop: Header=BB6_2922 Depth=4
	s_and_not1_saveexec_b32 s73, s13
; %bb.2992:                             ;   in Loop: Header=BB6_2922 Depth=4
	v_cmp_lt_i32_e64 s13, -1, v12
	v_mov_b32_e32 v12, 0x7c
	s_delay_alu instid0(VALU_DEP_1)
	v_cndmask_b32_e64 v29, 0xfc, v12, s13
; %bb.2993:                             ;   in Loop: Header=BB6_2922 Depth=4
	s_or_b32 exec_lo, exec_lo, s73
.LBB6_2994:                             ;   in Loop: Header=BB6_2922 Depth=4
	s_delay_alu instid0(SALU_CYCLE_1) | instskip(SKIP_2) | instid1(VALU_DEP_1)
	s_or_b32 exec_lo, exec_lo, s14
	v_dual_mov_b32 v13, 0 :: v_dual_lshrrev_b32 v12, 16, v0
	s_mov_b32 s14, exec_lo
	v_and_b32_e32 v16, 0xff, v12
	s_delay_alu instid0(VALU_DEP_1)
	v_cmpx_ne_u16_e32 0, v16
	s_cbranch_execz .LBB6_3004
; %bb.2995:                             ;   in Loop: Header=BB6_2922 Depth=4
	v_bfrev_b32_e32 v13, 1
	s_mov_b32 s73, exec_lo
	v_cmpx_ne_u16_e32 0x80, v16
	s_cbranch_execz .LBB6_3003
; %bb.2996:                             ;   in Loop: Header=BB6_2922 Depth=4
	v_and_b32_e32 v13, 0x7c0000, v0
	v_bfe_u32 v16, v0, 16, 2
	s_delay_alu instid0(VALU_DEP_2) | instskip(SKIP_1) | instid1(SALU_CYCLE_1)
	v_cmp_ne_u32_e64 s13, 0x7c0000, v13
                                        ; implicit-def: $vgpr13
	s_and_saveexec_b32 s74, s13
	s_xor_b32 s74, exec_lo, s74
	s_cbranch_execz .LBB6_3000
; %bb.2997:                             ;   in Loop: Header=BB6_2922 Depth=4
	v_bfe_u32 v13, v0, 18, 5
	s_mov_b32 s75, exec_lo
	s_delay_alu instid0(VALU_DEP_1)
	v_cmpx_eq_u32_e32 0, v13
; %bb.2998:                             ;   in Loop: Header=BB6_2922 Depth=4
	v_clz_i32_u32_e32 v13, v16
	s_delay_alu instid0(VALU_DEP_1) | instskip(NEXT) | instid1(VALU_DEP_1)
	v_min_u32_e32 v13, 32, v13
	v_subrev_nc_u32_e32 v16, 29, v13
	s_delay_alu instid0(VALU_DEP_1) | instskip(NEXT) | instid1(VALU_DEP_1)
	v_lshlrev_b64_e32 v[16:17], v16, v[12:13]
	v_dual_sub_nc_u32 v13, 30, v13 :: v_dual_bitop2_b32 v16, 3, v16 bitop3:0x40
; %bb.2999:                             ;   in Loop: Header=BB6_2922 Depth=4
	s_or_b32 exec_lo, exec_lo, s75
	v_lshlrev_b32_e32 v12, 24, v12
	s_delay_alu instid0(VALU_DEP_1) | instskip(NEXT) | instid1(VALU_DEP_1)
	v_and_b32_e32 v12, 0x80000000, v12
	v_lshl_add_u32 v12, v13, 23, v12
	s_delay_alu instid0(VALU_DEP_1) | instskip(NEXT) | instid1(VALU_DEP_1)
	v_lshl_or_b32 v12, v16, 21, v12
                                        ; implicit-def: $vgpr16
	v_add_nc_u32_e32 v13, 0x38000000, v12
                                        ; implicit-def: $vgpr12
.LBB6_3000:                             ;   in Loop: Header=BB6_2922 Depth=4
	s_and_not1_saveexec_b32 s74, s74
; %bb.3001:                             ;   in Loop: Header=BB6_2922 Depth=4
	v_bfe_i32 v12, v12, 0, 8
	s_delay_alu instid0(VALU_DEP_1) | instskip(SKIP_1) | instid1(VALU_DEP_1)
	v_cmp_lt_i16_e64 s13, -1, v12
	v_mov_b32_e32 v12, 0x7f800000
	v_cndmask_b32_e64 v12, 0xff800000, v12, s13
	v_cmp_eq_u32_e64 s13, 0, v16
	s_delay_alu instid0(VALU_DEP_1)
	v_cndmask_b32_e64 v13, 0x7f800001, v12, s13
; %bb.3002:                             ;   in Loop: Header=BB6_2922 Depth=4
	s_or_b32 exec_lo, exec_lo, s74
.LBB6_3003:                             ;   in Loop: Header=BB6_2922 Depth=4
	s_delay_alu instid0(SALU_CYCLE_1)
	s_or_b32 exec_lo, exec_lo, s73
.LBB6_3004:                             ;   in Loop: Header=BB6_2922 Depth=4
	s_delay_alu instid0(SALU_CYCLE_1) | instskip(SKIP_3) | instid1(VALU_DEP_1)
	s_or_b32 exec_lo, exec_lo, s14
	v_lshrrev_b32_e32 v12, 16, v8
	s_mov_b32 s73, 0
	s_mov_b32 s14, exec_lo
	v_and_b32_e32 v17, 0xff, v12
	s_delay_alu instid0(VALU_DEP_1)
	v_cmpx_lt_i16_e32 0x7f, v17
	s_xor_b32 s14, exec_lo, s14
	s_cbranch_execz .LBB6_3477
; %bb.3005:                             ;   in Loop: Header=BB6_2922 Depth=4
	s_mov_b32 s73, -1
	s_mov_b32 s74, exec_lo
	v_cmpx_eq_u16_e32 0x80, v17
; %bb.3006:                             ;   in Loop: Header=BB6_2922 Depth=4
	s_xor_b32 s73, exec_lo, -1
; %bb.3007:                             ;   in Loop: Header=BB6_2922 Depth=4
	s_or_b32 exec_lo, exec_lo, s74
	s_delay_alu instid0(SALU_CYCLE_1)
	s_and_b32 s73, s73, exec_lo
                                        ; implicit-def: $vgpr17
	s_or_saveexec_b32 s14, s14
	v_bfrev_b32_e32 v16, 1
	s_xor_b32 exec_lo, exec_lo, s14
	s_cbranch_execnz .LBB6_3478
.LBB6_3008:                             ;   in Loop: Header=BB6_2922 Depth=4
	s_or_b32 exec_lo, exec_lo, s14
	s_and_saveexec_b32 s14, s73
	s_cbranch_execz .LBB6_3010
.LBB6_3009:                             ;   in Loop: Header=BB6_2922 Depth=4
	v_and_b32_e32 v18, 3, v12
	v_bfe_u32 v20, v8, 18, 5
	s_delay_alu instid0(VALU_DEP_2) | instskip(NEXT) | instid1(VALU_DEP_2)
	v_clz_i32_u32_e32 v16, v18
	v_cmp_eq_u32_e64 s13, 0, v20
	s_delay_alu instid0(VALU_DEP_2) | instskip(NEXT) | instid1(VALU_DEP_1)
	v_min_u32_e32 v19, 32, v16
	v_subrev_nc_u32_e32 v16, 29, v19
	s_delay_alu instid0(VALU_DEP_1) | instskip(SKIP_2) | instid1(VALU_DEP_2)
	v_lshlrev_b64_e32 v[16:17], v16, v[12:13]
	v_dual_lshlrev_b32 v17, 24, v12 :: v_dual_sub_nc_u32 v19, 30, v19
	v_bfe_i32 v12, v12, 0, 8
	v_and_b32_e32 v17, 0x80000000, v17
	s_delay_alu instid0(VALU_DEP_3) | instskip(NEXT) | instid1(VALU_DEP_1)
	v_dual_cndmask_b32 v19, v20, v19, s13 :: v_dual_bitop2_b32 v16, 3, v16 bitop3:0x40
	v_cndmask_b32_e64 v16, v18, v16, s13
	s_delay_alu instid0(VALU_DEP_2) | instskip(SKIP_2) | instid1(VALU_DEP_3)
	v_lshl_add_u32 v17, v19, 23, v17
	v_cmp_lt_i16_e64 s13, -1, v12
	v_mov_b32_e32 v12, 0x7f800000
	v_lshl_or_b32 v16, v16, 21, v17
	v_and_b32_e32 v17, 0x7c0000, v8
	s_delay_alu instid0(VALU_DEP_3) | instskip(SKIP_1) | instid1(VALU_DEP_4)
	v_cndmask_b32_e64 v12, 0xff800000, v12, s13
	v_cmp_eq_u32_e64 s13, 0, v18
	v_add_nc_u32_e32 v16, 0x38000000, v16
	s_delay_alu instid0(VALU_DEP_2) | instskip(SKIP_1) | instid1(VALU_DEP_1)
	v_cndmask_b32_e64 v12, 0x7f800001, v12, s13
	v_cmp_eq_u32_e64 s13, 0x7c0000, v17
	v_cndmask_b32_e64 v16, v16, v12, s13
.LBB6_3010:                             ;   in Loop: Header=BB6_2922 Depth=4
	s_or_b32 exec_lo, exec_lo, s14
	s_delay_alu instid0(VALU_DEP_1) | instskip(SKIP_2) | instid1(VALU_DEP_2)
	v_mul_f32_e32 v12, v13, v16
	v_mov_b32_e32 v17, v21
                                        ; implicit-def: $vgpr30
	s_mov_b32 s14, exec_lo
	v_and_b32_e32 v16, 0x7f800000, v12
	v_and_b32_e32 v20, 0x7fffff, v12
	v_lshrrev_b32_e32 v13, 24, v12
	s_delay_alu instid0(VALU_DEP_3)
	v_cmpx_ne_u64_e32 0x7f800000, v[16:17]
	s_xor_b32 s73, exec_lo, s14
	s_cbranch_execz .LBB6_3024
; %bb.3011:                             ;   in Loop: Header=BB6_2922 Depth=4
	v_and_b32_e32 v16, 0x7fffffff, v12
	v_mov_b32_e32 v17, v21
	v_and_b32_e32 v18, 0x80, v13
                                        ; implicit-def: $vgpr30
	s_mov_b32 s14, exec_lo
	s_delay_alu instid0(VALU_DEP_2)
	v_cmpx_gt_u64_e32 0x47600001, v[16:17]
	s_xor_b32 s74, exec_lo, s14
	s_cbranch_execz .LBB6_3021
; %bb.3012:                             ;   in Loop: Header=BB6_2922 Depth=4
	v_mov_b32_e32 v30, 0
	s_mov_b32 s75, exec_lo
	v_cmpx_ne_u32_e32 0, v12
	s_cbranch_execz .LBB6_3020
; %bb.3013:                             ;   in Loop: Header=BB6_2922 Depth=4
	v_bfe_u32 v19, v12, 23, 8
	v_or_b32_e32 v16, 0x800000, v20
	s_mov_b32 s76, exec_lo
	s_delay_alu instid0(VALU_DEP_2) | instskip(SKIP_1) | instid1(VALU_DEP_1)
	v_dual_mov_b32 v17, v21 :: v_dual_sub_nc_u32 v12, 0x71, v19
	v_cmp_gt_u32_e64 s13, 0x72, v19
	v_cndmask_b32_e64 v12, 0, v12, s13
	v_cmp_eq_u32_e64 s13, 0, v19
	s_delay_alu instid0(VALU_DEP_1) | instskip(NEXT) | instid1(VALU_DEP_1)
	v_cndmask_b32_e64 v30, v12, 0x70, s13
	v_dual_cndmask_b32 v16, v16, v20, s13 :: v_dual_add_nc_u32 v12, 21, v30
	v_add_nc_u32_e32 v31, 20, v30
	s_delay_alu instid0(VALU_DEP_2) | instskip(NEXT) | instid1(VALU_DEP_2)
	v_lshlrev_b64_e64 v[12:13], v12, -1
	v_lshlrev_b64_e64 v[32:33], v31, 1
	s_delay_alu instid0(VALU_DEP_2) | instskip(NEXT) | instid1(VALU_DEP_3)
	v_bfi_b32 v35, v13, 0, 0
	v_bfi_b32 v34, v12, 0, v16
	v_lshrrev_b64 v[12:13], v30, v[16:17]
	s_delay_alu instid0(VALU_DEP_1) | instskip(NEXT) | instid1(VALU_DEP_3)
	v_mov_b64_e32 v[16:17], v[12:13]
	v_cmpx_eq_u64_e64 v[34:35], v[32:33]
; %bb.3014:                             ;   in Loop: Header=BB6_2922 Depth=4
	v_bfe_u32 v16, v12, 21, 1
	v_mov_b32_e32 v17, v21
	s_delay_alu instid0(VALU_DEP_1) | instskip(NEXT) | instid1(VALU_DEP_1)
	v_add_nc_u64_e32 v[16:17], v[12:13], v[16:17]
	v_add_nc_u64_e32 v[16:17], -1, v[16:17]
; %bb.3015:                             ;   in Loop: Header=BB6_2922 Depth=4
	s_or_b32 exec_lo, exec_lo, s76
	v_add_nc_u32_e32 v13, 0xffffff81, v19
	v_lshrrev_b32_e32 v17, 23, v12
	s_mov_b32 s14, exec_lo
	s_delay_alu instid0(VALU_DEP_2) | instskip(NEXT) | instid1(VALU_DEP_1)
	v_cndmask_b32_e64 v13, v13, 0xffffff82, s13
	v_add3_u32 v17, v30, v13, v17
	v_and_b32_e32 v13, 0x1fffff, v16
                                        ; implicit-def: $vgpr16
	s_delay_alu instid0(VALU_DEP_1) | instskip(NEXT) | instid1(VALU_DEP_1)
	v_dual_add_nc_u32 v19, 14, v17 :: v_dual_add_nc_u32 v20, v13, v12
                                        ; implicit-def: $vgpr12_vgpr13
	v_cmpx_ne_u32_e32 0, v19
	s_xor_b32 s14, exec_lo, s14
; %bb.3016:                             ;   in Loop: Header=BB6_2922 Depth=4
	s_delay_alu instid0(VALU_DEP_2) | instskip(SKIP_1) | instid1(VALU_DEP_1)
	v_cmp_lt_u64_e64 s13, 0xffffff, v[20:21]
	v_add_nc_u32_e32 v12, 15, v17
	v_cndmask_b32_e64 v16, v19, v12, s13
	v_cndmask_b32_e64 v12, 0, 1, s13
	s_delay_alu instid0(VALU_DEP_1)
	v_lshrrev_b64 v[12:13], v12, v[20:21]
; %bb.3017:                             ;   in Loop: Header=BB6_2922 Depth=4
	s_and_not1_saveexec_b32 s13, s14
; %bb.3018:                             ;   in Loop: Header=BB6_2922 Depth=4
	v_mov_b64_e32 v[12:13], v[20:21]
	v_bfe_u32 v16, v20, 23, 1
; %bb.3019:                             ;   in Loop: Header=BB6_2922 Depth=4
	s_or_b32 exec_lo, exec_lo, s13
	s_delay_alu instid0(VALU_DEP_2) | instskip(NEXT) | instid1(VALU_DEP_2)
	v_lshrrev_b64 v[12:13], 21, v[12:13]
	v_cmp_gt_i32_e64 s13, 32, v16
	v_min_i32_e32 v17, 31, v16
	v_cmp_eq_u32_e64 s14, 0, v16
	s_delay_alu instid0(VALU_DEP_3) | instskip(NEXT) | instid1(VALU_DEP_3)
	v_cndmask_b32_e64 v13, 0, v13, s13
	v_dual_lshlrev_b32 v17, 2, v17 :: v_dual_cndmask_b32 v12, 3, v12, s13
	s_delay_alu instid0(VALU_DEP_1) | instskip(NEXT) | instid1(VALU_DEP_2)
	v_and_b32_e32 v17, 0xfc, v17
	v_cmp_eq_u64_e64 s13, 0, v[12:13]
	s_delay_alu instid0(VALU_DEP_2)
	v_and_or_b32 v12, v12, 3, v17
	s_and_b32 s13, s14, s13
	s_delay_alu instid0(VALU_DEP_1) | instid1(SALU_CYCLE_1)
	v_cndmask_b32_e64 v12, v12, 0, s13
	s_delay_alu instid0(VALU_DEP_1)
	v_or_b32_e32 v30, v12, v18
.LBB6_3020:                             ;   in Loop: Header=BB6_2922 Depth=4
	s_or_b32 exec_lo, exec_lo, s75
                                        ; implicit-def: $vgpr18
.LBB6_3021:                             ;   in Loop: Header=BB6_2922 Depth=4
	s_and_not1_saveexec_b32 s13, s74
; %bb.3022:                             ;   in Loop: Header=BB6_2922 Depth=4
	v_or_b32_e32 v30, 0x7b, v18
; %bb.3023:                             ;   in Loop: Header=BB6_2922 Depth=4
	s_or_b32 exec_lo, exec_lo, s13
                                        ; implicit-def: $vgpr12
                                        ; implicit-def: $vgpr13
.LBB6_3024:                             ;   in Loop: Header=BB6_2922 Depth=4
	s_and_not1_saveexec_b32 s14, s73
	s_cbranch_execz .LBB6_3030
; %bb.3025:                             ;   in Loop: Header=BB6_2922 Depth=4
	v_cmp_ne_u64_e64 s13, 0, v[20:21]
                                        ; implicit-def: $vgpr30
	s_and_saveexec_b32 s73, s13
	s_delay_alu instid0(SALU_CYCLE_1)
	s_xor_b32 s13, exec_lo, s73
; %bb.3026:                             ;   in Loop: Header=BB6_2922 Depth=4
	v_or_b32_e32 v30, 0x7f, v13
                                        ; implicit-def: $vgpr12
; %bb.3027:                             ;   in Loop: Header=BB6_2922 Depth=4
	s_and_not1_saveexec_b32 s73, s13
; %bb.3028:                             ;   in Loop: Header=BB6_2922 Depth=4
	v_cmp_lt_i32_e64 s13, -1, v12
	v_mov_b32_e32 v12, 0x7c
	s_delay_alu instid0(VALU_DEP_1)
	v_cndmask_b32_e64 v30, 0xfc, v12, s13
; %bb.3029:                             ;   in Loop: Header=BB6_2922 Depth=4
	s_or_b32 exec_lo, exec_lo, s73
.LBB6_3030:                             ;   in Loop: Header=BB6_2922 Depth=4
	s_delay_alu instid0(SALU_CYCLE_1)
	s_or_b32 exec_lo, exec_lo, s14
	v_mov_b32_e32 v13, 0
	s_mov_b32 s14, exec_lo
	v_cmpx_lt_u32_e32 0xffffff, v0
	s_cbranch_execz .LBB6_3040
; %bb.3031:                             ;   in Loop: Header=BB6_2922 Depth=4
	v_lshrrev_b32_e32 v12, 24, v0
	v_bfrev_b32_e32 v13, 1
	s_mov_b32 s73, exec_lo
	s_delay_alu instid0(VALU_DEP_2)
	v_cmpx_ne_u32_e32 0x80, v12
	s_cbranch_execz .LBB6_3039
; %bb.3032:                             ;   in Loop: Header=BB6_2922 Depth=4
	v_and_b32_e32 v13, 0x7c000000, v0
	v_bfe_u32 v16, v0, 24, 2
	s_delay_alu instid0(VALU_DEP_2) | instskip(SKIP_1) | instid1(SALU_CYCLE_1)
	v_cmp_ne_u32_e64 s13, 0x7c000000, v13
                                        ; implicit-def: $vgpr13
	s_and_saveexec_b32 s74, s13
	s_xor_b32 s74, exec_lo, s74
	s_cbranch_execz .LBB6_3036
; %bb.3033:                             ;   in Loop: Header=BB6_2922 Depth=4
	v_bfe_u32 v13, v0, 26, 5
	s_mov_b32 s75, exec_lo
	s_delay_alu instid0(VALU_DEP_1)
	v_cmpx_eq_u32_e32 0, v13
; %bb.3034:                             ;   in Loop: Header=BB6_2922 Depth=4
	v_clz_i32_u32_e32 v13, v16
	s_delay_alu instid0(VALU_DEP_1) | instskip(NEXT) | instid1(VALU_DEP_1)
	v_min_u32_e32 v16, 32, v13
	v_subrev_nc_u32_e32 v13, 29, v16
	s_delay_alu instid0(VALU_DEP_1) | instskip(SKIP_1) | instid1(VALU_DEP_2)
	v_lshlrev_b64_e32 v[12:13], v13, v[12:13]
	v_sub_nc_u32_e32 v13, 30, v16
	v_and_b32_e32 v16, 3, v12
; %bb.3035:                             ;   in Loop: Header=BB6_2922 Depth=4
	s_or_b32 exec_lo, exec_lo, s75
	v_and_b32_e32 v12, 0x80000000, v0
	s_delay_alu instid0(VALU_DEP_1) | instskip(NEXT) | instid1(VALU_DEP_1)
	v_lshl_add_u32 v12, v13, 23, v12
	v_lshl_or_b32 v12, v16, 21, v12
                                        ; implicit-def: $vgpr16
	s_delay_alu instid0(VALU_DEP_1)
	v_add_nc_u32_e32 v13, 0x38000000, v12
.LBB6_3036:                             ;   in Loop: Header=BB6_2922 Depth=4
	s_and_not1_saveexec_b32 s74, s74
; %bb.3037:                             ;   in Loop: Header=BB6_2922 Depth=4
	v_cmp_lt_i32_e64 s13, -1, v0
	v_mov_b32_e32 v12, 0x7f800000
	s_delay_alu instid0(VALU_DEP_1) | instskip(SKIP_1) | instid1(VALU_DEP_1)
	v_cndmask_b32_e64 v12, 0xff800000, v12, s13
	v_cmp_eq_u32_e64 s13, 0, v16
	v_cndmask_b32_e64 v13, 0x7f800001, v12, s13
; %bb.3038:                             ;   in Loop: Header=BB6_2922 Depth=4
	s_or_b32 exec_lo, exec_lo, s74
.LBB6_3039:                             ;   in Loop: Header=BB6_2922 Depth=4
	s_delay_alu instid0(SALU_CYCLE_1)
	s_or_b32 exec_lo, exec_lo, s73
.LBB6_3040:                             ;   in Loop: Header=BB6_2922 Depth=4
	s_delay_alu instid0(SALU_CYCLE_1) | instskip(SKIP_3) | instid1(VALU_DEP_2)
	s_or_b32 exec_lo, exec_lo, s14
	v_bfe_u32 v18, v8, 24, 2
	v_bfe_u32 v20, v8, 26, 5
                                        ; implicit-def: $vgpr31
	s_mov_b32 s14, exec_lo
	v_clz_i32_u32_e32 v12, v18
	s_delay_alu instid0(VALU_DEP_2) | instskip(NEXT) | instid1(VALU_DEP_2)
	v_cmp_eq_u32_e64 s13, 0, v20
	v_min_u32_e32 v19, 32, v12
	v_lshrrev_b32_e32 v12, 24, v8
	s_delay_alu instid0(VALU_DEP_2) | instskip(NEXT) | instid1(VALU_DEP_1)
	v_subrev_nc_u32_e32 v16, 29, v19
	v_lshlrev_b64_e32 v[16:17], v16, v[12:13]
	v_sub_nc_u32_e32 v17, 30, v19
	v_and_b32_e32 v19, 0x80000000, v8
	s_delay_alu instid0(VALU_DEP_2) | instskip(NEXT) | instid1(VALU_DEP_1)
	v_dual_cndmask_b32 v17, v20, v17, s13 :: v_dual_bitop2_b32 v16, 3, v16 bitop3:0x40
	v_lshl_add_u32 v17, v17, 23, v19
	s_delay_alu instid0(VALU_DEP_2) | instskip(SKIP_2) | instid1(VALU_DEP_3)
	v_cndmask_b32_e64 v16, v18, v16, s13
	v_cmp_lt_i32_e64 s13, -1, v8
	v_mov_b32_e32 v19, 0x7f800000
	v_lshl_or_b32 v16, v16, 21, v17
	v_and_b32_e32 v17, 0x7c000000, v8
	s_delay_alu instid0(VALU_DEP_3) | instskip(SKIP_1) | instid1(VALU_DEP_4)
	v_cndmask_b32_e64 v19, 0xff800000, v19, s13
	v_cmp_eq_u32_e64 s13, 0, v18
	v_add_nc_u32_e32 v16, 0x38000000, v16
	s_delay_alu instid0(VALU_DEP_2) | instskip(SKIP_1) | instid1(VALU_DEP_1)
	v_cndmask_b32_e64 v18, 0x7f800001, v19, s13
	v_cmp_eq_u32_e64 s13, 0x7c000000, v17
	v_dual_mov_b32 v17, v21 :: v_dual_cndmask_b32 v16, v16, v18, s13
	v_cmp_ne_u32_e64 s13, 0x80, v12
	s_delay_alu instid0(VALU_DEP_1) | instskip(SKIP_1) | instid1(VALU_DEP_1)
	v_cndmask_b32_e64 v12, 0x80000000, v16, s13
	v_cmp_lt_u32_e64 s13, 0xffffff, v8
	v_cndmask_b32_e64 v12, 0, v12, s13
	s_delay_alu instid0(VALU_DEP_1) | instskip(NEXT) | instid1(VALU_DEP_1)
	v_mul_f32_e32 v12, v12, v13
	v_and_b32_e32 v16, 0x7f800000, v12
	v_and_b32_e32 v20, 0x7fffff, v12
	v_lshrrev_b32_e32 v13, 24, v12
	s_delay_alu instid0(VALU_DEP_3)
	v_cmpx_ne_u64_e32 0x7f800000, v[16:17]
	s_xor_b32 s73, exec_lo, s14
	s_cbranch_execz .LBB6_3054
; %bb.3041:                             ;   in Loop: Header=BB6_2922 Depth=4
	v_and_b32_e32 v16, 0x7fffffff, v12
	v_mov_b32_e32 v17, v21
	v_and_b32_e32 v18, 0x80, v13
                                        ; implicit-def: $vgpr31
	s_mov_b32 s14, exec_lo
	s_delay_alu instid0(VALU_DEP_2)
	v_cmpx_gt_u64_e32 0x47600001, v[16:17]
	s_xor_b32 s74, exec_lo, s14
	s_cbranch_execz .LBB6_3051
; %bb.3042:                             ;   in Loop: Header=BB6_2922 Depth=4
	v_mov_b32_e32 v31, 0
	s_mov_b32 s75, exec_lo
	v_cmpx_ne_u32_e32 0, v12
	s_cbranch_execz .LBB6_3050
; %bb.3043:                             ;   in Loop: Header=BB6_2922 Depth=4
	v_bfe_u32 v19, v12, 23, 8
	v_or_b32_e32 v16, 0x800000, v20
	s_mov_b32 s76, exec_lo
	s_delay_alu instid0(VALU_DEP_2) | instskip(SKIP_1) | instid1(VALU_DEP_1)
	v_dual_mov_b32 v17, v21 :: v_dual_sub_nc_u32 v12, 0x71, v19
	v_cmp_gt_u32_e64 s13, 0x72, v19
	v_cndmask_b32_e64 v12, 0, v12, s13
	v_cmp_eq_u32_e64 s13, 0, v19
	s_delay_alu instid0(VALU_DEP_1) | instskip(NEXT) | instid1(VALU_DEP_1)
	v_cndmask_b32_e64 v31, v12, 0x70, s13
	v_dual_cndmask_b32 v16, v16, v20, s13 :: v_dual_add_nc_u32 v12, 21, v31
	v_add_nc_u32_e32 v32, 20, v31
	s_delay_alu instid0(VALU_DEP_2) | instskip(NEXT) | instid1(VALU_DEP_2)
	v_lshlrev_b64_e64 v[12:13], v12, -1
	v_lshlrev_b64_e64 v[32:33], v32, 1
	s_delay_alu instid0(VALU_DEP_2) | instskip(NEXT) | instid1(VALU_DEP_3)
	v_bfi_b32 v35, v13, 0, 0
	v_bfi_b32 v34, v12, 0, v16
	v_lshrrev_b64 v[12:13], v31, v[16:17]
	s_delay_alu instid0(VALU_DEP_1) | instskip(NEXT) | instid1(VALU_DEP_3)
	v_mov_b64_e32 v[16:17], v[12:13]
	v_cmpx_eq_u64_e64 v[34:35], v[32:33]
; %bb.3044:                             ;   in Loop: Header=BB6_2922 Depth=4
	v_bfe_u32 v16, v12, 21, 1
	v_mov_b32_e32 v17, v21
	s_delay_alu instid0(VALU_DEP_1) | instskip(NEXT) | instid1(VALU_DEP_1)
	v_add_nc_u64_e32 v[16:17], v[12:13], v[16:17]
	v_add_nc_u64_e32 v[16:17], -1, v[16:17]
; %bb.3045:                             ;   in Loop: Header=BB6_2922 Depth=4
	s_or_b32 exec_lo, exec_lo, s76
	v_add_nc_u32_e32 v13, 0xffffff81, v19
	v_lshrrev_b32_e32 v17, 23, v12
	s_mov_b32 s14, exec_lo
	s_delay_alu instid0(VALU_DEP_2) | instskip(NEXT) | instid1(VALU_DEP_1)
	v_cndmask_b32_e64 v13, v13, 0xffffff82, s13
	v_add3_u32 v17, v31, v13, v17
	v_and_b32_e32 v13, 0x1fffff, v16
                                        ; implicit-def: $vgpr16
	s_delay_alu instid0(VALU_DEP_1) | instskip(NEXT) | instid1(VALU_DEP_1)
	v_dual_add_nc_u32 v19, 14, v17 :: v_dual_add_nc_u32 v20, v13, v12
                                        ; implicit-def: $vgpr12_vgpr13
	v_cmpx_ne_u32_e32 0, v19
	s_xor_b32 s14, exec_lo, s14
; %bb.3046:                             ;   in Loop: Header=BB6_2922 Depth=4
	s_delay_alu instid0(VALU_DEP_2) | instskip(SKIP_1) | instid1(VALU_DEP_1)
	v_cmp_lt_u64_e64 s13, 0xffffff, v[20:21]
	v_add_nc_u32_e32 v12, 15, v17
	v_cndmask_b32_e64 v16, v19, v12, s13
	v_cndmask_b32_e64 v12, 0, 1, s13
	s_delay_alu instid0(VALU_DEP_1)
	v_lshrrev_b64 v[12:13], v12, v[20:21]
; %bb.3047:                             ;   in Loop: Header=BB6_2922 Depth=4
	s_and_not1_saveexec_b32 s13, s14
; %bb.3048:                             ;   in Loop: Header=BB6_2922 Depth=4
	v_mov_b64_e32 v[12:13], v[20:21]
	v_bfe_u32 v16, v20, 23, 1
; %bb.3049:                             ;   in Loop: Header=BB6_2922 Depth=4
	s_or_b32 exec_lo, exec_lo, s13
	s_delay_alu instid0(VALU_DEP_2) | instskip(NEXT) | instid1(VALU_DEP_2)
	v_lshrrev_b64 v[12:13], 21, v[12:13]
	v_cmp_gt_i32_e64 s13, 32, v16
	v_min_i32_e32 v17, 31, v16
	v_cmp_eq_u32_e64 s14, 0, v16
	s_delay_alu instid0(VALU_DEP_3) | instskip(NEXT) | instid1(VALU_DEP_3)
	v_cndmask_b32_e64 v13, 0, v13, s13
	v_dual_lshlrev_b32 v17, 2, v17 :: v_dual_cndmask_b32 v12, 3, v12, s13
	s_delay_alu instid0(VALU_DEP_1) | instskip(NEXT) | instid1(VALU_DEP_2)
	v_and_b32_e32 v17, 0xfc, v17
	v_cmp_eq_u64_e64 s13, 0, v[12:13]
	s_delay_alu instid0(VALU_DEP_2)
	v_and_or_b32 v12, v12, 3, v17
	s_and_b32 s13, s14, s13
	s_delay_alu instid0(VALU_DEP_1) | instid1(SALU_CYCLE_1)
	v_cndmask_b32_e64 v12, v12, 0, s13
	s_delay_alu instid0(VALU_DEP_1)
	v_or_b32_e32 v31, v12, v18
.LBB6_3050:                             ;   in Loop: Header=BB6_2922 Depth=4
	s_or_b32 exec_lo, exec_lo, s75
                                        ; implicit-def: $vgpr18
.LBB6_3051:                             ;   in Loop: Header=BB6_2922 Depth=4
	s_and_not1_saveexec_b32 s13, s74
; %bb.3052:                             ;   in Loop: Header=BB6_2922 Depth=4
	v_or_b32_e32 v31, 0x7b, v18
; %bb.3053:                             ;   in Loop: Header=BB6_2922 Depth=4
	s_or_b32 exec_lo, exec_lo, s13
                                        ; implicit-def: $vgpr12
                                        ; implicit-def: $vgpr13
.LBB6_3054:                             ;   in Loop: Header=BB6_2922 Depth=4
	s_and_not1_saveexec_b32 s14, s73
	s_cbranch_execz .LBB6_3060
; %bb.3055:                             ;   in Loop: Header=BB6_2922 Depth=4
	v_cmp_ne_u64_e64 s13, 0, v[20:21]
                                        ; implicit-def: $vgpr31
	s_and_saveexec_b32 s73, s13
	s_delay_alu instid0(SALU_CYCLE_1)
	s_xor_b32 s13, exec_lo, s73
; %bb.3056:                             ;   in Loop: Header=BB6_2922 Depth=4
	v_or_b32_e32 v31, 0x7f, v13
                                        ; implicit-def: $vgpr12
; %bb.3057:                             ;   in Loop: Header=BB6_2922 Depth=4
	s_and_not1_saveexec_b32 s73, s13
; %bb.3058:                             ;   in Loop: Header=BB6_2922 Depth=4
	v_cmp_lt_i32_e64 s13, -1, v12
	v_mov_b32_e32 v12, 0x7c
	s_delay_alu instid0(VALU_DEP_1)
	v_cndmask_b32_e64 v31, 0xfc, v12, s13
; %bb.3059:                             ;   in Loop: Header=BB6_2922 Depth=4
	s_or_b32 exec_lo, exec_lo, s73
.LBB6_3060:                             ;   in Loop: Header=BB6_2922 Depth=4
	s_delay_alu instid0(SALU_CYCLE_1) | instskip(SKIP_3) | instid1(VALU_DEP_2)
	s_or_b32 exec_lo, exec_lo, s14
	v_and_b32_e32 v12, 0xff, v1
	v_dual_mov_b32 v20, v1 :: v_dual_mov_b32 v16, 0
	s_mov_b32 s14, exec_lo
	v_cmpx_ne_u16_e32 0, v12
	s_cbranch_execz .LBB6_3070
; %bb.3061:                             ;   in Loop: Header=BB6_2922 Depth=4
	v_bfrev_b32_e32 v16, 1
	s_mov_b32 s73, exec_lo
	v_cmpx_ne_u16_e32 0x80, v12
	s_cbranch_execz .LBB6_3069
; %bb.3062:                             ;   in Loop: Header=BB6_2922 Depth=4
	v_and_b32_e32 v13, 0x7c, v1
	v_and_b32_e32 v12, 3, v1
	s_mov_b32 s74, exec_lo
                                        ; implicit-def: $vgpr16
	s_delay_alu instid0(VALU_DEP_2)
	v_cmpx_ne_u32_e32 0x7c, v13
	s_xor_b32 s74, exec_lo, s74
	s_cbranch_execz .LBB6_3066
; %bb.3063:                             ;   in Loop: Header=BB6_2922 Depth=4
	v_bfe_u32 v13, v1, 2, 5
	s_mov_b32 s75, exec_lo
	s_delay_alu instid0(VALU_DEP_1)
	v_cmpx_eq_u32_e32 0, v13
; %bb.3064:                             ;   in Loop: Header=BB6_2922 Depth=4
	v_clz_i32_u32_e32 v12, v12
	s_delay_alu instid0(VALU_DEP_1) | instskip(NEXT) | instid1(VALU_DEP_1)
	v_min_u32_e32 v16, 32, v12
	v_subrev_nc_u32_e32 v12, 29, v16
	s_delay_alu instid0(VALU_DEP_1) | instskip(SKIP_1) | instid1(VALU_DEP_2)
	v_lshlrev_b64_e32 v[12:13], v12, v[20:21]
	v_sub_nc_u32_e32 v13, 30, v16
	v_and_b32_e32 v12, 3, v12
; %bb.3065:                             ;   in Loop: Header=BB6_2922 Depth=4
	s_or_b32 exec_lo, exec_lo, s75
	v_lshlrev_b32_e32 v16, 24, v1
	s_delay_alu instid0(VALU_DEP_1) | instskip(NEXT) | instid1(VALU_DEP_1)
	v_and_b32_e32 v16, 0x80000000, v16
	v_lshl_add_u32 v13, v13, 23, v16
	s_delay_alu instid0(VALU_DEP_1) | instskip(NEXT) | instid1(VALU_DEP_1)
	v_lshl_or_b32 v12, v12, 21, v13
	v_add_nc_u32_e32 v16, 0x38000000, v12
                                        ; implicit-def: $vgpr12
.LBB6_3066:                             ;   in Loop: Header=BB6_2922 Depth=4
	s_and_not1_saveexec_b32 s74, s74
; %bb.3067:                             ;   in Loop: Header=BB6_2922 Depth=4
	v_bfe_i32 v13, v1, 0, 8
	s_delay_alu instid0(VALU_DEP_1) | instskip(SKIP_1) | instid1(VALU_DEP_1)
	v_cmp_lt_i16_e64 s13, -1, v13
	v_mov_b32_e32 v13, 0x7f800000
	v_cndmask_b32_e64 v13, 0xff800000, v13, s13
	v_cmp_eq_u32_e64 s13, 0, v12
	s_delay_alu instid0(VALU_DEP_1)
	v_cndmask_b32_e64 v16, 0x7f800001, v13, s13
; %bb.3068:                             ;   in Loop: Header=BB6_2922 Depth=4
	s_or_b32 exec_lo, exec_lo, s74
.LBB6_3069:                             ;   in Loop: Header=BB6_2922 Depth=4
	s_delay_alu instid0(SALU_CYCLE_1)
	s_or_b32 exec_lo, exec_lo, s73
.LBB6_3070:                             ;   in Loop: Header=BB6_2922 Depth=4
	s_delay_alu instid0(SALU_CYCLE_1) | instskip(SKIP_4) | instid1(VALU_DEP_2)
	s_or_b32 exec_lo, exec_lo, s14
	v_and_b32_e32 v13, 0xff, v9
	v_mov_b32_e32 v12, v9
	s_mov_b32 s73, 0
	s_mov_b32 s14, exec_lo
	v_cmpx_lt_i16_e32 0x7f, v13
	s_xor_b32 s14, exec_lo, s14
	s_cbranch_execz .LBB6_3479
; %bb.3071:                             ;   in Loop: Header=BB6_2922 Depth=4
	s_mov_b32 s73, -1
	s_mov_b32 s74, exec_lo
	v_cmpx_eq_u16_e32 0x80, v13
; %bb.3072:                             ;   in Loop: Header=BB6_2922 Depth=4
	s_xor_b32 s73, exec_lo, -1
; %bb.3073:                             ;   in Loop: Header=BB6_2922 Depth=4
	s_or_b32 exec_lo, exec_lo, s74
	s_delay_alu instid0(SALU_CYCLE_1)
	s_and_b32 s73, s73, exec_lo
                                        ; implicit-def: $vgpr13
	s_or_saveexec_b32 s14, s14
	v_bfrev_b32_e32 v17, 1
	s_xor_b32 exec_lo, exec_lo, s14
	s_cbranch_execnz .LBB6_3480
.LBB6_3074:                             ;   in Loop: Header=BB6_2922 Depth=4
	s_or_b32 exec_lo, exec_lo, s14
	v_mov_b32_e32 v13, v21
	s_and_saveexec_b32 s14, s73
	s_cbranch_execz .LBB6_3076
.LBB6_3075:                             ;   in Loop: Header=BB6_2922 Depth=4
	v_and_b32_e32 v17, 3, v9
	s_delay_alu instid0(VALU_DEP_1) | instskip(NEXT) | instid1(VALU_DEP_1)
	v_clz_i32_u32_e32 v18, v17
	v_min_u32_e32 v32, 32, v18
	s_delay_alu instid0(VALU_DEP_1) | instskip(NEXT) | instid1(VALU_DEP_1)
	v_subrev_nc_u32_e32 v18, 29, v32
	v_lshlrev_b64_e32 v[18:19], v18, v[12:13]
	v_bfe_u32 v19, v9, 2, 5
	v_dual_lshlrev_b32 v13, 24, v9 :: v_dual_sub_nc_u32 v32, 30, v32
	s_delay_alu instid0(VALU_DEP_2) | instskip(NEXT) | instid1(VALU_DEP_2)
	v_cmp_eq_u32_e64 s13, 0, v19
	v_and_b32_e32 v13, 0x80000000, v13
	s_delay_alu instid0(VALU_DEP_2) | instskip(SKIP_1) | instid1(VALU_DEP_2)
	v_dual_cndmask_b32 v19, v19, v32, s13 :: v_dual_bitop2_b32 v18, 3, v18 bitop3:0x40
	v_bfe_i32 v32, v9, 0, 8
	v_cndmask_b32_e64 v18, v17, v18, s13
	s_delay_alu instid0(VALU_DEP_3) | instskip(NEXT) | instid1(VALU_DEP_3)
	v_lshl_add_u32 v13, v19, 23, v13
	v_cmp_lt_i16_e64 s13, -1, v32
	v_mov_b32_e32 v19, 0x7f800000
	s_delay_alu instid0(VALU_DEP_3) | instskip(SKIP_1) | instid1(VALU_DEP_3)
	v_lshl_or_b32 v13, v18, 21, v13
	v_and_b32_e32 v18, 0x7c, v9
	v_cndmask_b32_e64 v19, 0xff800000, v19, s13
	v_cmp_eq_u32_e64 s13, 0, v17
	s_delay_alu instid0(VALU_DEP_4) | instskip(NEXT) | instid1(VALU_DEP_2)
	v_add_nc_u32_e32 v13, 0x38000000, v13
	v_cndmask_b32_e64 v17, 0x7f800001, v19, s13
	v_cmp_eq_u32_e64 s13, 0x7c, v18
	s_delay_alu instid0(VALU_DEP_1)
	v_cndmask_b32_e64 v17, v13, v17, s13
.LBB6_3076:                             ;   in Loop: Header=BB6_2922 Depth=4
	s_or_b32 exec_lo, exec_lo, s14
	s_delay_alu instid0(VALU_DEP_1) | instskip(SKIP_2) | instid1(VALU_DEP_2)
	v_dual_mul_f32 v19, v16, v17 :: v_dual_mov_b32 v33, v21
	v_mov_b32_e32 v17, v21
                                        ; implicit-def: $vgpr18
	s_mov_b32 s14, exec_lo
	v_and_b32_e32 v32, 0x7f800000, v19
	v_and_b32_e32 v16, 0x7fffff, v19
	v_lshrrev_b32_e32 v13, 24, v19
	s_delay_alu instid0(VALU_DEP_3)
	v_cmpx_ne_u64_e32 0x7f800000, v[32:33]
	s_xor_b32 s73, exec_lo, s14
	s_cbranch_execz .LBB6_3090
; %bb.3077:                             ;   in Loop: Header=BB6_2922 Depth=4
	v_and_b32_e32 v32, 0x7fffffff, v19
	v_mov_b32_e32 v33, v21
	v_and_b32_e32 v13, 0x80, v13
                                        ; implicit-def: $vgpr18
	s_mov_b32 s14, exec_lo
	s_delay_alu instid0(VALU_DEP_2)
	v_cmpx_gt_u64_e32 0x47600001, v[32:33]
	s_xor_b32 s74, exec_lo, s14
	s_cbranch_execz .LBB6_3087
; %bb.3078:                             ;   in Loop: Header=BB6_2922 Depth=4
	v_mov_b32_e32 v18, 0
	s_mov_b32 s75, exec_lo
	v_cmpx_ne_u32_e32 0, v19
	s_cbranch_execz .LBB6_3086
; %bb.3079:                             ;   in Loop: Header=BB6_2922 Depth=4
	v_bfe_u32 v32, v19, 23, 8
	v_or_b32_e32 v34, 0x800000, v16
	s_delay_alu instid0(VALU_DEP_2) | instskip(SKIP_1) | instid1(VALU_DEP_1)
	v_sub_nc_u32_e32 v18, 0x71, v32
	v_cmp_gt_u32_e64 s13, 0x72, v32
	v_cndmask_b32_e64 v18, 0, v18, s13
	v_cmp_eq_u32_e64 s13, 0, v32
	s_delay_alu instid0(VALU_DEP_1) | instskip(NEXT) | instid1(VALU_DEP_1)
	v_cndmask_b32_e64 v33, v18, 0x70, s13
	v_dual_cndmask_b32 v16, v34, v16, s13 :: v_dual_add_nc_u32 v18, 21, v33
	v_add_nc_u32_e32 v35, 20, v33
	s_delay_alu instid0(VALU_DEP_2) | instskip(NEXT) | instid1(VALU_DEP_2)
	v_lshlrev_b64_e64 v[18:19], v18, -1
	v_lshlrev_b64_e64 v[34:35], v35, 1
	s_delay_alu instid0(VALU_DEP_2) | instskip(SKIP_1) | instid1(VALU_DEP_4)
	v_bfi_b32 v18, v18, 0, v16
	v_lshrrev_b64 v[16:17], v33, v[16:17]
	v_bfi_b32 v19, v19, 0, 0
	s_delay_alu instid0(VALU_DEP_1) | instskip(NEXT) | instid1(VALU_DEP_3)
	v_cmp_eq_u64_e64 s14, v[18:19], v[34:35]
	v_mov_b64_e32 v[18:19], v[16:17]
	s_and_saveexec_b32 s76, s14
; %bb.3080:                             ;   in Loop: Header=BB6_2922 Depth=4
	v_bfe_u32 v18, v16, 21, 1
	v_mov_b32_e32 v19, v21
	s_delay_alu instid0(VALU_DEP_1) | instskip(NEXT) | instid1(VALU_DEP_1)
	v_add_nc_u64_e32 v[18:19], v[16:17], v[18:19]
	v_add_nc_u64_e32 v[18:19], -1, v[18:19]
; %bb.3081:                             ;   in Loop: Header=BB6_2922 Depth=4
	s_or_b32 exec_lo, exec_lo, s76
	v_add_nc_u32_e32 v17, 0xffffff81, v32
	v_lshrrev_b32_e32 v19, 23, v16
	s_mov_b32 s14, exec_lo
	s_delay_alu instid0(VALU_DEP_2) | instskip(NEXT) | instid1(VALU_DEP_1)
	v_cndmask_b32_e64 v17, v17, 0xffffff82, s13
	v_add3_u32 v19, v33, v17, v19
	v_and_b32_e32 v17, 0x1fffff, v18
                                        ; implicit-def: $vgpr18
	s_delay_alu instid0(VALU_DEP_1) | instskip(SKIP_1) | instid1(VALU_DEP_2)
	v_dual_add_nc_u32 v32, 14, v19 :: v_dual_add_nc_u32 v16, v17, v16
	v_mov_b32_e32 v17, v21
	v_cmpx_ne_u32_e32 0, v32
	s_xor_b32 s14, exec_lo, s14
; %bb.3082:                             ;   in Loop: Header=BB6_2922 Depth=4
	s_delay_alu instid0(VALU_DEP_2) | instskip(SKIP_1) | instid1(VALU_DEP_2)
	v_cmp_lt_u64_e64 s13, 0xffffff, v[16:17]
	v_add_nc_u32_e32 v18, 15, v19
	v_cndmask_b32_e64 v19, 0, 1, s13
	s_delay_alu instid0(VALU_DEP_2) | instskip(NEXT) | instid1(VALU_DEP_2)
	v_cndmask_b32_e64 v18, v32, v18, s13
	v_lshrrev_b64 v[16:17], v19, v[16:17]
; %bb.3083:                             ;   in Loop: Header=BB6_2922 Depth=4
	s_and_not1_saveexec_b32 s13, s14
; %bb.3084:                             ;   in Loop: Header=BB6_2922 Depth=4
	s_delay_alu instid0(VALU_DEP_1)
	v_bfe_u32 v18, v16, 23, 1
; %bb.3085:                             ;   in Loop: Header=BB6_2922 Depth=4
	s_or_b32 exec_lo, exec_lo, s13
	s_delay_alu instid0(VALU_DEP_2) | instskip(NEXT) | instid1(VALU_DEP_2)
	v_lshrrev_b64 v[16:17], 21, v[16:17]
	v_cmp_gt_i32_e64 s13, 32, v18
	v_min_i32_e32 v19, 31, v18
	v_cmp_eq_u32_e64 s14, 0, v18
	s_delay_alu instid0(VALU_DEP_2) | instskip(SKIP_1) | instid1(VALU_DEP_2)
	v_dual_cndmask_b32 v17, 0, v17, s13 :: v_dual_lshlrev_b32 v19, 2, v19
	v_cndmask_b32_e64 v16, 3, v16, s13
	v_and_b32_e32 v19, 0xfc, v19
	s_delay_alu instid0(VALU_DEP_2) | instskip(NEXT) | instid1(VALU_DEP_2)
	v_cmp_eq_u64_e64 s13, 0, v[16:17]
	v_and_or_b32 v16, v16, 3, v19
	s_and_b32 s13, s14, s13
	s_delay_alu instid0(VALU_DEP_1) | instid1(SALU_CYCLE_1)
	v_cndmask_b32_e64 v16, v16, 0, s13
	s_delay_alu instid0(VALU_DEP_1)
	v_or_b32_e32 v18, v16, v13
.LBB6_3086:                             ;   in Loop: Header=BB6_2922 Depth=4
	s_or_b32 exec_lo, exec_lo, s75
                                        ; implicit-def: $vgpr13
.LBB6_3087:                             ;   in Loop: Header=BB6_2922 Depth=4
	s_and_not1_saveexec_b32 s13, s74
; %bb.3088:                             ;   in Loop: Header=BB6_2922 Depth=4
	v_or_b32_e32 v18, 0x7b, v13
; %bb.3089:                             ;   in Loop: Header=BB6_2922 Depth=4
	s_or_b32 exec_lo, exec_lo, s13
                                        ; implicit-def: $vgpr19
                                        ; implicit-def: $vgpr16_vgpr17
                                        ; implicit-def: $vgpr13
.LBB6_3090:                             ;   in Loop: Header=BB6_2922 Depth=4
	s_and_not1_saveexec_b32 s14, s73
	s_cbranch_execz .LBB6_3096
; %bb.3091:                             ;   in Loop: Header=BB6_2922 Depth=4
	v_cmp_ne_u64_e64 s13, 0, v[16:17]
                                        ; implicit-def: $vgpr18
	s_and_saveexec_b32 s73, s13
	s_delay_alu instid0(SALU_CYCLE_1)
	s_xor_b32 s13, exec_lo, s73
; %bb.3092:                             ;   in Loop: Header=BB6_2922 Depth=4
	v_or_b32_e32 v18, 0x7f, v13
                                        ; implicit-def: $vgpr19
; %bb.3093:                             ;   in Loop: Header=BB6_2922 Depth=4
	s_and_not1_saveexec_b32 s73, s13
; %bb.3094:                             ;   in Loop: Header=BB6_2922 Depth=4
	v_cmp_lt_i32_e64 s13, -1, v19
	v_mov_b32_e32 v13, 0x7c
	s_delay_alu instid0(VALU_DEP_1)
	v_cndmask_b32_e64 v18, 0xfc, v13, s13
; %bb.3095:                             ;   in Loop: Header=BB6_2922 Depth=4
	s_or_b32 exec_lo, exec_lo, s73
.LBB6_3096:                             ;   in Loop: Header=BB6_2922 Depth=4
	s_delay_alu instid0(SALU_CYCLE_1) | instskip(SKIP_3) | instid1(VALU_DEP_2)
	s_or_b32 exec_lo, exec_lo, s14
	v_lshrrev_b16 v16, 8, v20
	v_mov_b32_e32 v13, 0
	s_mov_b32 s14, exec_lo
	v_cmpx_ne_u16_e32 0, v16
	s_cbranch_execz .LBB6_3106
; %bb.3097:                             ;   in Loop: Header=BB6_2922 Depth=4
	v_bfrev_b32_e32 v13, 1
	s_mov_b32 s73, exec_lo
	v_cmpx_ne_u16_e32 0x80, v16
	s_cbranch_execz .LBB6_3105
; %bb.3098:                             ;   in Loop: Header=BB6_2922 Depth=4
	v_and_b32_e32 v19, 0xffff, v16
	s_delay_alu instid0(VALU_DEP_1) | instskip(SKIP_1) | instid1(VALU_DEP_2)
	v_and_b32_e32 v13, 0x7c, v19
	v_and_b32_e32 v17, 3, v19
	v_cmp_ne_u32_e64 s13, 0x7c, v13
                                        ; implicit-def: $vgpr13
	s_and_saveexec_b32 s74, s13
	s_delay_alu instid0(SALU_CYCLE_1)
	s_xor_b32 s74, exec_lo, s74
	s_cbranch_execz .LBB6_3102
; %bb.3099:                             ;   in Loop: Header=BB6_2922 Depth=4
	v_bfe_u32 v13, v19, 2, 5
	s_mov_b32 s75, exec_lo
	s_delay_alu instid0(VALU_DEP_1)
	v_cmpx_eq_u32_e32 0, v13
	s_cbranch_execz .LBB6_3101
; %bb.3100:                             ;   in Loop: Header=BB6_2922 Depth=4
	v_clz_i32_u32_e32 v13, v17
	s_delay_alu instid0(VALU_DEP_1) | instskip(SKIP_1) | instid1(VALU_DEP_2)
	v_min_u32_e32 v13, 32, v13
	v_mov_b32_e32 v17, v21
	v_subrev_nc_u32_e32 v19, 29, v13
	v_sub_nc_u32_e32 v13, 30, v13
	s_delay_alu instid0(VALU_DEP_2) | instskip(NEXT) | instid1(VALU_DEP_1)
	v_lshlrev_b64_e32 v[16:17], v19, v[16:17]
	v_and_b32_e32 v17, 3, v16
.LBB6_3101:                             ;   in Loop: Header=BB6_2922 Depth=4
	s_or_b32 exec_lo, exec_lo, s75
	v_lshlrev_b32_e32 v16, 16, v20
	s_delay_alu instid0(VALU_DEP_1) | instskip(NEXT) | instid1(VALU_DEP_1)
	v_and_b32_e32 v16, 0x80000000, v16
	v_lshl_add_u32 v13, v13, 23, v16
	s_delay_alu instid0(VALU_DEP_1) | instskip(NEXT) | instid1(VALU_DEP_1)
	v_lshl_or_b32 v13, v17, 21, v13
                                        ; implicit-def: $vgpr17
	v_add_nc_u32_e32 v13, 0x38000000, v13
.LBB6_3102:                             ;   in Loop: Header=BB6_2922 Depth=4
	s_and_not1_saveexec_b32 s74, s74
; %bb.3103:                             ;   in Loop: Header=BB6_2922 Depth=4
	v_cmp_lt_i16_e64 s13, -1, v20
	v_mov_b32_e32 v13, 0x7f800000
	s_delay_alu instid0(VALU_DEP_1) | instskip(SKIP_1) | instid1(VALU_DEP_1)
	v_cndmask_b32_e64 v13, 0xff800000, v13, s13
	v_cmp_eq_u32_e64 s13, 0, v17
	v_cndmask_b32_e64 v13, 0x7f800001, v13, s13
; %bb.3104:                             ;   in Loop: Header=BB6_2922 Depth=4
	s_or_b32 exec_lo, exec_lo, s74
.LBB6_3105:                             ;   in Loop: Header=BB6_2922 Depth=4
	s_delay_alu instid0(SALU_CYCLE_1)
	s_or_b32 exec_lo, exec_lo, s73
.LBB6_3106:                             ;   in Loop: Header=BB6_2922 Depth=4
	s_delay_alu instid0(SALU_CYCLE_1) | instskip(SKIP_3) | instid1(VALU_DEP_1)
	s_or_b32 exec_lo, exec_lo, s14
	v_lshrrev_b16 v16, 8, v12
	s_mov_b32 s73, 0
	s_mov_b32 s14, exec_lo
	v_cmpx_lt_i16_e32 0x7f, v16
	s_xor_b32 s14, exec_lo, s14
	s_cbranch_execz .LBB6_3481
; %bb.3107:                             ;   in Loop: Header=BB6_2922 Depth=4
	s_mov_b32 s73, -1
	s_mov_b32 s74, exec_lo
	v_cmpx_eq_u16_e32 0x80, v16
; %bb.3108:                             ;   in Loop: Header=BB6_2922 Depth=4
	s_xor_b32 s73, exec_lo, -1
; %bb.3109:                             ;   in Loop: Header=BB6_2922 Depth=4
	s_or_b32 exec_lo, exec_lo, s74
	s_delay_alu instid0(SALU_CYCLE_1)
	s_and_b32 s73, s73, exec_lo
	s_or_saveexec_b32 s14, s14
	v_bfrev_b32_e32 v17, 1
	s_xor_b32 exec_lo, exec_lo, s14
	s_cbranch_execnz .LBB6_3482
.LBB6_3110:                             ;   in Loop: Header=BB6_2922 Depth=4
	s_or_b32 exec_lo, exec_lo, s14
	s_and_saveexec_b32 s14, s73
	s_cbranch_execz .LBB6_3112
.LBB6_3111:                             ;   in Loop: Header=BB6_2922 Depth=4
	v_and_b32_e32 v19, 0xffff, v16
	s_delay_alu instid0(VALU_DEP_1) | instskip(NEXT) | instid1(VALU_DEP_1)
	v_and_b32_e32 v20, 3, v19
	v_clz_i32_u32_e32 v17, v20
	s_delay_alu instid0(VALU_DEP_1) | instskip(SKIP_1) | instid1(VALU_DEP_2)
	v_min_u32_e32 v34, 32, v17
	v_mov_b32_e32 v17, v21
	v_subrev_nc_u32_e32 v32, 29, v34
	s_delay_alu instid0(VALU_DEP_1) | instskip(SKIP_2) | instid1(VALU_DEP_2)
	v_lshlrev_b64_e32 v[32:33], v32, v[16:17]
	v_bfe_u32 v17, v19, 2, 5
	v_dual_lshlrev_b32 v16, 24, v16 :: v_dual_sub_nc_u32 v33, 30, v34
	v_cmp_eq_u32_e64 s13, 0, v17
	s_delay_alu instid0(VALU_DEP_2) | instskip(NEXT) | instid1(VALU_DEP_2)
	v_and_b32_e32 v16, 0x80000000, v16
	v_dual_cndmask_b32 v17, v17, v33, s13 :: v_dual_bitop2_b32 v32, 3, v32 bitop3:0x40
	s_delay_alu instid0(VALU_DEP_1) | instskip(SKIP_2) | instid1(VALU_DEP_4)
	v_cndmask_b32_e64 v32, v20, v32, s13
	v_cmp_lt_i16_e64 s13, -1, v12
	v_mov_b32_e32 v12, 0x7f800000
	v_lshl_add_u32 v16, v17, 23, v16
	v_and_b32_e32 v17, 0x7c, v19
	s_delay_alu instid0(VALU_DEP_3) | instskip(NEXT) | instid1(VALU_DEP_3)
	v_cndmask_b32_e64 v12, 0xff800000, v12, s13
	v_lshl_or_b32 v16, v32, 21, v16
	v_cmp_eq_u32_e64 s13, 0, v20
	s_delay_alu instid0(VALU_DEP_2) | instskip(NEXT) | instid1(VALU_DEP_2)
	v_add_nc_u32_e32 v16, 0x38000000, v16
	v_cndmask_b32_e64 v12, 0x7f800001, v12, s13
	v_cmp_eq_u32_e64 s13, 0x7c, v17
	s_delay_alu instid0(VALU_DEP_1)
	v_cndmask_b32_e64 v17, v16, v12, s13
.LBB6_3112:                             ;   in Loop: Header=BB6_2922 Depth=4
	s_or_b32 exec_lo, exec_lo, s14
	s_delay_alu instid0(VALU_DEP_1) | instskip(SKIP_2) | instid1(VALU_DEP_2)
	v_mul_f32_e32 v12, v13, v17
	v_mov_b32_e32 v17, v21
                                        ; implicit-def: $vgpr19
	s_mov_b32 s14, exec_lo
	v_and_b32_e32 v16, 0x7f800000, v12
	v_and_b32_e32 v20, 0x7fffff, v12
	v_lshrrev_b32_e32 v13, 24, v12
	s_delay_alu instid0(VALU_DEP_3)
	v_cmpx_ne_u64_e32 0x7f800000, v[16:17]
	s_xor_b32 s73, exec_lo, s14
	s_cbranch_execz .LBB6_3126
; %bb.3113:                             ;   in Loop: Header=BB6_2922 Depth=4
	v_and_b32_e32 v16, 0x7fffffff, v12
	v_mov_b32_e32 v17, v21
	v_and_b32_e32 v32, 0x80, v13
                                        ; implicit-def: $vgpr19
	s_mov_b32 s14, exec_lo
	s_delay_alu instid0(VALU_DEP_2)
	v_cmpx_gt_u64_e32 0x47600001, v[16:17]
	s_xor_b32 s74, exec_lo, s14
	s_cbranch_execz .LBB6_3123
; %bb.3114:                             ;   in Loop: Header=BB6_2922 Depth=4
	v_mov_b32_e32 v19, 0
	s_mov_b32 s75, exec_lo
	v_cmpx_ne_u32_e32 0, v12
	s_cbranch_execz .LBB6_3122
; %bb.3115:                             ;   in Loop: Header=BB6_2922 Depth=4
	v_bfe_u32 v19, v12, 23, 8
	v_or_b32_e32 v16, 0x800000, v20
	s_mov_b32 s76, exec_lo
	s_delay_alu instid0(VALU_DEP_2) | instskip(SKIP_1) | instid1(VALU_DEP_1)
	v_dual_mov_b32 v17, v21 :: v_dual_sub_nc_u32 v12, 0x71, v19
	v_cmp_gt_u32_e64 s13, 0x72, v19
	v_cndmask_b32_e64 v12, 0, v12, s13
	v_cmp_eq_u32_e64 s13, 0, v19
	s_delay_alu instid0(VALU_DEP_1) | instskip(NEXT) | instid1(VALU_DEP_1)
	v_cndmask_b32_e64 v33, v12, 0x70, s13
	v_dual_cndmask_b32 v16, v16, v20, s13 :: v_dual_add_nc_u32 v12, 21, v33
	v_add_nc_u32_e32 v34, 20, v33
	s_delay_alu instid0(VALU_DEP_2) | instskip(NEXT) | instid1(VALU_DEP_2)
	v_lshlrev_b64_e64 v[12:13], v12, -1
	v_lshlrev_b64_e64 v[34:35], v34, 1
	s_delay_alu instid0(VALU_DEP_2) | instskip(NEXT) | instid1(VALU_DEP_3)
	v_bfi_b32 v37, v13, 0, 0
	v_bfi_b32 v36, v12, 0, v16
	v_lshrrev_b64 v[12:13], v33, v[16:17]
	s_delay_alu instid0(VALU_DEP_1) | instskip(NEXT) | instid1(VALU_DEP_3)
	v_mov_b64_e32 v[16:17], v[12:13]
	v_cmpx_eq_u64_e64 v[36:37], v[34:35]
; %bb.3116:                             ;   in Loop: Header=BB6_2922 Depth=4
	v_bfe_u32 v16, v12, 21, 1
	v_mov_b32_e32 v17, v21
	s_delay_alu instid0(VALU_DEP_1) | instskip(NEXT) | instid1(VALU_DEP_1)
	v_add_nc_u64_e32 v[16:17], v[12:13], v[16:17]
	v_add_nc_u64_e32 v[16:17], -1, v[16:17]
; %bb.3117:                             ;   in Loop: Header=BB6_2922 Depth=4
	s_or_b32 exec_lo, exec_lo, s76
	v_add_nc_u32_e32 v13, 0xffffff81, v19
	v_lshrrev_b32_e32 v17, 23, v12
	s_mov_b32 s14, exec_lo
	s_delay_alu instid0(VALU_DEP_2) | instskip(NEXT) | instid1(VALU_DEP_1)
	v_cndmask_b32_e64 v13, v13, 0xffffff82, s13
	v_add3_u32 v17, v33, v13, v17
	v_and_b32_e32 v13, 0x1fffff, v16
                                        ; implicit-def: $vgpr16
	s_delay_alu instid0(VALU_DEP_1) | instskip(NEXT) | instid1(VALU_DEP_1)
	v_dual_add_nc_u32 v19, 14, v17 :: v_dual_add_nc_u32 v20, v13, v12
                                        ; implicit-def: $vgpr12_vgpr13
	v_cmpx_ne_u32_e32 0, v19
	s_xor_b32 s14, exec_lo, s14
; %bb.3118:                             ;   in Loop: Header=BB6_2922 Depth=4
	s_delay_alu instid0(VALU_DEP_2) | instskip(SKIP_1) | instid1(VALU_DEP_1)
	v_cmp_lt_u64_e64 s13, 0xffffff, v[20:21]
	v_add_nc_u32_e32 v12, 15, v17
	v_cndmask_b32_e64 v16, v19, v12, s13
	v_cndmask_b32_e64 v12, 0, 1, s13
	s_delay_alu instid0(VALU_DEP_1)
	v_lshrrev_b64 v[12:13], v12, v[20:21]
; %bb.3119:                             ;   in Loop: Header=BB6_2922 Depth=4
	s_and_not1_saveexec_b32 s13, s14
; %bb.3120:                             ;   in Loop: Header=BB6_2922 Depth=4
	v_mov_b64_e32 v[12:13], v[20:21]
	v_bfe_u32 v16, v20, 23, 1
; %bb.3121:                             ;   in Loop: Header=BB6_2922 Depth=4
	s_or_b32 exec_lo, exec_lo, s13
	s_delay_alu instid0(VALU_DEP_2) | instskip(NEXT) | instid1(VALU_DEP_2)
	v_lshrrev_b64 v[12:13], 21, v[12:13]
	v_cmp_gt_i32_e64 s13, 32, v16
	v_min_i32_e32 v17, 31, v16
	v_cmp_eq_u32_e64 s14, 0, v16
	s_delay_alu instid0(VALU_DEP_3) | instskip(NEXT) | instid1(VALU_DEP_3)
	v_cndmask_b32_e64 v13, 0, v13, s13
	v_dual_lshlrev_b32 v17, 2, v17 :: v_dual_cndmask_b32 v12, 3, v12, s13
	s_delay_alu instid0(VALU_DEP_1) | instskip(NEXT) | instid1(VALU_DEP_2)
	v_and_b32_e32 v17, 0xfc, v17
	v_cmp_eq_u64_e64 s13, 0, v[12:13]
	s_delay_alu instid0(VALU_DEP_2)
	v_and_or_b32 v12, v12, 3, v17
	s_and_b32 s13, s14, s13
	s_delay_alu instid0(VALU_DEP_1) | instid1(SALU_CYCLE_1)
	v_cndmask_b32_e64 v12, v12, 0, s13
	s_delay_alu instid0(VALU_DEP_1)
	v_or_b32_e32 v19, v12, v32
.LBB6_3122:                             ;   in Loop: Header=BB6_2922 Depth=4
	s_or_b32 exec_lo, exec_lo, s75
                                        ; implicit-def: $vgpr32
.LBB6_3123:                             ;   in Loop: Header=BB6_2922 Depth=4
	s_and_not1_saveexec_b32 s13, s74
; %bb.3124:                             ;   in Loop: Header=BB6_2922 Depth=4
	v_or_b32_e32 v19, 0x7b, v32
; %bb.3125:                             ;   in Loop: Header=BB6_2922 Depth=4
	s_or_b32 exec_lo, exec_lo, s13
                                        ; implicit-def: $vgpr12
                                        ; implicit-def: $vgpr13
.LBB6_3126:                             ;   in Loop: Header=BB6_2922 Depth=4
	s_and_not1_saveexec_b32 s14, s73
	s_cbranch_execz .LBB6_3132
; %bb.3127:                             ;   in Loop: Header=BB6_2922 Depth=4
	v_cmp_ne_u64_e64 s13, 0, v[20:21]
                                        ; implicit-def: $vgpr19
	s_and_saveexec_b32 s73, s13
	s_delay_alu instid0(SALU_CYCLE_1)
	s_xor_b32 s13, exec_lo, s73
; %bb.3128:                             ;   in Loop: Header=BB6_2922 Depth=4
	v_or_b32_e32 v19, 0x7f, v13
                                        ; implicit-def: $vgpr12
; %bb.3129:                             ;   in Loop: Header=BB6_2922 Depth=4
	s_and_not1_saveexec_b32 s73, s13
; %bb.3130:                             ;   in Loop: Header=BB6_2922 Depth=4
	v_cmp_lt_i32_e64 s13, -1, v12
	v_mov_b32_e32 v12, 0x7c
	s_delay_alu instid0(VALU_DEP_1)
	v_cndmask_b32_e64 v19, 0xfc, v12, s13
; %bb.3131:                             ;   in Loop: Header=BB6_2922 Depth=4
	s_or_b32 exec_lo, exec_lo, s73
.LBB6_3132:                             ;   in Loop: Header=BB6_2922 Depth=4
	s_delay_alu instid0(SALU_CYCLE_1) | instskip(SKIP_2) | instid1(VALU_DEP_1)
	s_or_b32 exec_lo, exec_lo, s14
	v_dual_mov_b32 v13, 0 :: v_dual_lshrrev_b32 v12, 16, v1
	s_mov_b32 s14, exec_lo
	v_and_b32_e32 v16, 0xff, v12
	s_delay_alu instid0(VALU_DEP_1)
	v_cmpx_ne_u16_e32 0, v16
	s_cbranch_execz .LBB6_3142
; %bb.3133:                             ;   in Loop: Header=BB6_2922 Depth=4
	v_bfrev_b32_e32 v13, 1
	s_mov_b32 s73, exec_lo
	v_cmpx_ne_u16_e32 0x80, v16
	s_cbranch_execz .LBB6_3141
; %bb.3134:                             ;   in Loop: Header=BB6_2922 Depth=4
	v_and_b32_e32 v13, 0x7c0000, v1
	v_bfe_u32 v16, v1, 16, 2
	s_delay_alu instid0(VALU_DEP_2) | instskip(SKIP_1) | instid1(SALU_CYCLE_1)
	v_cmp_ne_u32_e64 s13, 0x7c0000, v13
                                        ; implicit-def: $vgpr13
	s_and_saveexec_b32 s74, s13
	s_xor_b32 s74, exec_lo, s74
	s_cbranch_execz .LBB6_3138
; %bb.3135:                             ;   in Loop: Header=BB6_2922 Depth=4
	v_bfe_u32 v13, v1, 18, 5
	s_mov_b32 s75, exec_lo
	s_delay_alu instid0(VALU_DEP_1)
	v_cmpx_eq_u32_e32 0, v13
; %bb.3136:                             ;   in Loop: Header=BB6_2922 Depth=4
	v_clz_i32_u32_e32 v13, v16
	s_delay_alu instid0(VALU_DEP_1) | instskip(NEXT) | instid1(VALU_DEP_1)
	v_min_u32_e32 v13, 32, v13
	v_subrev_nc_u32_e32 v16, 29, v13
	s_delay_alu instid0(VALU_DEP_1) | instskip(NEXT) | instid1(VALU_DEP_1)
	v_lshlrev_b64_e32 v[16:17], v16, v[12:13]
	v_dual_sub_nc_u32 v13, 30, v13 :: v_dual_bitop2_b32 v16, 3, v16 bitop3:0x40
; %bb.3137:                             ;   in Loop: Header=BB6_2922 Depth=4
	s_or_b32 exec_lo, exec_lo, s75
	v_lshlrev_b32_e32 v12, 24, v12
	s_delay_alu instid0(VALU_DEP_1) | instskip(NEXT) | instid1(VALU_DEP_1)
	v_and_b32_e32 v12, 0x80000000, v12
	v_lshl_add_u32 v12, v13, 23, v12
	s_delay_alu instid0(VALU_DEP_1) | instskip(NEXT) | instid1(VALU_DEP_1)
	v_lshl_or_b32 v12, v16, 21, v12
                                        ; implicit-def: $vgpr16
	v_add_nc_u32_e32 v13, 0x38000000, v12
                                        ; implicit-def: $vgpr12
.LBB6_3138:                             ;   in Loop: Header=BB6_2922 Depth=4
	s_and_not1_saveexec_b32 s74, s74
; %bb.3139:                             ;   in Loop: Header=BB6_2922 Depth=4
	v_bfe_i32 v12, v12, 0, 8
	s_delay_alu instid0(VALU_DEP_1) | instskip(SKIP_1) | instid1(VALU_DEP_1)
	v_cmp_lt_i16_e64 s13, -1, v12
	v_mov_b32_e32 v12, 0x7f800000
	v_cndmask_b32_e64 v12, 0xff800000, v12, s13
	v_cmp_eq_u32_e64 s13, 0, v16
	s_delay_alu instid0(VALU_DEP_1)
	v_cndmask_b32_e64 v13, 0x7f800001, v12, s13
; %bb.3140:                             ;   in Loop: Header=BB6_2922 Depth=4
	s_or_b32 exec_lo, exec_lo, s74
.LBB6_3141:                             ;   in Loop: Header=BB6_2922 Depth=4
	s_delay_alu instid0(SALU_CYCLE_1)
	s_or_b32 exec_lo, exec_lo, s73
.LBB6_3142:                             ;   in Loop: Header=BB6_2922 Depth=4
	s_delay_alu instid0(SALU_CYCLE_1) | instskip(SKIP_3) | instid1(VALU_DEP_1)
	s_or_b32 exec_lo, exec_lo, s14
	v_lshrrev_b32_e32 v12, 16, v9
	s_mov_b32 s73, 0
	s_mov_b32 s14, exec_lo
	v_and_b32_e32 v17, 0xff, v12
	s_delay_alu instid0(VALU_DEP_1)
	v_cmpx_lt_i16_e32 0x7f, v17
	s_xor_b32 s14, exec_lo, s14
	s_cbranch_execz .LBB6_3483
; %bb.3143:                             ;   in Loop: Header=BB6_2922 Depth=4
	s_mov_b32 s73, -1
	s_mov_b32 s74, exec_lo
	v_cmpx_eq_u16_e32 0x80, v17
; %bb.3144:                             ;   in Loop: Header=BB6_2922 Depth=4
	s_xor_b32 s73, exec_lo, -1
; %bb.3145:                             ;   in Loop: Header=BB6_2922 Depth=4
	s_or_b32 exec_lo, exec_lo, s74
	s_delay_alu instid0(SALU_CYCLE_1)
	s_and_b32 s73, s73, exec_lo
                                        ; implicit-def: $vgpr17
	s_or_saveexec_b32 s14, s14
	v_bfrev_b32_e32 v16, 1
	s_xor_b32 exec_lo, exec_lo, s14
	s_cbranch_execnz .LBB6_3484
.LBB6_3146:                             ;   in Loop: Header=BB6_2922 Depth=4
	s_or_b32 exec_lo, exec_lo, s14
	s_and_saveexec_b32 s14, s73
	s_cbranch_execz .LBB6_3148
.LBB6_3147:                             ;   in Loop: Header=BB6_2922 Depth=4
	v_and_b32_e32 v20, 3, v12
	v_bfe_u32 v33, v9, 18, 5
	s_delay_alu instid0(VALU_DEP_2) | instskip(NEXT) | instid1(VALU_DEP_2)
	v_clz_i32_u32_e32 v16, v20
	v_cmp_eq_u32_e64 s13, 0, v33
	s_delay_alu instid0(VALU_DEP_2) | instskip(NEXT) | instid1(VALU_DEP_1)
	v_min_u32_e32 v32, 32, v16
	v_subrev_nc_u32_e32 v16, 29, v32
	v_sub_nc_u32_e32 v32, 30, v32
	s_delay_alu instid0(VALU_DEP_2) | instskip(SKIP_1) | instid1(VALU_DEP_3)
	v_lshlrev_b64_e32 v[16:17], v16, v[12:13]
	v_lshlrev_b32_e32 v17, 24, v12
	v_cndmask_b32_e64 v32, v33, v32, s13
	v_bfe_i32 v12, v12, 0, 8
	s_delay_alu instid0(VALU_DEP_3) | instskip(SKIP_1) | instid1(VALU_DEP_2)
	v_and_b32_e32 v17, 0x80000000, v17
	v_and_b32_e32 v16, 3, v16
	v_lshl_add_u32 v17, v32, 23, v17
	s_delay_alu instid0(VALU_DEP_2) | instskip(SKIP_2) | instid1(VALU_DEP_3)
	v_cndmask_b32_e64 v16, v20, v16, s13
	v_cmp_lt_i16_e64 s13, -1, v12
	v_mov_b32_e32 v12, 0x7f800000
	v_lshl_or_b32 v16, v16, 21, v17
	v_and_b32_e32 v17, 0x7c0000, v9
	s_delay_alu instid0(VALU_DEP_3) | instskip(SKIP_1) | instid1(VALU_DEP_4)
	v_cndmask_b32_e64 v12, 0xff800000, v12, s13
	v_cmp_eq_u32_e64 s13, 0, v20
	v_add_nc_u32_e32 v16, 0x38000000, v16
	s_delay_alu instid0(VALU_DEP_2) | instskip(SKIP_1) | instid1(VALU_DEP_1)
	v_cndmask_b32_e64 v12, 0x7f800001, v12, s13
	v_cmp_eq_u32_e64 s13, 0x7c0000, v17
	v_cndmask_b32_e64 v16, v16, v12, s13
.LBB6_3148:                             ;   in Loop: Header=BB6_2922 Depth=4
	s_or_b32 exec_lo, exec_lo, s14
	s_delay_alu instid0(VALU_DEP_1) | instskip(NEXT) | instid1(VALU_DEP_1)
	v_mul_f32_e32 v12, v13, v16
	v_dual_mov_b32 v17, v21 :: v_dual_lshrrev_b32 v13, 24, v12
	v_and_b32_e32 v16, 0x7f800000, v12
	v_and_b32_e32 v20, 0x7fffff, v12
	s_delay_alu instid0(VALU_DEP_2) | instskip(SKIP_1) | instid1(SALU_CYCLE_1)
	v_cmp_ne_u64_e64 s13, 0x7f800000, v[16:17]
                                        ; implicit-def: $vgpr16
	s_and_saveexec_b32 s14, s13
	s_xor_b32 s73, exec_lo, s14
	s_cbranch_execz .LBB6_3162
; %bb.3149:                             ;   in Loop: Header=BB6_2922 Depth=4
	v_and_b32_e32 v16, 0x7fffffff, v12
	v_mov_b32_e32 v17, v21
	v_and_b32_e32 v32, 0x80, v13
	s_delay_alu instid0(VALU_DEP_2) | instskip(SKIP_1) | instid1(SALU_CYCLE_1)
	v_cmp_gt_u64_e64 s13, 0x47600001, v[16:17]
                                        ; implicit-def: $vgpr16
	s_and_saveexec_b32 s14, s13
	s_xor_b32 s74, exec_lo, s14
	s_cbranch_execz .LBB6_3159
; %bb.3150:                             ;   in Loop: Header=BB6_2922 Depth=4
	v_mov_b32_e32 v16, 0
	s_mov_b32 s75, exec_lo
	v_cmpx_ne_u32_e32 0, v12
	s_cbranch_execz .LBB6_3158
; %bb.3151:                             ;   in Loop: Header=BB6_2922 Depth=4
	v_bfe_u32 v33, v12, 23, 8
	v_or_b32_e32 v16, 0x800000, v20
	s_mov_b32 s76, exec_lo
	s_delay_alu instid0(VALU_DEP_2) | instskip(SKIP_1) | instid1(VALU_DEP_1)
	v_dual_mov_b32 v17, v21 :: v_dual_sub_nc_u32 v12, 0x71, v33
	v_cmp_gt_u32_e64 s13, 0x72, v33
	v_cndmask_b32_e64 v12, 0, v12, s13
	v_cmp_eq_u32_e64 s13, 0, v33
	s_delay_alu instid0(VALU_DEP_1) | instskip(NEXT) | instid1(VALU_DEP_1)
	v_cndmask_b32_e64 v34, v12, 0x70, s13
	v_dual_cndmask_b32 v16, v16, v20, s13 :: v_dual_add_nc_u32 v12, 21, v34
	v_add_nc_u32_e32 v35, 20, v34
	s_delay_alu instid0(VALU_DEP_2) | instskip(NEXT) | instid1(VALU_DEP_2)
	v_lshlrev_b64_e64 v[12:13], v12, -1
	v_lshlrev_b64_e64 v[36:37], v35, 1
	s_delay_alu instid0(VALU_DEP_2) | instskip(NEXT) | instid1(VALU_DEP_3)
	v_bfi_b32 v39, v13, 0, 0
	v_bfi_b32 v38, v12, 0, v16
	v_lshrrev_b64 v[12:13], v34, v[16:17]
	s_delay_alu instid0(VALU_DEP_1) | instskip(NEXT) | instid1(VALU_DEP_3)
	v_mov_b64_e32 v[16:17], v[12:13]
	v_cmpx_eq_u64_e64 v[38:39], v[36:37]
; %bb.3152:                             ;   in Loop: Header=BB6_2922 Depth=4
	v_bfe_u32 v16, v12, 21, 1
	v_mov_b32_e32 v17, v21
	s_delay_alu instid0(VALU_DEP_1) | instskip(NEXT) | instid1(VALU_DEP_1)
	v_add_nc_u64_e32 v[16:17], v[12:13], v[16:17]
	v_add_nc_u64_e32 v[16:17], -1, v[16:17]
; %bb.3153:                             ;   in Loop: Header=BB6_2922 Depth=4
	s_or_b32 exec_lo, exec_lo, s76
	v_add_nc_u32_e32 v13, 0xffffff81, v33
	v_lshrrev_b32_e32 v17, 23, v12
	s_mov_b32 s14, exec_lo
	s_delay_alu instid0(VALU_DEP_2) | instskip(NEXT) | instid1(VALU_DEP_1)
	v_cndmask_b32_e64 v13, v13, 0xffffff82, s13
	v_add3_u32 v17, v34, v13, v17
	v_and_b32_e32 v13, 0x1fffff, v16
                                        ; implicit-def: $vgpr16
	s_delay_alu instid0(VALU_DEP_1) | instskip(NEXT) | instid1(VALU_DEP_1)
	v_dual_add_nc_u32 v33, 14, v17 :: v_dual_add_nc_u32 v20, v13, v12
                                        ; implicit-def: $vgpr12_vgpr13
	v_cmpx_ne_u32_e32 0, v33
	s_xor_b32 s14, exec_lo, s14
; %bb.3154:                             ;   in Loop: Header=BB6_2922 Depth=4
	s_delay_alu instid0(VALU_DEP_2) | instskip(SKIP_1) | instid1(VALU_DEP_1)
	v_cmp_lt_u64_e64 s13, 0xffffff, v[20:21]
	v_add_nc_u32_e32 v12, 15, v17
	v_cndmask_b32_e64 v16, v33, v12, s13
	v_cndmask_b32_e64 v12, 0, 1, s13
	s_delay_alu instid0(VALU_DEP_1)
	v_lshrrev_b64 v[12:13], v12, v[20:21]
; %bb.3155:                             ;   in Loop: Header=BB6_2922 Depth=4
	s_and_not1_saveexec_b32 s13, s14
; %bb.3156:                             ;   in Loop: Header=BB6_2922 Depth=4
	v_mov_b64_e32 v[12:13], v[20:21]
	v_bfe_u32 v16, v20, 23, 1
; %bb.3157:                             ;   in Loop: Header=BB6_2922 Depth=4
	s_or_b32 exec_lo, exec_lo, s13
	s_delay_alu instid0(VALU_DEP_2) | instskip(NEXT) | instid1(VALU_DEP_2)
	v_lshrrev_b64 v[12:13], 21, v[12:13]
	v_cmp_gt_i32_e64 s13, 32, v16
	v_min_i32_e32 v17, 31, v16
	v_cmp_eq_u32_e64 s14, 0, v16
	s_delay_alu instid0(VALU_DEP_3) | instskip(NEXT) | instid1(VALU_DEP_3)
	v_cndmask_b32_e64 v13, 0, v13, s13
	v_dual_lshlrev_b32 v17, 2, v17 :: v_dual_cndmask_b32 v12, 3, v12, s13
	s_delay_alu instid0(VALU_DEP_1) | instskip(NEXT) | instid1(VALU_DEP_2)
	v_and_b32_e32 v17, 0xfc, v17
	v_cmp_eq_u64_e64 s13, 0, v[12:13]
	s_delay_alu instid0(VALU_DEP_2)
	v_and_or_b32 v12, v12, 3, v17
	s_and_b32 s13, s14, s13
	s_delay_alu instid0(VALU_DEP_1) | instid1(SALU_CYCLE_1)
	v_cndmask_b32_e64 v12, v12, 0, s13
	s_delay_alu instid0(VALU_DEP_1)
	v_or_b32_e32 v16, v12, v32
.LBB6_3158:                             ;   in Loop: Header=BB6_2922 Depth=4
	s_or_b32 exec_lo, exec_lo, s75
                                        ; implicit-def: $vgpr32
.LBB6_3159:                             ;   in Loop: Header=BB6_2922 Depth=4
	s_and_not1_saveexec_b32 s13, s74
; %bb.3160:                             ;   in Loop: Header=BB6_2922 Depth=4
	v_or_b32_e32 v16, 0x7b, v32
; %bb.3161:                             ;   in Loop: Header=BB6_2922 Depth=4
	s_or_b32 exec_lo, exec_lo, s13
                                        ; implicit-def: $vgpr12
                                        ; implicit-def: $vgpr13
.LBB6_3162:                             ;   in Loop: Header=BB6_2922 Depth=4
	s_and_not1_saveexec_b32 s14, s73
	s_cbranch_execz .LBB6_3168
; %bb.3163:                             ;   in Loop: Header=BB6_2922 Depth=4
	v_cmp_ne_u64_e64 s13, 0, v[20:21]
                                        ; implicit-def: $vgpr16
	s_and_saveexec_b32 s73, s13
	s_delay_alu instid0(SALU_CYCLE_1)
	s_xor_b32 s13, exec_lo, s73
; %bb.3164:                             ;   in Loop: Header=BB6_2922 Depth=4
	v_or_b32_e32 v16, 0x7f, v13
                                        ; implicit-def: $vgpr12
; %bb.3165:                             ;   in Loop: Header=BB6_2922 Depth=4
	s_and_not1_saveexec_b32 s73, s13
; %bb.3166:                             ;   in Loop: Header=BB6_2922 Depth=4
	v_cmp_lt_i32_e64 s13, -1, v12
	v_mov_b32_e32 v12, 0x7c
	s_delay_alu instid0(VALU_DEP_1)
	v_cndmask_b32_e64 v16, 0xfc, v12, s13
; %bb.3167:                             ;   in Loop: Header=BB6_2922 Depth=4
	s_or_b32 exec_lo, exec_lo, s73
.LBB6_3168:                             ;   in Loop: Header=BB6_2922 Depth=4
	s_delay_alu instid0(SALU_CYCLE_1)
	s_or_b32 exec_lo, exec_lo, s14
	v_mov_b32_e32 v13, 0
	s_mov_b32 s14, exec_lo
	v_cmpx_lt_u64_e64 s[22:23], v[0:1]
	s_cbranch_execz .LBB6_3178
; %bb.3169:                             ;   in Loop: Header=BB6_2922 Depth=4
	v_lshrrev_b32_e32 v12, 24, v1
	v_bfrev_b32_e32 v13, 1
	s_mov_b32 s73, exec_lo
	s_delay_alu instid0(VALU_DEP_2)
	v_cmpx_ne_u32_e32 0x80, v12
	s_cbranch_execz .LBB6_3177
; %bb.3170:                             ;   in Loop: Header=BB6_2922 Depth=4
	v_and_b32_e32 v13, 0x7c000000, v1
	v_bfe_u32 v17, v1, 24, 2
	s_delay_alu instid0(VALU_DEP_2) | instskip(SKIP_1) | instid1(SALU_CYCLE_1)
	v_cmp_ne_u32_e64 s13, 0x7c000000, v13
                                        ; implicit-def: $vgpr13
	s_and_saveexec_b32 s74, s13
	s_xor_b32 s74, exec_lo, s74
	s_cbranch_execz .LBB6_3174
; %bb.3171:                             ;   in Loop: Header=BB6_2922 Depth=4
	v_bfe_u32 v13, v1, 26, 5
	s_mov_b32 s75, exec_lo
	s_delay_alu instid0(VALU_DEP_1)
	v_cmpx_eq_u32_e32 0, v13
; %bb.3172:                             ;   in Loop: Header=BB6_2922 Depth=4
	v_clz_i32_u32_e32 v13, v17
	s_delay_alu instid0(VALU_DEP_1) | instskip(NEXT) | instid1(VALU_DEP_1)
	v_min_u32_e32 v17, 32, v13
	v_subrev_nc_u32_e32 v13, 29, v17
	s_delay_alu instid0(VALU_DEP_1) | instskip(NEXT) | instid1(VALU_DEP_1)
	v_lshlrev_b64_e32 v[12:13], v13, v[12:13]
	v_dual_sub_nc_u32 v13, 30, v17 :: v_dual_bitop2_b32 v17, 3, v12 bitop3:0x40
; %bb.3173:                             ;   in Loop: Header=BB6_2922 Depth=4
	s_or_b32 exec_lo, exec_lo, s75
	v_and_b32_e32 v12, 0x80000000, v1
	s_delay_alu instid0(VALU_DEP_1) | instskip(NEXT) | instid1(VALU_DEP_1)
	v_lshl_add_u32 v12, v13, 23, v12
	v_lshl_or_b32 v12, v17, 21, v12
                                        ; implicit-def: $vgpr17
	s_delay_alu instid0(VALU_DEP_1)
	v_add_nc_u32_e32 v13, 0x38000000, v12
.LBB6_3174:                             ;   in Loop: Header=BB6_2922 Depth=4
	s_and_not1_saveexec_b32 s74, s74
; %bb.3175:                             ;   in Loop: Header=BB6_2922 Depth=4
	v_cmp_lt_i64_e64 s13, -1, v[0:1]
	v_mov_b32_e32 v0, 0x7f800000
	s_delay_alu instid0(VALU_DEP_1) | instskip(SKIP_1) | instid1(VALU_DEP_1)
	v_cndmask_b32_e64 v0, 0xff800000, v0, s13
	v_cmp_eq_u32_e64 s13, 0, v17
	v_cndmask_b32_e64 v13, 0x7f800001, v0, s13
; %bb.3176:                             ;   in Loop: Header=BB6_2922 Depth=4
	s_or_b32 exec_lo, exec_lo, s74
.LBB6_3177:                             ;   in Loop: Header=BB6_2922 Depth=4
	s_delay_alu instid0(SALU_CYCLE_1)
	s_or_b32 exec_lo, exec_lo, s73
.LBB6_3178:                             ;   in Loop: Header=BB6_2922 Depth=4
	s_delay_alu instid0(SALU_CYCLE_1) | instskip(SKIP_3) | instid1(VALU_DEP_2)
	s_or_b32 exec_lo, exec_lo, s14
	v_bfe_u32 v1, v9, 24, 2
	v_bfe_u32 v20, v9, 26, 5
	s_mov_b32 s14, exec_lo
	v_clz_i32_u32_e32 v0, v1
	s_delay_alu instid0(VALU_DEP_2) | instskip(NEXT) | instid1(VALU_DEP_2)
	v_cmp_eq_u32_e64 s13, 0, v20
	v_min_u32_e32 v12, 32, v0
	v_lshrrev_b32_e32 v0, 24, v9
	s_delay_alu instid0(VALU_DEP_2) | instskip(SKIP_1) | instid1(VALU_DEP_2)
	v_subrev_nc_u32_e32 v17, 29, v12
	v_sub_nc_u32_e32 v12, 30, v12
	v_lshlrev_b64_e32 v[32:33], v17, v[0:1]
	v_and_b32_e32 v17, 0x80000000, v9
	s_delay_alu instid0(VALU_DEP_3) | instskip(NEXT) | instid1(VALU_DEP_1)
	v_cndmask_b32_e64 v12, v20, v12, s13
	v_lshl_add_u32 v12, v12, 23, v17
	s_delay_alu instid0(VALU_DEP_4) | instskip(NEXT) | instid1(VALU_DEP_1)
	v_and_b32_e32 v20, 3, v32
	v_cndmask_b32_e64 v17, v1, v20, s13
	v_cmp_lt_i64_e64 s13, -1, v[8:9]
	v_mov_b32_e32 v20, 0x7f800000
	s_delay_alu instid0(VALU_DEP_3) | instskip(SKIP_1) | instid1(VALU_DEP_3)
	v_lshl_or_b32 v12, v17, 21, v12
	v_and_b32_e32 v17, 0x7c000000, v9
	v_cndmask_b32_e64 v20, 0xff800000, v20, s13
	v_cmp_eq_u32_e64 s13, 0, v1
	s_delay_alu instid0(VALU_DEP_4) | instskip(NEXT) | instid1(VALU_DEP_2)
	v_add_nc_u32_e32 v12, 0x38000000, v12
	v_cndmask_b32_e64 v1, 0x7f800001, v20, s13
	v_cmp_eq_u32_e64 s13, 0x7c000000, v17
                                        ; implicit-def: $vgpr17
	s_delay_alu instid0(VALU_DEP_1) | instskip(SKIP_1) | instid1(VALU_DEP_1)
	v_cndmask_b32_e64 v1, v12, v1, s13
	v_cmp_ne_u32_e64 s13, 0x80, v0
	v_cndmask_b32_e64 v0, 0x80000000, v1, s13
	v_cmp_lt_u64_e64 s13, s[22:23], v[8:9]
	s_delay_alu instid0(VALU_DEP_1) | instskip(NEXT) | instid1(VALU_DEP_1)
	v_dual_mov_b32 v9, v21 :: v_dual_cndmask_b32 v0, 0, v0, s13
	v_mul_f32_e32 v0, v0, v13
	s_delay_alu instid0(VALU_DEP_1) | instskip(SKIP_2) | instid1(VALU_DEP_3)
	v_and_b32_e32 v8, 0x7f800000, v0
	v_and_b32_e32 v20, 0x7fffff, v0
	v_lshrrev_b32_e32 v1, 24, v0
	v_cmpx_ne_u64_e32 0x7f800000, v[8:9]
	s_xor_b32 s73, exec_lo, s14
	s_cbranch_execz .LBB6_3192
; %bb.3179:                             ;   in Loop: Header=BB6_2922 Depth=4
	v_and_b32_e32 v8, 0x7fffffff, v0
	v_mov_b32_e32 v9, v21
	v_and_b32_e32 v12, 0x80, v1
                                        ; implicit-def: $vgpr17
	s_mov_b32 s14, exec_lo
	s_delay_alu instid0(VALU_DEP_2)
	v_cmpx_gt_u64_e32 0x47600001, v[8:9]
	s_xor_b32 s74, exec_lo, s14
	s_cbranch_execz .LBB6_3189
; %bb.3180:                             ;   in Loop: Header=BB6_2922 Depth=4
	v_mov_b32_e32 v17, 0
	s_mov_b32 s75, exec_lo
	v_cmpx_ne_u32_e32 0, v0
	s_cbranch_execz .LBB6_3188
; %bb.3181:                             ;   in Loop: Header=BB6_2922 Depth=4
	v_bfe_u32 v13, v0, 23, 8
	v_or_b32_e32 v8, 0x800000, v20
	s_mov_b32 s76, exec_lo
	s_delay_alu instid0(VALU_DEP_2) | instskip(SKIP_1) | instid1(VALU_DEP_1)
	v_dual_mov_b32 v9, v21 :: v_dual_sub_nc_u32 v0, 0x71, v13
	v_cmp_gt_u32_e64 s13, 0x72, v13
	v_cndmask_b32_e64 v0, 0, v0, s13
	v_cmp_eq_u32_e64 s13, 0, v13
	s_delay_alu instid0(VALU_DEP_1) | instskip(NEXT) | instid1(VALU_DEP_1)
	v_cndmask_b32_e64 v17, v0, 0x70, s13
	v_dual_cndmask_b32 v8, v8, v20, s13 :: v_dual_add_nc_u32 v0, 21, v17
	v_add_nc_u32_e32 v32, 20, v17
	s_delay_alu instid0(VALU_DEP_2) | instskip(NEXT) | instid1(VALU_DEP_2)
	v_lshlrev_b64_e64 v[0:1], v0, -1
	v_lshlrev_b64_e64 v[32:33], v32, 1
	s_delay_alu instid0(VALU_DEP_2) | instskip(NEXT) | instid1(VALU_DEP_3)
	v_bfi_b32 v35, v1, 0, 0
	v_bfi_b32 v34, v0, 0, v8
	v_lshrrev_b64 v[0:1], v17, v[8:9]
	s_delay_alu instid0(VALU_DEP_1) | instskip(NEXT) | instid1(VALU_DEP_3)
	v_mov_b64_e32 v[8:9], v[0:1]
	v_cmpx_eq_u64_e64 v[34:35], v[32:33]
; %bb.3182:                             ;   in Loop: Header=BB6_2922 Depth=4
	v_bfe_u32 v8, v0, 21, 1
	v_mov_b32_e32 v9, v21
	s_delay_alu instid0(VALU_DEP_1) | instskip(NEXT) | instid1(VALU_DEP_1)
	v_add_nc_u64_e32 v[8:9], v[0:1], v[8:9]
	v_add_nc_u64_e32 v[8:9], -1, v[8:9]
; %bb.3183:                             ;   in Loop: Header=BB6_2922 Depth=4
	s_or_b32 exec_lo, exec_lo, s76
	v_add_nc_u32_e32 v1, 0xffffff81, v13
	v_lshrrev_b32_e32 v9, 23, v0
	s_mov_b32 s14, exec_lo
	s_delay_alu instid0(VALU_DEP_2) | instskip(NEXT) | instid1(VALU_DEP_1)
	v_cndmask_b32_e64 v1, v1, 0xffffff82, s13
	v_add3_u32 v9, v17, v1, v9
	v_and_b32_e32 v1, 0x1fffff, v8
                                        ; implicit-def: $vgpr8
	s_delay_alu instid0(VALU_DEP_1) | instskip(NEXT) | instid1(VALU_DEP_1)
	v_dual_add_nc_u32 v13, 14, v9 :: v_dual_add_nc_u32 v20, v1, v0
                                        ; implicit-def: $vgpr0_vgpr1
	v_cmpx_ne_u32_e32 0, v13
	s_xor_b32 s14, exec_lo, s14
; %bb.3184:                             ;   in Loop: Header=BB6_2922 Depth=4
	s_delay_alu instid0(VALU_DEP_2) | instskip(SKIP_1) | instid1(VALU_DEP_1)
	v_cmp_lt_u64_e64 s13, 0xffffff, v[20:21]
	v_add_nc_u32_e32 v0, 15, v9
	v_cndmask_b32_e64 v8, v13, v0, s13
	v_cndmask_b32_e64 v0, 0, 1, s13
	s_delay_alu instid0(VALU_DEP_1)
	v_lshrrev_b64 v[0:1], v0, v[20:21]
; %bb.3185:                             ;   in Loop: Header=BB6_2922 Depth=4
	s_and_not1_saveexec_b32 s13, s14
; %bb.3186:                             ;   in Loop: Header=BB6_2922 Depth=4
	v_mov_b64_e32 v[0:1], v[20:21]
	v_bfe_u32 v8, v20, 23, 1
; %bb.3187:                             ;   in Loop: Header=BB6_2922 Depth=4
	s_or_b32 exec_lo, exec_lo, s13
	s_delay_alu instid0(VALU_DEP_2) | instskip(NEXT) | instid1(VALU_DEP_2)
	v_lshrrev_b64 v[0:1], 21, v[0:1]
	v_cmp_gt_i32_e64 s13, 32, v8
	v_min_i32_e32 v9, 31, v8
	v_cmp_eq_u32_e64 s14, 0, v8
	s_delay_alu instid0(VALU_DEP_3) | instskip(NEXT) | instid1(VALU_DEP_3)
	v_cndmask_b32_e64 v1, 0, v1, s13
	v_dual_lshlrev_b32 v9, 2, v9 :: v_dual_cndmask_b32 v0, 3, v0, s13
	s_delay_alu instid0(VALU_DEP_1) | instskip(NEXT) | instid1(VALU_DEP_2)
	v_and_b32_e32 v9, 0xfc, v9
	v_cmp_eq_u64_e64 s13, 0, v[0:1]
	s_delay_alu instid0(VALU_DEP_2)
	v_and_or_b32 v0, v0, 3, v9
	s_and_b32 s13, s14, s13
	s_delay_alu instid0(VALU_DEP_1) | instid1(SALU_CYCLE_1)
	v_cndmask_b32_e64 v0, v0, 0, s13
	s_delay_alu instid0(VALU_DEP_1)
	v_or_b32_e32 v17, v0, v12
.LBB6_3188:                             ;   in Loop: Header=BB6_2922 Depth=4
	s_or_b32 exec_lo, exec_lo, s75
                                        ; implicit-def: $vgpr12
.LBB6_3189:                             ;   in Loop: Header=BB6_2922 Depth=4
	s_and_not1_saveexec_b32 s13, s74
; %bb.3190:                             ;   in Loop: Header=BB6_2922 Depth=4
	v_or_b32_e32 v17, 0x7b, v12
; %bb.3191:                             ;   in Loop: Header=BB6_2922 Depth=4
	s_or_b32 exec_lo, exec_lo, s13
                                        ; implicit-def: $vgpr0
                                        ; implicit-def: $vgpr1
.LBB6_3192:                             ;   in Loop: Header=BB6_2922 Depth=4
	s_and_not1_saveexec_b32 s14, s73
	s_cbranch_execz .LBB6_3198
; %bb.3193:                             ;   in Loop: Header=BB6_2922 Depth=4
	v_cmp_ne_u64_e64 s13, 0, v[20:21]
                                        ; implicit-def: $vgpr17
	s_and_saveexec_b32 s73, s13
	s_delay_alu instid0(SALU_CYCLE_1)
	s_xor_b32 s13, exec_lo, s73
; %bb.3194:                             ;   in Loop: Header=BB6_2922 Depth=4
	v_or_b32_e32 v17, 0x7f, v1
                                        ; implicit-def: $vgpr0
; %bb.3195:                             ;   in Loop: Header=BB6_2922 Depth=4
	s_and_not1_saveexec_b32 s73, s13
; %bb.3196:                             ;   in Loop: Header=BB6_2922 Depth=4
	v_cmp_lt_i32_e64 s13, -1, v0
	v_mov_b32_e32 v0, 0x7c
	s_delay_alu instid0(VALU_DEP_1)
	v_cndmask_b32_e64 v17, 0xfc, v0, s13
; %bb.3197:                             ;   in Loop: Header=BB6_2922 Depth=4
	s_or_b32 exec_lo, exec_lo, s73
.LBB6_3198:                             ;   in Loop: Header=BB6_2922 Depth=4
	s_delay_alu instid0(SALU_CYCLE_1) | instskip(SKIP_1) | instid1(VALU_DEP_1)
	s_or_b32 exec_lo, exec_lo, s14
	v_and_b32_e32 v0, 0xff, v2
	v_cmp_ne_u16_e64 s13, 0, v0
	v_mov_b32_e32 v0, 0
	s_and_saveexec_b32 s14, s13
	s_cbranch_execz .LBB6_3208
; %bb.3199:                             ;   in Loop: Header=BB6_2922 Depth=4
	v_bfe_i32 v8, v2, 0, 8
	v_bfrev_b32_e32 v0, 1
	s_mov_b32 s73, exec_lo
	s_delay_alu instid0(VALU_DEP_2)
	v_cmpx_ne_u16_e32 0xff80, v8
	s_cbranch_execz .LBB6_3207
; %bb.3200:                             ;   in Loop: Header=BB6_2922 Depth=4
	v_and_b32_e32 v0, 0x7c, v2
	v_and_b32_e32 v1, 3, v2
	s_delay_alu instid0(VALU_DEP_2) | instskip(SKIP_1) | instid1(SALU_CYCLE_1)
	v_cmp_ne_u32_e64 s13, 0x7c, v0
                                        ; implicit-def: $vgpr0
	s_and_saveexec_b32 s74, s13
	s_xor_b32 s74, exec_lo, s74
	s_cbranch_execz .LBB6_3204
; %bb.3201:                             ;   in Loop: Header=BB6_2922 Depth=4
	v_bfe_u32 v0, v2, 2, 5
	s_mov_b32 s75, exec_lo
	s_delay_alu instid0(VALU_DEP_1)
	v_cmpx_eq_u32_e32 0, v0
; %bb.3202:                             ;   in Loop: Header=BB6_2922 Depth=4
	v_clz_i32_u32_e32 v0, v1
	s_delay_alu instid0(VALU_DEP_1) | instskip(NEXT) | instid1(VALU_DEP_1)
	v_min_u32_e32 v0, 32, v0
	v_subrev_nc_u32_e32 v1, 29, v0
	v_sub_nc_u32_e32 v0, 30, v0
	s_delay_alu instid0(VALU_DEP_2) | instskip(NEXT) | instid1(VALU_DEP_1)
	v_lshlrev_b64_e32 v[8:9], v1, v[2:3]
	v_and_b32_e32 v1, 3, v8
; %bb.3203:                             ;   in Loop: Header=BB6_2922 Depth=4
	s_or_b32 exec_lo, exec_lo, s75
	v_lshlrev_b32_e32 v8, 24, v2
	s_delay_alu instid0(VALU_DEP_1) | instskip(NEXT) | instid1(VALU_DEP_1)
	v_and_b32_e32 v8, 0x80000000, v8
	v_lshl_add_u32 v0, v0, 23, v8
                                        ; implicit-def: $vgpr8
	s_delay_alu instid0(VALU_DEP_1) | instskip(NEXT) | instid1(VALU_DEP_1)
	v_lshl_or_b32 v0, v1, 21, v0
                                        ; implicit-def: $vgpr1
	v_add_nc_u32_e32 v0, 0x38000000, v0
.LBB6_3204:                             ;   in Loop: Header=BB6_2922 Depth=4
	s_and_not1_saveexec_b32 s74, s74
; %bb.3205:                             ;   in Loop: Header=BB6_2922 Depth=4
	v_cmp_lt_i16_e64 s13, -1, v8
	v_mov_b32_e32 v0, 0x7f800000
	s_delay_alu instid0(VALU_DEP_1) | instskip(SKIP_1) | instid1(VALU_DEP_1)
	v_cndmask_b32_e64 v0, 0xff800000, v0, s13
	v_cmp_eq_u32_e64 s13, 0, v1
	v_cndmask_b32_e64 v0, 0x7f800001, v0, s13
; %bb.3206:                             ;   in Loop: Header=BB6_2922 Depth=4
	s_or_b32 exec_lo, exec_lo, s74
.LBB6_3207:                             ;   in Loop: Header=BB6_2922 Depth=4
	s_delay_alu instid0(SALU_CYCLE_1)
	s_or_b32 exec_lo, exec_lo, s73
.LBB6_3208:                             ;   in Loop: Header=BB6_2922 Depth=4
	s_delay_alu instid0(SALU_CYCLE_1) | instskip(SKIP_3) | instid1(VALU_DEP_1)
	s_or_b32 exec_lo, exec_lo, s14
	v_and_b32_e32 v8, 0xff, v10
	s_mov_b32 s73, 0
	s_mov_b32 s14, exec_lo
	v_cmpx_lt_i16_e32 0x7f, v8
	s_xor_b32 s14, exec_lo, s14
	s_cbranch_execz .LBB6_3485
; %bb.3209:                             ;   in Loop: Header=BB6_2922 Depth=4
	s_mov_b32 s73, -1
	s_mov_b32 s74, exec_lo
	v_cmpx_eq_u16_e32 0x80, v8
; %bb.3210:                             ;   in Loop: Header=BB6_2922 Depth=4
	s_xor_b32 s73, exec_lo, -1
; %bb.3211:                             ;   in Loop: Header=BB6_2922 Depth=4
	s_or_b32 exec_lo, exec_lo, s74
	s_delay_alu instid0(SALU_CYCLE_1)
	s_and_b32 s73, s73, exec_lo
                                        ; implicit-def: $vgpr8
	s_or_saveexec_b32 s14, s14
	v_bfrev_b32_e32 v1, 1
	s_xor_b32 exec_lo, exec_lo, s14
	s_cbranch_execnz .LBB6_3486
.LBB6_3212:                             ;   in Loop: Header=BB6_2922 Depth=4
	s_or_b32 exec_lo, exec_lo, s14
	s_and_saveexec_b32 s14, s73
	s_cbranch_execz .LBB6_3214
.LBB6_3213:                             ;   in Loop: Header=BB6_2922 Depth=4
	v_and_b32_e32 v1, 3, v10
	v_bfe_u32 v13, v10, 2, 5
	s_delay_alu instid0(VALU_DEP_2) | instskip(NEXT) | instid1(VALU_DEP_2)
	v_clz_i32_u32_e32 v8, v1
	v_cmp_eq_u32_e64 s13, 0, v13
	s_delay_alu instid0(VALU_DEP_2) | instskip(NEXT) | instid1(VALU_DEP_1)
	v_min_u32_e32 v12, 32, v8
	v_subrev_nc_u32_e32 v8, 29, v12
	v_sub_nc_u32_e32 v12, 30, v12
	s_delay_alu instid0(VALU_DEP_2) | instskip(NEXT) | instid1(VALU_DEP_2)
	v_lshlrev_b64_e32 v[8:9], v8, v[10:11]
	v_dual_lshlrev_b32 v9, 24, v10 :: v_dual_cndmask_b32 v12, v13, v12, s13
	v_bfe_i32 v13, v10, 0, 8
	s_delay_alu instid0(VALU_DEP_2) | instskip(NEXT) | instid1(VALU_DEP_4)
	v_and_b32_e32 v9, 0x80000000, v9
	v_and_b32_e32 v8, 3, v8
	s_delay_alu instid0(VALU_DEP_2) | instskip(NEXT) | instid1(VALU_DEP_2)
	v_lshl_add_u32 v9, v12, 23, v9
	v_cndmask_b32_e64 v8, v1, v8, s13
	v_cmp_lt_i16_e64 s13, -1, v13
	v_mov_b32_e32 v12, 0x7f800000
	s_delay_alu instid0(VALU_DEP_3) | instskip(SKIP_1) | instid1(VALU_DEP_3)
	v_lshl_or_b32 v8, v8, 21, v9
	v_and_b32_e32 v9, 0x7c, v10
	v_cndmask_b32_e64 v12, 0xff800000, v12, s13
	v_cmp_eq_u32_e64 s13, 0, v1
	s_delay_alu instid0(VALU_DEP_4) | instskip(NEXT) | instid1(VALU_DEP_2)
	v_add_nc_u32_e32 v8, 0x38000000, v8
	v_cndmask_b32_e64 v1, 0x7f800001, v12, s13
	v_cmp_eq_u32_e64 s13, 0x7c, v9
	s_delay_alu instid0(VALU_DEP_1)
	v_cndmask_b32_e64 v1, v8, v1, s13
.LBB6_3214:                             ;   in Loop: Header=BB6_2922 Depth=4
	s_or_b32 exec_lo, exec_lo, s14
	s_delay_alu instid0(VALU_DEP_1) | instskip(SKIP_1) | instid1(VALU_DEP_1)
	v_dual_mul_f32 v0, v0, v1 :: v_dual_mov_b32 v9, v21
                                        ; implicit-def: $vgpr32
	s_mov_b32 s14, exec_lo
	v_and_b32_e32 v8, 0x7f800000, v0
	v_and_b32_e32 v20, 0x7fffff, v0
	v_lshrrev_b32_e32 v1, 24, v0
	s_delay_alu instid0(VALU_DEP_3)
	v_cmpx_ne_u64_e32 0x7f800000, v[8:9]
	s_xor_b32 s73, exec_lo, s14
	s_cbranch_execz .LBB6_3228
; %bb.3215:                             ;   in Loop: Header=BB6_2922 Depth=4
	v_and_b32_e32 v8, 0x7fffffff, v0
	v_mov_b32_e32 v9, v21
	v_and_b32_e32 v12, 0x80, v1
                                        ; implicit-def: $vgpr32
	s_mov_b32 s14, exec_lo
	s_delay_alu instid0(VALU_DEP_2)
	v_cmpx_gt_u64_e32 0x47600001, v[8:9]
	s_xor_b32 s74, exec_lo, s14
	s_cbranch_execz .LBB6_3225
; %bb.3216:                             ;   in Loop: Header=BB6_2922 Depth=4
	v_mov_b32_e32 v32, 0
	s_mov_b32 s75, exec_lo
	v_cmpx_ne_u32_e32 0, v0
	s_cbranch_execz .LBB6_3224
; %bb.3217:                             ;   in Loop: Header=BB6_2922 Depth=4
	v_bfe_u32 v13, v0, 23, 8
	v_or_b32_e32 v8, 0x800000, v20
	s_mov_b32 s76, exec_lo
	s_delay_alu instid0(VALU_DEP_2) | instskip(SKIP_1) | instid1(VALU_DEP_1)
	v_dual_mov_b32 v9, v21 :: v_dual_sub_nc_u32 v0, 0x71, v13
	v_cmp_gt_u32_e64 s13, 0x72, v13
	v_cndmask_b32_e64 v0, 0, v0, s13
	v_cmp_eq_u32_e64 s13, 0, v13
	s_delay_alu instid0(VALU_DEP_1) | instskip(SKIP_1) | instid1(VALU_DEP_2)
	v_cndmask_b32_e64 v32, v0, 0x70, s13
	v_cndmask_b32_e64 v8, v8, v20, s13
	v_dual_add_nc_u32 v0, 21, v32 :: v_dual_add_nc_u32 v33, 20, v32
	s_delay_alu instid0(VALU_DEP_1) | instskip(NEXT) | instid1(VALU_DEP_2)
	v_lshlrev_b64_e64 v[0:1], v0, -1
	v_lshlrev_b64_e64 v[34:35], v33, 1
	s_delay_alu instid0(VALU_DEP_2) | instskip(NEXT) | instid1(VALU_DEP_3)
	v_bfi_b32 v37, v1, 0, 0
	v_bfi_b32 v36, v0, 0, v8
	v_lshrrev_b64 v[0:1], v32, v[8:9]
	s_delay_alu instid0(VALU_DEP_1) | instskip(NEXT) | instid1(VALU_DEP_3)
	v_mov_b64_e32 v[8:9], v[0:1]
	v_cmpx_eq_u64_e64 v[36:37], v[34:35]
; %bb.3218:                             ;   in Loop: Header=BB6_2922 Depth=4
	v_bfe_u32 v8, v0, 21, 1
	v_mov_b32_e32 v9, v21
	s_delay_alu instid0(VALU_DEP_1) | instskip(NEXT) | instid1(VALU_DEP_1)
	v_add_nc_u64_e32 v[8:9], v[0:1], v[8:9]
	v_add_nc_u64_e32 v[8:9], -1, v[8:9]
; %bb.3219:                             ;   in Loop: Header=BB6_2922 Depth=4
	s_or_b32 exec_lo, exec_lo, s76
	v_add_nc_u32_e32 v1, 0xffffff81, v13
	v_lshrrev_b32_e32 v9, 23, v0
	s_mov_b32 s14, exec_lo
	s_delay_alu instid0(VALU_DEP_2) | instskip(NEXT) | instid1(VALU_DEP_1)
	v_cndmask_b32_e64 v1, v1, 0xffffff82, s13
	v_add3_u32 v9, v32, v1, v9
	v_and_b32_e32 v1, 0x1fffff, v8
                                        ; implicit-def: $vgpr8
	s_delay_alu instid0(VALU_DEP_1) | instskip(NEXT) | instid1(VALU_DEP_1)
	v_dual_add_nc_u32 v13, 14, v9 :: v_dual_add_nc_u32 v20, v1, v0
                                        ; implicit-def: $vgpr0_vgpr1
	v_cmpx_ne_u32_e32 0, v13
	s_xor_b32 s14, exec_lo, s14
; %bb.3220:                             ;   in Loop: Header=BB6_2922 Depth=4
	s_delay_alu instid0(VALU_DEP_2) | instskip(SKIP_1) | instid1(VALU_DEP_1)
	v_cmp_lt_u64_e64 s13, 0xffffff, v[20:21]
	v_add_nc_u32_e32 v0, 15, v9
	v_cndmask_b32_e64 v8, v13, v0, s13
	v_cndmask_b32_e64 v0, 0, 1, s13
	s_delay_alu instid0(VALU_DEP_1)
	v_lshrrev_b64 v[0:1], v0, v[20:21]
; %bb.3221:                             ;   in Loop: Header=BB6_2922 Depth=4
	s_and_not1_saveexec_b32 s13, s14
; %bb.3222:                             ;   in Loop: Header=BB6_2922 Depth=4
	v_mov_b64_e32 v[0:1], v[20:21]
	v_bfe_u32 v8, v20, 23, 1
; %bb.3223:                             ;   in Loop: Header=BB6_2922 Depth=4
	s_or_b32 exec_lo, exec_lo, s13
	s_delay_alu instid0(VALU_DEP_2) | instskip(NEXT) | instid1(VALU_DEP_2)
	v_lshrrev_b64 v[0:1], 21, v[0:1]
	v_cmp_gt_i32_e64 s13, 32, v8
	v_min_i32_e32 v9, 31, v8
	v_cmp_eq_u32_e64 s14, 0, v8
	s_delay_alu instid0(VALU_DEP_3) | instskip(NEXT) | instid1(VALU_DEP_3)
	v_cndmask_b32_e64 v1, 0, v1, s13
	v_dual_lshlrev_b32 v9, 2, v9 :: v_dual_cndmask_b32 v0, 3, v0, s13
	s_delay_alu instid0(VALU_DEP_1) | instskip(NEXT) | instid1(VALU_DEP_2)
	v_and_b32_e32 v9, 0xfc, v9
	v_cmp_eq_u64_e64 s13, 0, v[0:1]
	s_delay_alu instid0(VALU_DEP_2)
	v_and_or_b32 v0, v0, 3, v9
	s_and_b32 s13, s14, s13
	s_delay_alu instid0(VALU_DEP_1) | instid1(SALU_CYCLE_1)
	v_cndmask_b32_e64 v0, v0, 0, s13
	s_delay_alu instid0(VALU_DEP_1)
	v_or_b32_e32 v32, v0, v12
.LBB6_3224:                             ;   in Loop: Header=BB6_2922 Depth=4
	s_or_b32 exec_lo, exec_lo, s75
                                        ; implicit-def: $vgpr12
.LBB6_3225:                             ;   in Loop: Header=BB6_2922 Depth=4
	s_and_not1_saveexec_b32 s13, s74
; %bb.3226:                             ;   in Loop: Header=BB6_2922 Depth=4
	v_or_b32_e32 v32, 0x7b, v12
; %bb.3227:                             ;   in Loop: Header=BB6_2922 Depth=4
	s_or_b32 exec_lo, exec_lo, s13
                                        ; implicit-def: $vgpr0
                                        ; implicit-def: $vgpr1
.LBB6_3228:                             ;   in Loop: Header=BB6_2922 Depth=4
	s_and_not1_saveexec_b32 s14, s73
	s_cbranch_execz .LBB6_3234
; %bb.3229:                             ;   in Loop: Header=BB6_2922 Depth=4
	v_cmp_ne_u64_e64 s13, 0, v[20:21]
                                        ; implicit-def: $vgpr32
	s_and_saveexec_b32 s73, s13
	s_delay_alu instid0(SALU_CYCLE_1)
	s_xor_b32 s13, exec_lo, s73
; %bb.3230:                             ;   in Loop: Header=BB6_2922 Depth=4
	v_or_b32_e32 v32, 0x7f, v1
                                        ; implicit-def: $vgpr0
; %bb.3231:                             ;   in Loop: Header=BB6_2922 Depth=4
	s_and_not1_saveexec_b32 s73, s13
; %bb.3232:                             ;   in Loop: Header=BB6_2922 Depth=4
	v_cmp_lt_i32_e64 s13, -1, v0
	v_mov_b32_e32 v0, 0x7c
	s_delay_alu instid0(VALU_DEP_1)
	v_cndmask_b32_e64 v32, 0xfc, v0, s13
; %bb.3233:                             ;   in Loop: Header=BB6_2922 Depth=4
	s_or_b32 exec_lo, exec_lo, s73
.LBB6_3234:                             ;   in Loop: Header=BB6_2922 Depth=4
	s_delay_alu instid0(SALU_CYCLE_1) | instskip(SKIP_3) | instid1(VALU_DEP_2)
	s_or_b32 exec_lo, exec_lo, s14
	v_lshrrev_b16 v0, 8, v2
	v_mov_b32_e32 v8, 0
	s_mov_b32 s14, exec_lo
	v_cmpx_ne_u16_e32 0, v0
	s_cbranch_execz .LBB6_3244
; %bb.3235:                             ;   in Loop: Header=BB6_2922 Depth=4
	v_bfrev_b32_e32 v8, 1
	s_mov_b32 s73, exec_lo
	v_cmpx_ne_u16_e32 0x80, v0
	s_cbranch_execz .LBB6_3243
; %bb.3236:                             ;   in Loop: Header=BB6_2922 Depth=4
	v_and_b32_e32 v9, 0xffff, v0
	s_delay_alu instid0(VALU_DEP_1) | instskip(SKIP_1) | instid1(VALU_DEP_2)
	v_and_b32_e32 v8, 0x7c, v9
	v_and_b32_e32 v1, 3, v9
	v_cmp_ne_u32_e64 s13, 0x7c, v8
                                        ; implicit-def: $vgpr8
	s_and_saveexec_b32 s74, s13
	s_delay_alu instid0(SALU_CYCLE_1)
	s_xor_b32 s74, exec_lo, s74
	s_cbranch_execz .LBB6_3240
; %bb.3237:                             ;   in Loop: Header=BB6_2922 Depth=4
	v_bfe_u32 v8, v9, 2, 5
	s_mov_b32 s75, exec_lo
	s_delay_alu instid0(VALU_DEP_1)
	v_cmpx_eq_u32_e32 0, v8
	s_cbranch_execz .LBB6_3239
; %bb.3238:                             ;   in Loop: Header=BB6_2922 Depth=4
	v_clz_i32_u32_e32 v1, v1
	s_delay_alu instid0(VALU_DEP_1) | instskip(SKIP_1) | instid1(VALU_DEP_2)
	v_min_u32_e32 v8, 32, v1
	v_mov_b32_e32 v1, v21
	v_subrev_nc_u32_e32 v9, 29, v8
	v_sub_nc_u32_e32 v8, 30, v8
	s_delay_alu instid0(VALU_DEP_2) | instskip(NEXT) | instid1(VALU_DEP_1)
	v_lshlrev_b64_e32 v[0:1], v9, v[0:1]
	v_and_b32_e32 v1, 3, v0
.LBB6_3239:                             ;   in Loop: Header=BB6_2922 Depth=4
	s_or_b32 exec_lo, exec_lo, s75
	v_lshlrev_b32_e32 v0, 16, v2
	s_delay_alu instid0(VALU_DEP_1) | instskip(NEXT) | instid1(VALU_DEP_1)
	v_and_b32_e32 v0, 0x80000000, v0
	v_lshl_add_u32 v0, v8, 23, v0
	s_delay_alu instid0(VALU_DEP_1) | instskip(NEXT) | instid1(VALU_DEP_1)
	v_lshl_or_b32 v0, v1, 21, v0
                                        ; implicit-def: $vgpr1
	v_add_nc_u32_e32 v8, 0x38000000, v0
.LBB6_3240:                             ;   in Loop: Header=BB6_2922 Depth=4
	s_and_not1_saveexec_b32 s74, s74
; %bb.3241:                             ;   in Loop: Header=BB6_2922 Depth=4
	v_cmp_lt_i16_e64 s13, -1, v2
	v_mov_b32_e32 v0, 0x7f800000
	s_delay_alu instid0(VALU_DEP_1) | instskip(SKIP_1) | instid1(VALU_DEP_1)
	v_cndmask_b32_e64 v0, 0xff800000, v0, s13
	v_cmp_eq_u32_e64 s13, 0, v1
	v_cndmask_b32_e64 v8, 0x7f800001, v0, s13
; %bb.3242:                             ;   in Loop: Header=BB6_2922 Depth=4
	s_or_b32 exec_lo, exec_lo, s74
.LBB6_3243:                             ;   in Loop: Header=BB6_2922 Depth=4
	s_delay_alu instid0(SALU_CYCLE_1)
	s_or_b32 exec_lo, exec_lo, s73
.LBB6_3244:                             ;   in Loop: Header=BB6_2922 Depth=4
	s_delay_alu instid0(SALU_CYCLE_1) | instskip(SKIP_3) | instid1(VALU_DEP_1)
	s_or_b32 exec_lo, exec_lo, s14
	v_lshrrev_b16 v0, 8, v10
	s_mov_b32 s73, 0
	s_mov_b32 s14, exec_lo
	v_cmpx_lt_i16_e32 0x7f, v0
	s_xor_b32 s14, exec_lo, s14
	s_cbranch_execz .LBB6_3487
; %bb.3245:                             ;   in Loop: Header=BB6_2922 Depth=4
	s_mov_b32 s73, -1
	s_mov_b32 s74, exec_lo
	v_cmpx_eq_u16_e32 0x80, v0
; %bb.3246:                             ;   in Loop: Header=BB6_2922 Depth=4
	s_xor_b32 s73, exec_lo, -1
; %bb.3247:                             ;   in Loop: Header=BB6_2922 Depth=4
	s_or_b32 exec_lo, exec_lo, s74
	s_delay_alu instid0(SALU_CYCLE_1)
	s_and_b32 s73, s73, exec_lo
	s_or_saveexec_b32 s14, s14
	v_bfrev_b32_e32 v1, 1
	s_xor_b32 exec_lo, exec_lo, s14
	s_cbranch_execnz .LBB6_3488
.LBB6_3248:                             ;   in Loop: Header=BB6_2922 Depth=4
	s_or_b32 exec_lo, exec_lo, s14
	s_and_saveexec_b32 s14, s73
	s_cbranch_execz .LBB6_3250
.LBB6_3249:                             ;   in Loop: Header=BB6_2922 Depth=4
	v_and_b32_e32 v9, 0xffff, v0
	s_delay_alu instid0(VALU_DEP_1) | instskip(NEXT) | instid1(VALU_DEP_1)
	v_and_b32_e32 v20, 3, v9
	v_clz_i32_u32_e32 v1, v20
	s_delay_alu instid0(VALU_DEP_1) | instskip(SKIP_1) | instid1(VALU_DEP_2)
	v_min_u32_e32 v33, 32, v1
	v_mov_b32_e32 v1, v21
	v_subrev_nc_u32_e32 v12, 29, v33
	s_delay_alu instid0(VALU_DEP_1) | instskip(SKIP_3) | instid1(VALU_DEP_3)
	v_lshlrev_b64_e32 v[12:13], v12, v[0:1]
	v_bfe_u32 v1, v9, 2, 5
	v_dual_lshlrev_b32 v0, 24, v0 :: v_dual_sub_nc_u32 v13, 30, v33
	v_and_b32_e32 v9, 0x7c, v9
	v_cmp_eq_u32_e64 s13, 0, v1
	s_delay_alu instid0(VALU_DEP_3) | instskip(NEXT) | instid1(VALU_DEP_2)
	v_and_b32_e32 v0, 0x80000000, v0
	v_dual_cndmask_b32 v1, v1, v13, s13 :: v_dual_bitop2_b32 v12, 3, v12 bitop3:0x40
	s_delay_alu instid0(VALU_DEP_1) | instskip(SKIP_1) | instid1(VALU_DEP_3)
	v_cndmask_b32_e64 v12, v20, v12, s13
	v_cmp_lt_i16_e64 s13, -1, v10
	v_lshl_add_u32 v0, v1, 23, v0
	v_mov_b32_e32 v1, 0x7f800000
	s_delay_alu instid0(VALU_DEP_2) | instskip(NEXT) | instid1(VALU_DEP_2)
	v_lshl_or_b32 v0, v12, 21, v0
	v_cndmask_b32_e64 v1, 0xff800000, v1, s13
	v_cmp_eq_u32_e64 s13, 0, v20
	s_delay_alu instid0(VALU_DEP_3) | instskip(NEXT) | instid1(VALU_DEP_2)
	v_add_nc_u32_e32 v0, 0x38000000, v0
	v_cndmask_b32_e64 v1, 0x7f800001, v1, s13
	v_cmp_eq_u32_e64 s13, 0x7c, v9
	s_delay_alu instid0(VALU_DEP_1)
	v_cndmask_b32_e64 v1, v0, v1, s13
.LBB6_3250:                             ;   in Loop: Header=BB6_2922 Depth=4
	s_or_b32 exec_lo, exec_lo, s14
	s_delay_alu instid0(VALU_DEP_1) | instskip(SKIP_1) | instid1(VALU_DEP_1)
	v_dual_mul_f32 v0, v8, v1 :: v_dual_mov_b32 v9, v21
                                        ; implicit-def: $vgpr33
	s_mov_b32 s14, exec_lo
	v_and_b32_e32 v8, 0x7f800000, v0
	v_and_b32_e32 v20, 0x7fffff, v0
	v_lshrrev_b32_e32 v1, 24, v0
	s_delay_alu instid0(VALU_DEP_3)
	v_cmpx_ne_u64_e32 0x7f800000, v[8:9]
	s_xor_b32 s73, exec_lo, s14
	s_cbranch_execz .LBB6_3264
; %bb.3251:                             ;   in Loop: Header=BB6_2922 Depth=4
	v_and_b32_e32 v8, 0x7fffffff, v0
	v_mov_b32_e32 v9, v21
	v_and_b32_e32 v12, 0x80, v1
                                        ; implicit-def: $vgpr33
	s_mov_b32 s14, exec_lo
	s_delay_alu instid0(VALU_DEP_2)
	v_cmpx_gt_u64_e32 0x47600001, v[8:9]
	s_xor_b32 s74, exec_lo, s14
	s_cbranch_execz .LBB6_3261
; %bb.3252:                             ;   in Loop: Header=BB6_2922 Depth=4
	v_mov_b32_e32 v33, 0
	s_mov_b32 s75, exec_lo
	v_cmpx_ne_u32_e32 0, v0
	s_cbranch_execz .LBB6_3260
; %bb.3253:                             ;   in Loop: Header=BB6_2922 Depth=4
	v_bfe_u32 v13, v0, 23, 8
	v_or_b32_e32 v8, 0x800000, v20
	s_mov_b32 s76, exec_lo
	s_delay_alu instid0(VALU_DEP_2) | instskip(SKIP_1) | instid1(VALU_DEP_1)
	v_dual_mov_b32 v9, v21 :: v_dual_sub_nc_u32 v0, 0x71, v13
	v_cmp_gt_u32_e64 s13, 0x72, v13
	v_cndmask_b32_e64 v0, 0, v0, s13
	v_cmp_eq_u32_e64 s13, 0, v13
	s_delay_alu instid0(VALU_DEP_1) | instskip(NEXT) | instid1(VALU_DEP_1)
	v_cndmask_b32_e64 v33, v0, 0x70, s13
	v_dual_cndmask_b32 v8, v8, v20, s13 :: v_dual_add_nc_u32 v0, 21, v33
	v_add_nc_u32_e32 v34, 20, v33
	s_delay_alu instid0(VALU_DEP_2) | instskip(NEXT) | instid1(VALU_DEP_2)
	v_lshlrev_b64_e64 v[0:1], v0, -1
	v_lshlrev_b64_e64 v[34:35], v34, 1
	s_delay_alu instid0(VALU_DEP_2) | instskip(NEXT) | instid1(VALU_DEP_3)
	v_bfi_b32 v37, v1, 0, 0
	v_bfi_b32 v36, v0, 0, v8
	v_lshrrev_b64 v[0:1], v33, v[8:9]
	s_delay_alu instid0(VALU_DEP_1) | instskip(NEXT) | instid1(VALU_DEP_3)
	v_mov_b64_e32 v[8:9], v[0:1]
	v_cmpx_eq_u64_e64 v[36:37], v[34:35]
; %bb.3254:                             ;   in Loop: Header=BB6_2922 Depth=4
	v_bfe_u32 v8, v0, 21, 1
	v_mov_b32_e32 v9, v21
	s_delay_alu instid0(VALU_DEP_1) | instskip(NEXT) | instid1(VALU_DEP_1)
	v_add_nc_u64_e32 v[8:9], v[0:1], v[8:9]
	v_add_nc_u64_e32 v[8:9], -1, v[8:9]
; %bb.3255:                             ;   in Loop: Header=BB6_2922 Depth=4
	s_or_b32 exec_lo, exec_lo, s76
	v_add_nc_u32_e32 v1, 0xffffff81, v13
	v_lshrrev_b32_e32 v9, 23, v0
	s_mov_b32 s14, exec_lo
	s_delay_alu instid0(VALU_DEP_2) | instskip(NEXT) | instid1(VALU_DEP_1)
	v_cndmask_b32_e64 v1, v1, 0xffffff82, s13
	v_add3_u32 v9, v33, v1, v9
	v_and_b32_e32 v1, 0x1fffff, v8
                                        ; implicit-def: $vgpr8
	s_delay_alu instid0(VALU_DEP_1) | instskip(NEXT) | instid1(VALU_DEP_1)
	v_dual_add_nc_u32 v13, 14, v9 :: v_dual_add_nc_u32 v20, v1, v0
                                        ; implicit-def: $vgpr0_vgpr1
	v_cmpx_ne_u32_e32 0, v13
	s_xor_b32 s14, exec_lo, s14
; %bb.3256:                             ;   in Loop: Header=BB6_2922 Depth=4
	s_delay_alu instid0(VALU_DEP_2) | instskip(SKIP_1) | instid1(VALU_DEP_1)
	v_cmp_lt_u64_e64 s13, 0xffffff, v[20:21]
	v_add_nc_u32_e32 v0, 15, v9
	v_cndmask_b32_e64 v8, v13, v0, s13
	v_cndmask_b32_e64 v0, 0, 1, s13
	s_delay_alu instid0(VALU_DEP_1)
	v_lshrrev_b64 v[0:1], v0, v[20:21]
; %bb.3257:                             ;   in Loop: Header=BB6_2922 Depth=4
	s_and_not1_saveexec_b32 s13, s14
; %bb.3258:                             ;   in Loop: Header=BB6_2922 Depth=4
	v_mov_b64_e32 v[0:1], v[20:21]
	v_bfe_u32 v8, v20, 23, 1
; %bb.3259:                             ;   in Loop: Header=BB6_2922 Depth=4
	s_or_b32 exec_lo, exec_lo, s13
	s_delay_alu instid0(VALU_DEP_2) | instskip(NEXT) | instid1(VALU_DEP_2)
	v_lshrrev_b64 v[0:1], 21, v[0:1]
	v_cmp_gt_i32_e64 s13, 32, v8
	v_min_i32_e32 v9, 31, v8
	v_cmp_eq_u32_e64 s14, 0, v8
	s_delay_alu instid0(VALU_DEP_3) | instskip(NEXT) | instid1(VALU_DEP_3)
	v_cndmask_b32_e64 v1, 0, v1, s13
	v_dual_lshlrev_b32 v9, 2, v9 :: v_dual_cndmask_b32 v0, 3, v0, s13
	s_delay_alu instid0(VALU_DEP_1) | instskip(NEXT) | instid1(VALU_DEP_2)
	v_and_b32_e32 v9, 0xfc, v9
	v_cmp_eq_u64_e64 s13, 0, v[0:1]
	s_delay_alu instid0(VALU_DEP_2)
	v_and_or_b32 v0, v0, 3, v9
	s_and_b32 s13, s14, s13
	s_delay_alu instid0(VALU_DEP_1) | instid1(SALU_CYCLE_1)
	v_cndmask_b32_e64 v0, v0, 0, s13
	s_delay_alu instid0(VALU_DEP_1)
	v_or_b32_e32 v33, v0, v12
.LBB6_3260:                             ;   in Loop: Header=BB6_2922 Depth=4
	s_or_b32 exec_lo, exec_lo, s75
                                        ; implicit-def: $vgpr12
.LBB6_3261:                             ;   in Loop: Header=BB6_2922 Depth=4
	s_and_not1_saveexec_b32 s13, s74
; %bb.3262:                             ;   in Loop: Header=BB6_2922 Depth=4
	v_or_b32_e32 v33, 0x7b, v12
; %bb.3263:                             ;   in Loop: Header=BB6_2922 Depth=4
	s_or_b32 exec_lo, exec_lo, s13
                                        ; implicit-def: $vgpr0
                                        ; implicit-def: $vgpr1
.LBB6_3264:                             ;   in Loop: Header=BB6_2922 Depth=4
	s_and_not1_saveexec_b32 s14, s73
	s_cbranch_execz .LBB6_3270
; %bb.3265:                             ;   in Loop: Header=BB6_2922 Depth=4
	v_cmp_ne_u64_e64 s13, 0, v[20:21]
                                        ; implicit-def: $vgpr33
	s_and_saveexec_b32 s73, s13
	s_delay_alu instid0(SALU_CYCLE_1)
	s_xor_b32 s13, exec_lo, s73
; %bb.3266:                             ;   in Loop: Header=BB6_2922 Depth=4
	v_or_b32_e32 v33, 0x7f, v1
                                        ; implicit-def: $vgpr0
; %bb.3267:                             ;   in Loop: Header=BB6_2922 Depth=4
	s_and_not1_saveexec_b32 s73, s13
; %bb.3268:                             ;   in Loop: Header=BB6_2922 Depth=4
	v_cmp_lt_i32_e64 s13, -1, v0
	v_mov_b32_e32 v0, 0x7c
	s_delay_alu instid0(VALU_DEP_1)
	v_cndmask_b32_e64 v33, 0xfc, v0, s13
; %bb.3269:                             ;   in Loop: Header=BB6_2922 Depth=4
	s_or_b32 exec_lo, exec_lo, s73
.LBB6_3270:                             ;   in Loop: Header=BB6_2922 Depth=4
	s_delay_alu instid0(SALU_CYCLE_1) | instskip(SKIP_2) | instid1(VALU_DEP_1)
	s_or_b32 exec_lo, exec_lo, s14
	v_dual_mov_b32 v1, 0 :: v_dual_lshrrev_b32 v0, 16, v2
	s_mov_b32 s14, exec_lo
	v_and_b32_e32 v8, 0xff, v0
	s_delay_alu instid0(VALU_DEP_1)
	v_cmpx_ne_u16_e32 0, v8
	s_cbranch_execz .LBB6_3280
; %bb.3271:                             ;   in Loop: Header=BB6_2922 Depth=4
	v_bfrev_b32_e32 v1, 1
	s_mov_b32 s73, exec_lo
	v_cmpx_ne_u16_e32 0x80, v8
	s_cbranch_execz .LBB6_3279
; %bb.3272:                             ;   in Loop: Header=BB6_2922 Depth=4
	v_and_b32_e32 v1, 0x7c0000, v2
	v_bfe_u32 v8, v2, 16, 2
	s_delay_alu instid0(VALU_DEP_2) | instskip(SKIP_1) | instid1(SALU_CYCLE_1)
	v_cmp_ne_u32_e64 s13, 0x7c0000, v1
                                        ; implicit-def: $vgpr1
	s_and_saveexec_b32 s74, s13
	s_xor_b32 s74, exec_lo, s74
	s_cbranch_execz .LBB6_3276
; %bb.3273:                             ;   in Loop: Header=BB6_2922 Depth=4
	v_bfe_u32 v1, v2, 18, 5
	s_mov_b32 s75, exec_lo
	s_delay_alu instid0(VALU_DEP_1)
	v_cmpx_eq_u32_e32 0, v1
; %bb.3274:                             ;   in Loop: Header=BB6_2922 Depth=4
	v_clz_i32_u32_e32 v1, v8
	s_delay_alu instid0(VALU_DEP_1) | instskip(NEXT) | instid1(VALU_DEP_1)
	v_min_u32_e32 v1, 32, v1
	v_subrev_nc_u32_e32 v8, 29, v1
	s_delay_alu instid0(VALU_DEP_1) | instskip(NEXT) | instid1(VALU_DEP_1)
	v_lshlrev_b64_e32 v[8:9], v8, v[0:1]
	v_dual_sub_nc_u32 v1, 30, v1 :: v_dual_bitop2_b32 v8, 3, v8 bitop3:0x40
; %bb.3275:                             ;   in Loop: Header=BB6_2922 Depth=4
	s_or_b32 exec_lo, exec_lo, s75
	v_lshlrev_b32_e32 v0, 24, v0
	s_delay_alu instid0(VALU_DEP_1) | instskip(NEXT) | instid1(VALU_DEP_1)
	v_and_b32_e32 v0, 0x80000000, v0
	v_lshl_add_u32 v0, v1, 23, v0
	s_delay_alu instid0(VALU_DEP_1) | instskip(NEXT) | instid1(VALU_DEP_1)
	v_lshl_or_b32 v0, v8, 21, v0
                                        ; implicit-def: $vgpr8
	v_add_nc_u32_e32 v1, 0x38000000, v0
                                        ; implicit-def: $vgpr0
.LBB6_3276:                             ;   in Loop: Header=BB6_2922 Depth=4
	s_and_not1_saveexec_b32 s74, s74
; %bb.3277:                             ;   in Loop: Header=BB6_2922 Depth=4
	v_bfe_i32 v0, v0, 0, 8
	s_delay_alu instid0(VALU_DEP_1) | instskip(SKIP_1) | instid1(VALU_DEP_1)
	v_cmp_lt_i16_e64 s13, -1, v0
	v_mov_b32_e32 v0, 0x7f800000
	v_cndmask_b32_e64 v0, 0xff800000, v0, s13
	v_cmp_eq_u32_e64 s13, 0, v8
	s_delay_alu instid0(VALU_DEP_1)
	v_cndmask_b32_e64 v1, 0x7f800001, v0, s13
; %bb.3278:                             ;   in Loop: Header=BB6_2922 Depth=4
	s_or_b32 exec_lo, exec_lo, s74
.LBB6_3279:                             ;   in Loop: Header=BB6_2922 Depth=4
	s_delay_alu instid0(SALU_CYCLE_1)
	s_or_b32 exec_lo, exec_lo, s73
.LBB6_3280:                             ;   in Loop: Header=BB6_2922 Depth=4
	s_delay_alu instid0(SALU_CYCLE_1) | instskip(SKIP_3) | instid1(VALU_DEP_1)
	s_or_b32 exec_lo, exec_lo, s14
	v_lshrrev_b32_e32 v0, 16, v10
	s_mov_b32 s73, 0
	s_mov_b32 s14, exec_lo
	v_and_b32_e32 v9, 0xff, v0
	s_delay_alu instid0(VALU_DEP_1)
	v_cmpx_lt_i16_e32 0x7f, v9
	s_xor_b32 s14, exec_lo, s14
	s_cbranch_execz .LBB6_3489
; %bb.3281:                             ;   in Loop: Header=BB6_2922 Depth=4
	s_mov_b32 s73, -1
	s_mov_b32 s74, exec_lo
	v_cmpx_eq_u16_e32 0x80, v9
; %bb.3282:                             ;   in Loop: Header=BB6_2922 Depth=4
	s_xor_b32 s73, exec_lo, -1
; %bb.3283:                             ;   in Loop: Header=BB6_2922 Depth=4
	s_or_b32 exec_lo, exec_lo, s74
	s_delay_alu instid0(SALU_CYCLE_1)
	s_and_b32 s73, s73, exec_lo
                                        ; implicit-def: $vgpr9
	s_or_saveexec_b32 s14, s14
	v_bfrev_b32_e32 v8, 1
	s_xor_b32 exec_lo, exec_lo, s14
	s_cbranch_execnz .LBB6_3490
.LBB6_3284:                             ;   in Loop: Header=BB6_2922 Depth=4
	s_or_b32 exec_lo, exec_lo, s14
	s_and_saveexec_b32 s14, s73
	s_cbranch_execz .LBB6_3286
.LBB6_3285:                             ;   in Loop: Header=BB6_2922 Depth=4
	v_and_b32_e32 v12, 3, v0
	v_bfe_u32 v20, v10, 18, 5
	s_delay_alu instid0(VALU_DEP_2) | instskip(NEXT) | instid1(VALU_DEP_2)
	v_clz_i32_u32_e32 v8, v12
	v_cmp_eq_u32_e64 s13, 0, v20
	s_delay_alu instid0(VALU_DEP_2) | instskip(NEXT) | instid1(VALU_DEP_1)
	v_min_u32_e32 v13, 32, v8
	v_subrev_nc_u32_e32 v8, 29, v13
	s_delay_alu instid0(VALU_DEP_1) | instskip(SKIP_2) | instid1(VALU_DEP_2)
	v_lshlrev_b64_e32 v[8:9], v8, v[0:1]
	v_dual_lshlrev_b32 v9, 24, v0 :: v_dual_sub_nc_u32 v13, 30, v13
	v_bfe_i32 v0, v0, 0, 8
	v_and_b32_e32 v9, 0x80000000, v9
	s_delay_alu instid0(VALU_DEP_3) | instskip(NEXT) | instid1(VALU_DEP_1)
	v_dual_cndmask_b32 v13, v20, v13, s13 :: v_dual_bitop2_b32 v8, 3, v8 bitop3:0x40
	v_cndmask_b32_e64 v8, v12, v8, s13
	s_delay_alu instid0(VALU_DEP_2) | instskip(SKIP_2) | instid1(VALU_DEP_3)
	v_lshl_add_u32 v9, v13, 23, v9
	v_cmp_lt_i16_e64 s13, -1, v0
	v_mov_b32_e32 v0, 0x7f800000
	v_lshl_or_b32 v8, v8, 21, v9
	v_and_b32_e32 v9, 0x7c0000, v10
	s_delay_alu instid0(VALU_DEP_3) | instskip(SKIP_1) | instid1(VALU_DEP_4)
	v_cndmask_b32_e64 v0, 0xff800000, v0, s13
	v_cmp_eq_u32_e64 s13, 0, v12
	v_add_nc_u32_e32 v8, 0x38000000, v8
	s_delay_alu instid0(VALU_DEP_2) | instskip(SKIP_1) | instid1(VALU_DEP_1)
	v_cndmask_b32_e64 v0, 0x7f800001, v0, s13
	v_cmp_eq_u32_e64 s13, 0x7c0000, v9
	v_cndmask_b32_e64 v8, v8, v0, s13
.LBB6_3286:                             ;   in Loop: Header=BB6_2922 Depth=4
	s_or_b32 exec_lo, exec_lo, s14
	s_delay_alu instid0(VALU_DEP_1) | instskip(SKIP_2) | instid1(VALU_DEP_2)
	v_mul_f32_e32 v0, v1, v8
	v_mov_b32_e32 v9, v21
                                        ; implicit-def: $vgpr34
	s_mov_b32 s14, exec_lo
	v_and_b32_e32 v8, 0x7f800000, v0
	v_and_b32_e32 v20, 0x7fffff, v0
	v_lshrrev_b32_e32 v1, 24, v0
	s_delay_alu instid0(VALU_DEP_3)
	v_cmpx_ne_u64_e32 0x7f800000, v[8:9]
	s_xor_b32 s73, exec_lo, s14
	s_cbranch_execz .LBB6_3300
; %bb.3287:                             ;   in Loop: Header=BB6_2922 Depth=4
	v_and_b32_e32 v8, 0x7fffffff, v0
	v_mov_b32_e32 v9, v21
	v_and_b32_e32 v12, 0x80, v1
                                        ; implicit-def: $vgpr34
	s_mov_b32 s14, exec_lo
	s_delay_alu instid0(VALU_DEP_2)
	v_cmpx_gt_u64_e32 0x47600001, v[8:9]
	s_xor_b32 s74, exec_lo, s14
	s_cbranch_execz .LBB6_3297
; %bb.3288:                             ;   in Loop: Header=BB6_2922 Depth=4
	v_mov_b32_e32 v34, 0
	s_mov_b32 s75, exec_lo
	v_cmpx_ne_u32_e32 0, v0
	s_cbranch_execz .LBB6_3296
; %bb.3289:                             ;   in Loop: Header=BB6_2922 Depth=4
	v_bfe_u32 v13, v0, 23, 8
	v_or_b32_e32 v8, 0x800000, v20
	s_mov_b32 s76, exec_lo
	s_delay_alu instid0(VALU_DEP_2) | instskip(SKIP_1) | instid1(VALU_DEP_1)
	v_dual_mov_b32 v9, v21 :: v_dual_sub_nc_u32 v0, 0x71, v13
	v_cmp_gt_u32_e64 s13, 0x72, v13
	v_cndmask_b32_e64 v0, 0, v0, s13
	v_cmp_eq_u32_e64 s13, 0, v13
	s_delay_alu instid0(VALU_DEP_1) | instskip(NEXT) | instid1(VALU_DEP_1)
	v_cndmask_b32_e64 v34, v0, 0x70, s13
	v_dual_cndmask_b32 v8, v8, v20, s13 :: v_dual_add_nc_u32 v0, 21, v34
	v_add_nc_u32_e32 v35, 20, v34
	s_delay_alu instid0(VALU_DEP_2) | instskip(NEXT) | instid1(VALU_DEP_2)
	v_lshlrev_b64_e64 v[0:1], v0, -1
	v_lshlrev_b64_e64 v[36:37], v35, 1
	s_delay_alu instid0(VALU_DEP_2) | instskip(NEXT) | instid1(VALU_DEP_3)
	v_bfi_b32 v39, v1, 0, 0
	v_bfi_b32 v38, v0, 0, v8
	v_lshrrev_b64 v[0:1], v34, v[8:9]
	s_delay_alu instid0(VALU_DEP_1) | instskip(NEXT) | instid1(VALU_DEP_3)
	v_mov_b64_e32 v[8:9], v[0:1]
	v_cmpx_eq_u64_e64 v[38:39], v[36:37]
; %bb.3290:                             ;   in Loop: Header=BB6_2922 Depth=4
	v_bfe_u32 v8, v0, 21, 1
	v_mov_b32_e32 v9, v21
	s_delay_alu instid0(VALU_DEP_1) | instskip(NEXT) | instid1(VALU_DEP_1)
	v_add_nc_u64_e32 v[8:9], v[0:1], v[8:9]
	v_add_nc_u64_e32 v[8:9], -1, v[8:9]
; %bb.3291:                             ;   in Loop: Header=BB6_2922 Depth=4
	s_or_b32 exec_lo, exec_lo, s76
	v_add_nc_u32_e32 v1, 0xffffff81, v13
	v_lshrrev_b32_e32 v9, 23, v0
	s_mov_b32 s14, exec_lo
	s_delay_alu instid0(VALU_DEP_2) | instskip(NEXT) | instid1(VALU_DEP_1)
	v_cndmask_b32_e64 v1, v1, 0xffffff82, s13
	v_add3_u32 v9, v34, v1, v9
	v_and_b32_e32 v1, 0x1fffff, v8
                                        ; implicit-def: $vgpr8
	s_delay_alu instid0(VALU_DEP_1) | instskip(NEXT) | instid1(VALU_DEP_1)
	v_dual_add_nc_u32 v13, 14, v9 :: v_dual_add_nc_u32 v20, v1, v0
                                        ; implicit-def: $vgpr0_vgpr1
	v_cmpx_ne_u32_e32 0, v13
	s_xor_b32 s14, exec_lo, s14
; %bb.3292:                             ;   in Loop: Header=BB6_2922 Depth=4
	s_delay_alu instid0(VALU_DEP_2) | instskip(SKIP_1) | instid1(VALU_DEP_1)
	v_cmp_lt_u64_e64 s13, 0xffffff, v[20:21]
	v_add_nc_u32_e32 v0, 15, v9
	v_cndmask_b32_e64 v8, v13, v0, s13
	v_cndmask_b32_e64 v0, 0, 1, s13
	s_delay_alu instid0(VALU_DEP_1)
	v_lshrrev_b64 v[0:1], v0, v[20:21]
; %bb.3293:                             ;   in Loop: Header=BB6_2922 Depth=4
	s_and_not1_saveexec_b32 s13, s14
; %bb.3294:                             ;   in Loop: Header=BB6_2922 Depth=4
	v_mov_b64_e32 v[0:1], v[20:21]
	v_bfe_u32 v8, v20, 23, 1
; %bb.3295:                             ;   in Loop: Header=BB6_2922 Depth=4
	s_or_b32 exec_lo, exec_lo, s13
	s_delay_alu instid0(VALU_DEP_2) | instskip(NEXT) | instid1(VALU_DEP_2)
	v_lshrrev_b64 v[0:1], 21, v[0:1]
	v_cmp_gt_i32_e64 s13, 32, v8
	v_min_i32_e32 v9, 31, v8
	v_cmp_eq_u32_e64 s14, 0, v8
	s_delay_alu instid0(VALU_DEP_3) | instskip(NEXT) | instid1(VALU_DEP_3)
	v_cndmask_b32_e64 v1, 0, v1, s13
	v_dual_lshlrev_b32 v9, 2, v9 :: v_dual_cndmask_b32 v0, 3, v0, s13
	s_delay_alu instid0(VALU_DEP_1) | instskip(NEXT) | instid1(VALU_DEP_2)
	v_and_b32_e32 v9, 0xfc, v9
	v_cmp_eq_u64_e64 s13, 0, v[0:1]
	s_delay_alu instid0(VALU_DEP_2)
	v_and_or_b32 v0, v0, 3, v9
	s_and_b32 s13, s14, s13
	s_delay_alu instid0(VALU_DEP_1) | instid1(SALU_CYCLE_1)
	v_cndmask_b32_e64 v0, v0, 0, s13
	s_delay_alu instid0(VALU_DEP_1)
	v_or_b32_e32 v34, v0, v12
.LBB6_3296:                             ;   in Loop: Header=BB6_2922 Depth=4
	s_or_b32 exec_lo, exec_lo, s75
                                        ; implicit-def: $vgpr12
.LBB6_3297:                             ;   in Loop: Header=BB6_2922 Depth=4
	s_and_not1_saveexec_b32 s13, s74
; %bb.3298:                             ;   in Loop: Header=BB6_2922 Depth=4
	v_or_b32_e32 v34, 0x7b, v12
; %bb.3299:                             ;   in Loop: Header=BB6_2922 Depth=4
	s_or_b32 exec_lo, exec_lo, s13
                                        ; implicit-def: $vgpr0
                                        ; implicit-def: $vgpr1
.LBB6_3300:                             ;   in Loop: Header=BB6_2922 Depth=4
	s_and_not1_saveexec_b32 s14, s73
	s_cbranch_execz .LBB6_3306
; %bb.3301:                             ;   in Loop: Header=BB6_2922 Depth=4
	v_cmp_ne_u64_e64 s13, 0, v[20:21]
                                        ; implicit-def: $vgpr34
	s_and_saveexec_b32 s73, s13
	s_delay_alu instid0(SALU_CYCLE_1)
	s_xor_b32 s13, exec_lo, s73
; %bb.3302:                             ;   in Loop: Header=BB6_2922 Depth=4
	v_or_b32_e32 v34, 0x7f, v1
                                        ; implicit-def: $vgpr0
; %bb.3303:                             ;   in Loop: Header=BB6_2922 Depth=4
	s_and_not1_saveexec_b32 s73, s13
; %bb.3304:                             ;   in Loop: Header=BB6_2922 Depth=4
	v_cmp_lt_i32_e64 s13, -1, v0
	v_mov_b32_e32 v0, 0x7c
	s_delay_alu instid0(VALU_DEP_1)
	v_cndmask_b32_e64 v34, 0xfc, v0, s13
; %bb.3305:                             ;   in Loop: Header=BB6_2922 Depth=4
	s_or_b32 exec_lo, exec_lo, s73
.LBB6_3306:                             ;   in Loop: Header=BB6_2922 Depth=4
	s_delay_alu instid0(SALU_CYCLE_1)
	s_or_b32 exec_lo, exec_lo, s14
	v_mov_b32_e32 v1, 0
	s_mov_b32 s14, exec_lo
	v_cmpx_lt_u32_e32 0xffffff, v2
	s_cbranch_execz .LBB6_3316
; %bb.3307:                             ;   in Loop: Header=BB6_2922 Depth=4
	v_lshrrev_b32_e32 v0, 24, v2
	v_bfrev_b32_e32 v1, 1
	s_mov_b32 s73, exec_lo
	s_delay_alu instid0(VALU_DEP_2)
	v_cmpx_ne_u32_e32 0x80, v0
	s_cbranch_execz .LBB6_3315
; %bb.3308:                             ;   in Loop: Header=BB6_2922 Depth=4
	v_and_b32_e32 v1, 0x7c000000, v2
	v_bfe_u32 v8, v2, 24, 2
	s_delay_alu instid0(VALU_DEP_2) | instskip(SKIP_1) | instid1(SALU_CYCLE_1)
	v_cmp_ne_u32_e64 s13, 0x7c000000, v1
                                        ; implicit-def: $vgpr1
	s_and_saveexec_b32 s74, s13
	s_xor_b32 s74, exec_lo, s74
	s_cbranch_execz .LBB6_3312
; %bb.3309:                             ;   in Loop: Header=BB6_2922 Depth=4
	v_bfe_u32 v1, v2, 26, 5
	s_mov_b32 s75, exec_lo
	s_delay_alu instid0(VALU_DEP_1)
	v_cmpx_eq_u32_e32 0, v1
; %bb.3310:                             ;   in Loop: Header=BB6_2922 Depth=4
	v_clz_i32_u32_e32 v1, v8
	s_delay_alu instid0(VALU_DEP_1) | instskip(NEXT) | instid1(VALU_DEP_1)
	v_min_u32_e32 v8, 32, v1
	v_subrev_nc_u32_e32 v1, 29, v8
	s_delay_alu instid0(VALU_DEP_1) | instskip(SKIP_1) | instid1(VALU_DEP_2)
	v_lshlrev_b64_e32 v[0:1], v1, v[0:1]
	v_sub_nc_u32_e32 v1, 30, v8
	v_and_b32_e32 v8, 3, v0
; %bb.3311:                             ;   in Loop: Header=BB6_2922 Depth=4
	s_or_b32 exec_lo, exec_lo, s75
	v_and_b32_e32 v0, 0x80000000, v2
	s_delay_alu instid0(VALU_DEP_1) | instskip(NEXT) | instid1(VALU_DEP_1)
	v_lshl_add_u32 v0, v1, 23, v0
	v_lshl_or_b32 v0, v8, 21, v0
                                        ; implicit-def: $vgpr8
	s_delay_alu instid0(VALU_DEP_1)
	v_add_nc_u32_e32 v1, 0x38000000, v0
.LBB6_3312:                             ;   in Loop: Header=BB6_2922 Depth=4
	s_and_not1_saveexec_b32 s74, s74
; %bb.3313:                             ;   in Loop: Header=BB6_2922 Depth=4
	v_cmp_lt_i32_e64 s13, -1, v2
	v_mov_b32_e32 v0, 0x7f800000
	s_delay_alu instid0(VALU_DEP_1) | instskip(SKIP_1) | instid1(VALU_DEP_1)
	v_cndmask_b32_e64 v0, 0xff800000, v0, s13
	v_cmp_eq_u32_e64 s13, 0, v8
	v_cndmask_b32_e64 v1, 0x7f800001, v0, s13
; %bb.3314:                             ;   in Loop: Header=BB6_2922 Depth=4
	s_or_b32 exec_lo, exec_lo, s74
.LBB6_3315:                             ;   in Loop: Header=BB6_2922 Depth=4
	s_delay_alu instid0(SALU_CYCLE_1)
	s_or_b32 exec_lo, exec_lo, s73
.LBB6_3316:                             ;   in Loop: Header=BB6_2922 Depth=4
	s_delay_alu instid0(SALU_CYCLE_1) | instskip(SKIP_3) | instid1(VALU_DEP_2)
	s_or_b32 exec_lo, exec_lo, s14
	v_bfe_u32 v12, v10, 24, 2
	v_bfe_u32 v20, v10, 26, 5
                                        ; implicit-def: $vgpr35
	s_mov_b32 s14, exec_lo
	v_clz_i32_u32_e32 v0, v12
	s_delay_alu instid0(VALU_DEP_2) | instskip(NEXT) | instid1(VALU_DEP_2)
	v_cmp_eq_u32_e64 s13, 0, v20
	v_min_u32_e32 v13, 32, v0
	v_lshrrev_b32_e32 v0, 24, v10
	s_delay_alu instid0(VALU_DEP_2) | instskip(NEXT) | instid1(VALU_DEP_1)
	v_subrev_nc_u32_e32 v8, 29, v13
	v_lshlrev_b64_e32 v[8:9], v8, v[0:1]
	v_sub_nc_u32_e32 v9, 30, v13
	v_and_b32_e32 v13, 0x80000000, v10
	s_delay_alu instid0(VALU_DEP_2) | instskip(NEXT) | instid1(VALU_DEP_1)
	v_dual_cndmask_b32 v9, v20, v9, s13 :: v_dual_bitop2_b32 v8, 3, v8 bitop3:0x40
	v_lshl_add_u32 v9, v9, 23, v13
	s_delay_alu instid0(VALU_DEP_2) | instskip(SKIP_2) | instid1(VALU_DEP_3)
	v_cndmask_b32_e64 v8, v12, v8, s13
	v_cmp_lt_i32_e64 s13, -1, v10
	v_mov_b32_e32 v13, 0x7f800000
	v_lshl_or_b32 v8, v8, 21, v9
	v_and_b32_e32 v9, 0x7c000000, v10
	s_delay_alu instid0(VALU_DEP_3) | instskip(SKIP_1) | instid1(VALU_DEP_4)
	v_cndmask_b32_e64 v13, 0xff800000, v13, s13
	v_cmp_eq_u32_e64 s13, 0, v12
	v_add_nc_u32_e32 v8, 0x38000000, v8
	s_delay_alu instid0(VALU_DEP_2) | instskip(SKIP_1) | instid1(VALU_DEP_1)
	v_cndmask_b32_e64 v12, 0x7f800001, v13, s13
	v_cmp_eq_u32_e64 s13, 0x7c000000, v9
	v_dual_mov_b32 v9, v21 :: v_dual_cndmask_b32 v8, v8, v12, s13
	v_cmp_ne_u32_e64 s13, 0x80, v0
	s_delay_alu instid0(VALU_DEP_1) | instskip(SKIP_1) | instid1(VALU_DEP_1)
	v_cndmask_b32_e64 v0, 0x80000000, v8, s13
	v_cmp_lt_u32_e64 s13, 0xffffff, v10
	v_cndmask_b32_e64 v0, 0, v0, s13
	s_delay_alu instid0(VALU_DEP_1) | instskip(NEXT) | instid1(VALU_DEP_1)
	v_mul_f32_e32 v0, v0, v1
	v_and_b32_e32 v8, 0x7f800000, v0
	v_and_b32_e32 v20, 0x7fffff, v0
	v_lshrrev_b32_e32 v1, 24, v0
	s_delay_alu instid0(VALU_DEP_3)
	v_cmpx_ne_u64_e32 0x7f800000, v[8:9]
	s_xor_b32 s73, exec_lo, s14
	s_cbranch_execz .LBB6_3330
; %bb.3317:                             ;   in Loop: Header=BB6_2922 Depth=4
	v_and_b32_e32 v8, 0x7fffffff, v0
	v_mov_b32_e32 v9, v21
	v_and_b32_e32 v12, 0x80, v1
                                        ; implicit-def: $vgpr35
	s_mov_b32 s14, exec_lo
	s_delay_alu instid0(VALU_DEP_2)
	v_cmpx_gt_u64_e32 0x47600001, v[8:9]
	s_xor_b32 s74, exec_lo, s14
	s_cbranch_execz .LBB6_3327
; %bb.3318:                             ;   in Loop: Header=BB6_2922 Depth=4
	v_mov_b32_e32 v35, 0
	s_mov_b32 s75, exec_lo
	v_cmpx_ne_u32_e32 0, v0
	s_cbranch_execz .LBB6_3326
; %bb.3319:                             ;   in Loop: Header=BB6_2922 Depth=4
	v_bfe_u32 v13, v0, 23, 8
	v_or_b32_e32 v8, 0x800000, v20
	s_mov_b32 s76, exec_lo
	s_delay_alu instid0(VALU_DEP_2) | instskip(SKIP_1) | instid1(VALU_DEP_1)
	v_dual_mov_b32 v9, v21 :: v_dual_sub_nc_u32 v0, 0x71, v13
	v_cmp_gt_u32_e64 s13, 0x72, v13
	v_cndmask_b32_e64 v0, 0, v0, s13
	v_cmp_eq_u32_e64 s13, 0, v13
	s_delay_alu instid0(VALU_DEP_1) | instskip(NEXT) | instid1(VALU_DEP_1)
	v_cndmask_b32_e64 v35, v0, 0x70, s13
	v_dual_cndmask_b32 v8, v8, v20, s13 :: v_dual_add_nc_u32 v0, 21, v35
	v_add_nc_u32_e32 v36, 20, v35
	s_delay_alu instid0(VALU_DEP_2) | instskip(NEXT) | instid1(VALU_DEP_2)
	v_lshlrev_b64_e64 v[0:1], v0, -1
	v_lshlrev_b64_e64 v[36:37], v36, 1
	s_delay_alu instid0(VALU_DEP_2) | instskip(NEXT) | instid1(VALU_DEP_3)
	v_bfi_b32 v39, v1, 0, 0
	v_bfi_b32 v38, v0, 0, v8
	v_lshrrev_b64 v[0:1], v35, v[8:9]
	s_delay_alu instid0(VALU_DEP_1) | instskip(NEXT) | instid1(VALU_DEP_3)
	v_mov_b64_e32 v[8:9], v[0:1]
	v_cmpx_eq_u64_e64 v[38:39], v[36:37]
; %bb.3320:                             ;   in Loop: Header=BB6_2922 Depth=4
	v_bfe_u32 v8, v0, 21, 1
	v_mov_b32_e32 v9, v21
	s_delay_alu instid0(VALU_DEP_1) | instskip(NEXT) | instid1(VALU_DEP_1)
	v_add_nc_u64_e32 v[8:9], v[0:1], v[8:9]
	v_add_nc_u64_e32 v[8:9], -1, v[8:9]
; %bb.3321:                             ;   in Loop: Header=BB6_2922 Depth=4
	s_or_b32 exec_lo, exec_lo, s76
	v_add_nc_u32_e32 v1, 0xffffff81, v13
	v_lshrrev_b32_e32 v9, 23, v0
	s_mov_b32 s14, exec_lo
	s_delay_alu instid0(VALU_DEP_2) | instskip(NEXT) | instid1(VALU_DEP_1)
	v_cndmask_b32_e64 v1, v1, 0xffffff82, s13
	v_add3_u32 v9, v35, v1, v9
	v_and_b32_e32 v1, 0x1fffff, v8
                                        ; implicit-def: $vgpr8
	s_delay_alu instid0(VALU_DEP_1) | instskip(NEXT) | instid1(VALU_DEP_1)
	v_dual_add_nc_u32 v13, 14, v9 :: v_dual_add_nc_u32 v20, v1, v0
                                        ; implicit-def: $vgpr0_vgpr1
	v_cmpx_ne_u32_e32 0, v13
	s_xor_b32 s14, exec_lo, s14
; %bb.3322:                             ;   in Loop: Header=BB6_2922 Depth=4
	s_delay_alu instid0(VALU_DEP_2) | instskip(SKIP_1) | instid1(VALU_DEP_1)
	v_cmp_lt_u64_e64 s13, 0xffffff, v[20:21]
	v_add_nc_u32_e32 v0, 15, v9
	v_cndmask_b32_e64 v8, v13, v0, s13
	v_cndmask_b32_e64 v0, 0, 1, s13
	s_delay_alu instid0(VALU_DEP_1)
	v_lshrrev_b64 v[0:1], v0, v[20:21]
; %bb.3323:                             ;   in Loop: Header=BB6_2922 Depth=4
	s_and_not1_saveexec_b32 s13, s14
; %bb.3324:                             ;   in Loop: Header=BB6_2922 Depth=4
	v_mov_b64_e32 v[0:1], v[20:21]
	v_bfe_u32 v8, v20, 23, 1
; %bb.3325:                             ;   in Loop: Header=BB6_2922 Depth=4
	s_or_b32 exec_lo, exec_lo, s13
	s_delay_alu instid0(VALU_DEP_2) | instskip(NEXT) | instid1(VALU_DEP_2)
	v_lshrrev_b64 v[0:1], 21, v[0:1]
	v_cmp_gt_i32_e64 s13, 32, v8
	v_min_i32_e32 v9, 31, v8
	v_cmp_eq_u32_e64 s14, 0, v8
	s_delay_alu instid0(VALU_DEP_3) | instskip(NEXT) | instid1(VALU_DEP_3)
	v_cndmask_b32_e64 v1, 0, v1, s13
	v_dual_lshlrev_b32 v9, 2, v9 :: v_dual_cndmask_b32 v0, 3, v0, s13
	s_delay_alu instid0(VALU_DEP_1) | instskip(NEXT) | instid1(VALU_DEP_2)
	v_and_b32_e32 v9, 0xfc, v9
	v_cmp_eq_u64_e64 s13, 0, v[0:1]
	s_delay_alu instid0(VALU_DEP_2)
	v_and_or_b32 v0, v0, 3, v9
	s_and_b32 s13, s14, s13
	s_delay_alu instid0(VALU_DEP_1) | instid1(SALU_CYCLE_1)
	v_cndmask_b32_e64 v0, v0, 0, s13
	s_delay_alu instid0(VALU_DEP_1)
	v_or_b32_e32 v35, v0, v12
.LBB6_3326:                             ;   in Loop: Header=BB6_2922 Depth=4
	s_or_b32 exec_lo, exec_lo, s75
                                        ; implicit-def: $vgpr12
.LBB6_3327:                             ;   in Loop: Header=BB6_2922 Depth=4
	s_and_not1_saveexec_b32 s13, s74
; %bb.3328:                             ;   in Loop: Header=BB6_2922 Depth=4
	v_or_b32_e32 v35, 0x7b, v12
; %bb.3329:                             ;   in Loop: Header=BB6_2922 Depth=4
	s_or_b32 exec_lo, exec_lo, s13
                                        ; implicit-def: $vgpr0
                                        ; implicit-def: $vgpr1
.LBB6_3330:                             ;   in Loop: Header=BB6_2922 Depth=4
	s_and_not1_saveexec_b32 s14, s73
	s_cbranch_execz .LBB6_3336
; %bb.3331:                             ;   in Loop: Header=BB6_2922 Depth=4
	v_cmp_ne_u64_e64 s13, 0, v[20:21]
                                        ; implicit-def: $vgpr35
	s_and_saveexec_b32 s73, s13
	s_delay_alu instid0(SALU_CYCLE_1)
	s_xor_b32 s13, exec_lo, s73
; %bb.3332:                             ;   in Loop: Header=BB6_2922 Depth=4
	v_or_b32_e32 v35, 0x7f, v1
                                        ; implicit-def: $vgpr0
; %bb.3333:                             ;   in Loop: Header=BB6_2922 Depth=4
	s_and_not1_saveexec_b32 s73, s13
; %bb.3334:                             ;   in Loop: Header=BB6_2922 Depth=4
	v_cmp_lt_i32_e64 s13, -1, v0
	v_mov_b32_e32 v0, 0x7c
	s_delay_alu instid0(VALU_DEP_1)
	v_cndmask_b32_e64 v35, 0xfc, v0, s13
; %bb.3335:                             ;   in Loop: Header=BB6_2922 Depth=4
	s_or_b32 exec_lo, exec_lo, s73
.LBB6_3336:                             ;   in Loop: Header=BB6_2922 Depth=4
	s_delay_alu instid0(SALU_CYCLE_1) | instskip(SKIP_3) | instid1(VALU_DEP_2)
	s_or_b32 exec_lo, exec_lo, s14
	v_and_b32_e32 v0, 0xff, v3
	v_dual_mov_b32 v20, v3 :: v_dual_mov_b32 v8, 0
	s_mov_b32 s14, exec_lo
	v_cmpx_ne_u16_e32 0, v0
	s_cbranch_execz .LBB6_3346
; %bb.3337:                             ;   in Loop: Header=BB6_2922 Depth=4
	v_bfrev_b32_e32 v8, 1
	s_mov_b32 s73, exec_lo
	v_cmpx_ne_u16_e32 0x80, v0
	s_cbranch_execz .LBB6_3345
; %bb.3338:                             ;   in Loop: Header=BB6_2922 Depth=4
	v_and_b32_e32 v1, 0x7c, v3
	v_and_b32_e32 v0, 3, v3
	s_mov_b32 s74, exec_lo
                                        ; implicit-def: $vgpr8
	s_delay_alu instid0(VALU_DEP_2)
	v_cmpx_ne_u32_e32 0x7c, v1
	s_xor_b32 s74, exec_lo, s74
	s_cbranch_execz .LBB6_3342
; %bb.3339:                             ;   in Loop: Header=BB6_2922 Depth=4
	v_bfe_u32 v1, v3, 2, 5
	s_mov_b32 s75, exec_lo
	s_delay_alu instid0(VALU_DEP_1)
	v_cmpx_eq_u32_e32 0, v1
; %bb.3340:                             ;   in Loop: Header=BB6_2922 Depth=4
	v_clz_i32_u32_e32 v0, v0
	s_delay_alu instid0(VALU_DEP_1) | instskip(NEXT) | instid1(VALU_DEP_1)
	v_min_u32_e32 v8, 32, v0
	v_subrev_nc_u32_e32 v0, 29, v8
	s_delay_alu instid0(VALU_DEP_1) | instskip(SKIP_1) | instid1(VALU_DEP_2)
	v_lshlrev_b64_e32 v[0:1], v0, v[20:21]
	v_sub_nc_u32_e32 v1, 30, v8
	v_and_b32_e32 v0, 3, v0
; %bb.3341:                             ;   in Loop: Header=BB6_2922 Depth=4
	s_or_b32 exec_lo, exec_lo, s75
	v_lshlrev_b32_e32 v8, 24, v3
	s_delay_alu instid0(VALU_DEP_1) | instskip(NEXT) | instid1(VALU_DEP_1)
	v_and_b32_e32 v8, 0x80000000, v8
	v_lshl_add_u32 v1, v1, 23, v8
	s_delay_alu instid0(VALU_DEP_1) | instskip(NEXT) | instid1(VALU_DEP_1)
	v_lshl_or_b32 v0, v0, 21, v1
	v_add_nc_u32_e32 v8, 0x38000000, v0
                                        ; implicit-def: $vgpr0
.LBB6_3342:                             ;   in Loop: Header=BB6_2922 Depth=4
	s_and_not1_saveexec_b32 s74, s74
; %bb.3343:                             ;   in Loop: Header=BB6_2922 Depth=4
	v_bfe_i32 v1, v3, 0, 8
	s_delay_alu instid0(VALU_DEP_1) | instskip(SKIP_1) | instid1(VALU_DEP_1)
	v_cmp_lt_i16_e64 s13, -1, v1
	v_mov_b32_e32 v1, 0x7f800000
	v_cndmask_b32_e64 v1, 0xff800000, v1, s13
	v_cmp_eq_u32_e64 s13, 0, v0
	s_delay_alu instid0(VALU_DEP_1)
	v_cndmask_b32_e64 v8, 0x7f800001, v1, s13
; %bb.3344:                             ;   in Loop: Header=BB6_2922 Depth=4
	s_or_b32 exec_lo, exec_lo, s74
.LBB6_3345:                             ;   in Loop: Header=BB6_2922 Depth=4
	s_delay_alu instid0(SALU_CYCLE_1)
	s_or_b32 exec_lo, exec_lo, s73
.LBB6_3346:                             ;   in Loop: Header=BB6_2922 Depth=4
	s_delay_alu instid0(SALU_CYCLE_1) | instskip(SKIP_4) | instid1(VALU_DEP_2)
	s_or_b32 exec_lo, exec_lo, s14
	v_and_b32_e32 v1, 0xff, v11
	v_mov_b32_e32 v0, v11
	s_mov_b32 s73, 0
	s_mov_b32 s14, exec_lo
	v_cmpx_lt_i16_e32 0x7f, v1
	s_xor_b32 s14, exec_lo, s14
	s_cbranch_execz .LBB6_3491
; %bb.3347:                             ;   in Loop: Header=BB6_2922 Depth=4
	s_mov_b32 s73, -1
	s_mov_b32 s74, exec_lo
	v_cmpx_eq_u16_e32 0x80, v1
; %bb.3348:                             ;   in Loop: Header=BB6_2922 Depth=4
	s_xor_b32 s73, exec_lo, -1
; %bb.3349:                             ;   in Loop: Header=BB6_2922 Depth=4
	s_or_b32 exec_lo, exec_lo, s74
	s_delay_alu instid0(SALU_CYCLE_1)
	s_and_b32 s73, s73, exec_lo
                                        ; implicit-def: $vgpr1
	s_or_saveexec_b32 s14, s14
	v_bfrev_b32_e32 v9, 1
	s_xor_b32 exec_lo, exec_lo, s14
	s_cbranch_execnz .LBB6_3492
.LBB6_3350:                             ;   in Loop: Header=BB6_2922 Depth=4
	s_or_b32 exec_lo, exec_lo, s14
	v_mov_b32_e32 v1, v21
	s_and_saveexec_b32 s14, s73
	s_cbranch_execz .LBB6_3352
.LBB6_3351:                             ;   in Loop: Header=BB6_2922 Depth=4
	v_and_b32_e32 v9, 3, v11
	s_delay_alu instid0(VALU_DEP_1) | instskip(NEXT) | instid1(VALU_DEP_1)
	v_clz_i32_u32_e32 v12, v9
	v_min_u32_e32 v36, 32, v12
	s_delay_alu instid0(VALU_DEP_1) | instskip(SKIP_1) | instid1(VALU_DEP_2)
	v_subrev_nc_u32_e32 v12, 29, v36
	v_sub_nc_u32_e32 v36, 30, v36
	v_lshlrev_b64_e32 v[12:13], v12, v[0:1]
	v_bfe_u32 v13, v11, 2, 5
	v_lshlrev_b32_e32 v1, 24, v11
	s_delay_alu instid0(VALU_DEP_2) | instskip(NEXT) | instid1(VALU_DEP_2)
	v_cmp_eq_u32_e64 s13, 0, v13
	v_and_b32_e32 v1, 0x80000000, v1
	v_and_b32_e32 v12, 3, v12
	s_delay_alu instid0(VALU_DEP_3) | instskip(SKIP_1) | instid1(VALU_DEP_3)
	v_cndmask_b32_e64 v13, v13, v36, s13
	v_bfe_i32 v36, v11, 0, 8
	v_cndmask_b32_e64 v12, v9, v12, s13
	s_delay_alu instid0(VALU_DEP_3) | instskip(NEXT) | instid1(VALU_DEP_3)
	v_lshl_add_u32 v1, v13, 23, v1
	v_cmp_lt_i16_e64 s13, -1, v36
	v_mov_b32_e32 v13, 0x7f800000
	s_delay_alu instid0(VALU_DEP_3) | instskip(SKIP_1) | instid1(VALU_DEP_3)
	v_lshl_or_b32 v1, v12, 21, v1
	v_and_b32_e32 v12, 0x7c, v11
	v_cndmask_b32_e64 v13, 0xff800000, v13, s13
	v_cmp_eq_u32_e64 s13, 0, v9
	s_delay_alu instid0(VALU_DEP_4) | instskip(NEXT) | instid1(VALU_DEP_2)
	v_add_nc_u32_e32 v1, 0x38000000, v1
	v_cndmask_b32_e64 v9, 0x7f800001, v13, s13
	v_cmp_eq_u32_e64 s13, 0x7c, v12
	s_delay_alu instid0(VALU_DEP_1)
	v_cndmask_b32_e64 v9, v1, v9, s13
.LBB6_3352:                             ;   in Loop: Header=BB6_2922 Depth=4
	s_or_b32 exec_lo, exec_lo, s14
	s_delay_alu instid0(VALU_DEP_1) | instskip(SKIP_2) | instid1(VALU_DEP_2)
	v_dual_mul_f32 v13, v8, v9 :: v_dual_mov_b32 v37, v21
	v_mov_b32_e32 v9, v21
                                        ; implicit-def: $vgpr12
	s_mov_b32 s14, exec_lo
	v_and_b32_e32 v36, 0x7f800000, v13
	v_and_b32_e32 v8, 0x7fffff, v13
	v_lshrrev_b32_e32 v1, 24, v13
	s_delay_alu instid0(VALU_DEP_3)
	v_cmpx_ne_u64_e32 0x7f800000, v[36:37]
	s_xor_b32 s73, exec_lo, s14
	s_cbranch_execz .LBB6_3366
; %bb.3353:                             ;   in Loop: Header=BB6_2922 Depth=4
	v_and_b32_e32 v36, 0x7fffffff, v13
	v_mov_b32_e32 v37, v21
	v_and_b32_e32 v1, 0x80, v1
                                        ; implicit-def: $vgpr12
	s_mov_b32 s14, exec_lo
	s_delay_alu instid0(VALU_DEP_2)
	v_cmpx_gt_u64_e32 0x47600001, v[36:37]
	s_xor_b32 s74, exec_lo, s14
	s_cbranch_execz .LBB6_3363
; %bb.3354:                             ;   in Loop: Header=BB6_2922 Depth=4
	v_mov_b32_e32 v12, 0
	s_mov_b32 s75, exec_lo
	v_cmpx_ne_u32_e32 0, v13
	s_cbranch_execz .LBB6_3362
; %bb.3355:                             ;   in Loop: Header=BB6_2922 Depth=4
	v_bfe_u32 v36, v13, 23, 8
	v_or_b32_e32 v38, 0x800000, v8
	s_delay_alu instid0(VALU_DEP_2) | instskip(SKIP_1) | instid1(VALU_DEP_1)
	v_sub_nc_u32_e32 v12, 0x71, v36
	v_cmp_gt_u32_e64 s13, 0x72, v36
	v_cndmask_b32_e64 v12, 0, v12, s13
	v_cmp_eq_u32_e64 s13, 0, v36
	s_delay_alu instid0(VALU_DEP_1) | instskip(NEXT) | instid1(VALU_DEP_1)
	v_cndmask_b32_e64 v37, v12, 0x70, s13
	v_dual_cndmask_b32 v8, v38, v8, s13 :: v_dual_add_nc_u32 v12, 21, v37
	v_add_nc_u32_e32 v39, 20, v37
	s_delay_alu instid0(VALU_DEP_2) | instskip(NEXT) | instid1(VALU_DEP_2)
	v_lshlrev_b64_e64 v[12:13], v12, -1
	v_lshlrev_b64_e64 v[38:39], v39, 1
	s_delay_alu instid0(VALU_DEP_2) | instskip(SKIP_1) | instid1(VALU_DEP_4)
	v_bfi_b32 v12, v12, 0, v8
	v_lshrrev_b64 v[8:9], v37, v[8:9]
	v_bfi_b32 v13, v13, 0, 0
	s_delay_alu instid0(VALU_DEP_1) | instskip(NEXT) | instid1(VALU_DEP_3)
	v_cmp_eq_u64_e64 s14, v[12:13], v[38:39]
	v_mov_b64_e32 v[12:13], v[8:9]
	s_and_saveexec_b32 s76, s14
; %bb.3356:                             ;   in Loop: Header=BB6_2922 Depth=4
	v_bfe_u32 v12, v8, 21, 1
	v_mov_b32_e32 v13, v21
	s_delay_alu instid0(VALU_DEP_1) | instskip(NEXT) | instid1(VALU_DEP_1)
	v_add_nc_u64_e32 v[12:13], v[8:9], v[12:13]
	v_add_nc_u64_e32 v[12:13], -1, v[12:13]
; %bb.3357:                             ;   in Loop: Header=BB6_2922 Depth=4
	s_or_b32 exec_lo, exec_lo, s76
	v_add_nc_u32_e32 v9, 0xffffff81, v36
	v_lshrrev_b32_e32 v13, 23, v8
	s_mov_b32 s14, exec_lo
	s_delay_alu instid0(VALU_DEP_2) | instskip(NEXT) | instid1(VALU_DEP_1)
	v_cndmask_b32_e64 v9, v9, 0xffffff82, s13
	v_add3_u32 v13, v37, v9, v13
	v_and_b32_e32 v9, 0x1fffff, v12
                                        ; implicit-def: $vgpr12
	s_delay_alu instid0(VALU_DEP_1) | instskip(SKIP_1) | instid1(VALU_DEP_2)
	v_dual_add_nc_u32 v36, 14, v13 :: v_dual_add_nc_u32 v8, v9, v8
	v_mov_b32_e32 v9, v21
	v_cmpx_ne_u32_e32 0, v36
	s_xor_b32 s14, exec_lo, s14
; %bb.3358:                             ;   in Loop: Header=BB6_2922 Depth=4
	s_delay_alu instid0(VALU_DEP_2) | instskip(SKIP_1) | instid1(VALU_DEP_2)
	v_cmp_lt_u64_e64 s13, 0xffffff, v[8:9]
	v_add_nc_u32_e32 v12, 15, v13
	v_cndmask_b32_e64 v13, 0, 1, s13
	s_delay_alu instid0(VALU_DEP_2) | instskip(NEXT) | instid1(VALU_DEP_2)
	v_cndmask_b32_e64 v12, v36, v12, s13
	v_lshrrev_b64 v[8:9], v13, v[8:9]
; %bb.3359:                             ;   in Loop: Header=BB6_2922 Depth=4
	s_and_not1_saveexec_b32 s13, s14
; %bb.3360:                             ;   in Loop: Header=BB6_2922 Depth=4
	s_delay_alu instid0(VALU_DEP_1)
	v_bfe_u32 v12, v8, 23, 1
; %bb.3361:                             ;   in Loop: Header=BB6_2922 Depth=4
	s_or_b32 exec_lo, exec_lo, s13
	s_delay_alu instid0(VALU_DEP_2) | instskip(NEXT) | instid1(VALU_DEP_2)
	v_lshrrev_b64 v[8:9], 21, v[8:9]
	v_cmp_gt_i32_e64 s13, 32, v12
	v_min_i32_e32 v13, 31, v12
	v_cmp_eq_u32_e64 s14, 0, v12
	s_delay_alu instid0(VALU_DEP_3) | instskip(NEXT) | instid1(VALU_DEP_3)
	v_cndmask_b32_e64 v9, 0, v9, s13
	v_dual_lshlrev_b32 v13, 2, v13 :: v_dual_cndmask_b32 v8, 3, v8, s13
	s_delay_alu instid0(VALU_DEP_1) | instskip(NEXT) | instid1(VALU_DEP_2)
	v_and_b32_e32 v13, 0xfc, v13
	v_cmp_eq_u64_e64 s13, 0, v[8:9]
	s_delay_alu instid0(VALU_DEP_2)
	v_and_or_b32 v8, v8, 3, v13
	s_and_b32 s13, s14, s13
	s_delay_alu instid0(VALU_DEP_1) | instid1(SALU_CYCLE_1)
	v_cndmask_b32_e64 v8, v8, 0, s13
	s_delay_alu instid0(VALU_DEP_1)
	v_or_b32_e32 v12, v8, v1
.LBB6_3362:                             ;   in Loop: Header=BB6_2922 Depth=4
	s_or_b32 exec_lo, exec_lo, s75
                                        ; implicit-def: $vgpr1
.LBB6_3363:                             ;   in Loop: Header=BB6_2922 Depth=4
	s_and_not1_saveexec_b32 s13, s74
; %bb.3364:                             ;   in Loop: Header=BB6_2922 Depth=4
	v_or_b32_e32 v12, 0x7b, v1
; %bb.3365:                             ;   in Loop: Header=BB6_2922 Depth=4
	s_or_b32 exec_lo, exec_lo, s13
                                        ; implicit-def: $vgpr13
                                        ; implicit-def: $vgpr8_vgpr9
                                        ; implicit-def: $vgpr1
.LBB6_3366:                             ;   in Loop: Header=BB6_2922 Depth=4
	s_and_not1_saveexec_b32 s14, s73
	s_cbranch_execz .LBB6_3372
; %bb.3367:                             ;   in Loop: Header=BB6_2922 Depth=4
	v_cmp_ne_u64_e64 s13, 0, v[8:9]
                                        ; implicit-def: $vgpr12
	s_and_saveexec_b32 s73, s13
	s_delay_alu instid0(SALU_CYCLE_1)
	s_xor_b32 s13, exec_lo, s73
; %bb.3368:                             ;   in Loop: Header=BB6_2922 Depth=4
	v_or_b32_e32 v12, 0x7f, v1
                                        ; implicit-def: $vgpr13
; %bb.3369:                             ;   in Loop: Header=BB6_2922 Depth=4
	s_and_not1_saveexec_b32 s73, s13
; %bb.3370:                             ;   in Loop: Header=BB6_2922 Depth=4
	v_cmp_lt_i32_e64 s13, -1, v13
	v_mov_b32_e32 v1, 0x7c
	s_delay_alu instid0(VALU_DEP_1)
	v_cndmask_b32_e64 v12, 0xfc, v1, s13
; %bb.3371:                             ;   in Loop: Header=BB6_2922 Depth=4
	s_or_b32 exec_lo, exec_lo, s73
.LBB6_3372:                             ;   in Loop: Header=BB6_2922 Depth=4
	s_delay_alu instid0(SALU_CYCLE_1) | instskip(SKIP_3) | instid1(VALU_DEP_2)
	s_or_b32 exec_lo, exec_lo, s14
	v_lshrrev_b16 v8, 8, v20
	v_mov_b32_e32 v1, 0
	s_mov_b32 s14, exec_lo
	v_cmpx_ne_u16_e32 0, v8
	s_cbranch_execz .LBB6_3382
; %bb.3373:                             ;   in Loop: Header=BB6_2922 Depth=4
	v_bfrev_b32_e32 v1, 1
	s_mov_b32 s73, exec_lo
	v_cmpx_ne_u16_e32 0x80, v8
	s_cbranch_execz .LBB6_3381
; %bb.3374:                             ;   in Loop: Header=BB6_2922 Depth=4
	v_and_b32_e32 v13, 0xffff, v8
	s_delay_alu instid0(VALU_DEP_1) | instskip(SKIP_1) | instid1(VALU_DEP_2)
	v_and_b32_e32 v1, 0x7c, v13
	v_and_b32_e32 v9, 3, v13
	v_cmp_ne_u32_e64 s13, 0x7c, v1
                                        ; implicit-def: $vgpr1
	s_and_saveexec_b32 s74, s13
	s_delay_alu instid0(SALU_CYCLE_1)
	s_xor_b32 s74, exec_lo, s74
	s_cbranch_execz .LBB6_3378
; %bb.3375:                             ;   in Loop: Header=BB6_2922 Depth=4
	v_bfe_u32 v1, v13, 2, 5
	s_mov_b32 s75, exec_lo
	s_delay_alu instid0(VALU_DEP_1)
	v_cmpx_eq_u32_e32 0, v1
	s_cbranch_execz .LBB6_3377
; %bb.3376:                             ;   in Loop: Header=BB6_2922 Depth=4
	v_clz_i32_u32_e32 v1, v9
	s_delay_alu instid0(VALU_DEP_1) | instskip(SKIP_1) | instid1(VALU_DEP_2)
	v_min_u32_e32 v1, 32, v1
	v_mov_b32_e32 v9, v21
	v_subrev_nc_u32_e32 v13, 29, v1
	v_sub_nc_u32_e32 v1, 30, v1
	s_delay_alu instid0(VALU_DEP_2) | instskip(NEXT) | instid1(VALU_DEP_1)
	v_lshlrev_b64_e32 v[8:9], v13, v[8:9]
	v_and_b32_e32 v9, 3, v8
.LBB6_3377:                             ;   in Loop: Header=BB6_2922 Depth=4
	s_or_b32 exec_lo, exec_lo, s75
	v_lshlrev_b32_e32 v8, 16, v20
	s_delay_alu instid0(VALU_DEP_1) | instskip(NEXT) | instid1(VALU_DEP_1)
	v_and_b32_e32 v8, 0x80000000, v8
	v_lshl_add_u32 v1, v1, 23, v8
	s_delay_alu instid0(VALU_DEP_1) | instskip(NEXT) | instid1(VALU_DEP_1)
	v_lshl_or_b32 v1, v9, 21, v1
                                        ; implicit-def: $vgpr9
	v_add_nc_u32_e32 v1, 0x38000000, v1
.LBB6_3378:                             ;   in Loop: Header=BB6_2922 Depth=4
	s_and_not1_saveexec_b32 s74, s74
; %bb.3379:                             ;   in Loop: Header=BB6_2922 Depth=4
	v_cmp_lt_i16_e64 s13, -1, v20
	v_mov_b32_e32 v1, 0x7f800000
	s_delay_alu instid0(VALU_DEP_1) | instskip(SKIP_1) | instid1(VALU_DEP_1)
	v_cndmask_b32_e64 v1, 0xff800000, v1, s13
	v_cmp_eq_u32_e64 s13, 0, v9
	v_cndmask_b32_e64 v1, 0x7f800001, v1, s13
; %bb.3380:                             ;   in Loop: Header=BB6_2922 Depth=4
	s_or_b32 exec_lo, exec_lo, s74
.LBB6_3381:                             ;   in Loop: Header=BB6_2922 Depth=4
	s_delay_alu instid0(SALU_CYCLE_1)
	s_or_b32 exec_lo, exec_lo, s73
.LBB6_3382:                             ;   in Loop: Header=BB6_2922 Depth=4
	s_delay_alu instid0(SALU_CYCLE_1) | instskip(SKIP_3) | instid1(VALU_DEP_1)
	s_or_b32 exec_lo, exec_lo, s14
	v_lshrrev_b16 v8, 8, v0
	s_mov_b32 s73, 0
	s_mov_b32 s14, exec_lo
	v_cmpx_lt_i16_e32 0x7f, v8
	s_xor_b32 s14, exec_lo, s14
	s_cbranch_execz .LBB6_3493
; %bb.3383:                             ;   in Loop: Header=BB6_2922 Depth=4
	s_mov_b32 s73, -1
	s_mov_b32 s74, exec_lo
	v_cmpx_eq_u16_e32 0x80, v8
; %bb.3384:                             ;   in Loop: Header=BB6_2922 Depth=4
	s_xor_b32 s73, exec_lo, -1
; %bb.3385:                             ;   in Loop: Header=BB6_2922 Depth=4
	s_or_b32 exec_lo, exec_lo, s74
	s_delay_alu instid0(SALU_CYCLE_1)
	s_and_b32 s73, s73, exec_lo
	s_or_saveexec_b32 s14, s14
	v_bfrev_b32_e32 v9, 1
	s_xor_b32 exec_lo, exec_lo, s14
	s_cbranch_execnz .LBB6_3494
.LBB6_3386:                             ;   in Loop: Header=BB6_2922 Depth=4
	s_or_b32 exec_lo, exec_lo, s14
	s_and_saveexec_b32 s14, s73
	s_cbranch_execz .LBB6_3388
.LBB6_3387:                             ;   in Loop: Header=BB6_2922 Depth=4
	v_and_b32_e32 v13, 0xffff, v8
	s_delay_alu instid0(VALU_DEP_1) | instskip(NEXT) | instid1(VALU_DEP_1)
	v_and_b32_e32 v20, 3, v13
	v_clz_i32_u32_e32 v9, v20
	s_delay_alu instid0(VALU_DEP_1) | instskip(SKIP_1) | instid1(VALU_DEP_2)
	v_min_u32_e32 v38, 32, v9
	v_mov_b32_e32 v9, v21
	v_subrev_nc_u32_e32 v36, 29, v38
	s_delay_alu instid0(VALU_DEP_1) | instskip(SKIP_2) | instid1(VALU_DEP_2)
	v_lshlrev_b64_e32 v[36:37], v36, v[8:9]
	v_bfe_u32 v9, v13, 2, 5
	v_dual_lshlrev_b32 v8, 24, v8 :: v_dual_sub_nc_u32 v37, 30, v38
	v_cmp_eq_u32_e64 s13, 0, v9
	s_delay_alu instid0(VALU_DEP_2) | instskip(NEXT) | instid1(VALU_DEP_2)
	v_and_b32_e32 v8, 0x80000000, v8
	v_dual_cndmask_b32 v9, v9, v37, s13 :: v_dual_bitop2_b32 v36, 3, v36 bitop3:0x40
	s_delay_alu instid0(VALU_DEP_1) | instskip(SKIP_2) | instid1(VALU_DEP_4)
	v_cndmask_b32_e64 v36, v20, v36, s13
	v_cmp_lt_i16_e64 s13, -1, v0
	v_mov_b32_e32 v0, 0x7f800000
	v_lshl_add_u32 v8, v9, 23, v8
	v_and_b32_e32 v9, 0x7c, v13
	s_delay_alu instid0(VALU_DEP_3) | instskip(NEXT) | instid1(VALU_DEP_3)
	v_cndmask_b32_e64 v0, 0xff800000, v0, s13
	v_lshl_or_b32 v8, v36, 21, v8
	v_cmp_eq_u32_e64 s13, 0, v20
	s_delay_alu instid0(VALU_DEP_2) | instskip(NEXT) | instid1(VALU_DEP_2)
	v_add_nc_u32_e32 v8, 0x38000000, v8
	v_cndmask_b32_e64 v0, 0x7f800001, v0, s13
	v_cmp_eq_u32_e64 s13, 0x7c, v9
	s_delay_alu instid0(VALU_DEP_1)
	v_cndmask_b32_e64 v9, v8, v0, s13
.LBB6_3388:                             ;   in Loop: Header=BB6_2922 Depth=4
	s_or_b32 exec_lo, exec_lo, s14
	s_delay_alu instid0(VALU_DEP_1) | instskip(SKIP_2) | instid1(VALU_DEP_2)
	v_mul_f32_e32 v0, v1, v9
	v_mov_b32_e32 v9, v21
                                        ; implicit-def: $vgpr13
	s_mov_b32 s14, exec_lo
	v_and_b32_e32 v8, 0x7f800000, v0
	v_and_b32_e32 v20, 0x7fffff, v0
	v_lshrrev_b32_e32 v1, 24, v0
	s_delay_alu instid0(VALU_DEP_3)
	v_cmpx_ne_u64_e32 0x7f800000, v[8:9]
	s_xor_b32 s73, exec_lo, s14
	s_cbranch_execz .LBB6_3402
; %bb.3389:                             ;   in Loop: Header=BB6_2922 Depth=4
	v_and_b32_e32 v8, 0x7fffffff, v0
	v_mov_b32_e32 v9, v21
	v_and_b32_e32 v36, 0x80, v1
                                        ; implicit-def: $vgpr13
	s_mov_b32 s14, exec_lo
	s_delay_alu instid0(VALU_DEP_2)
	v_cmpx_gt_u64_e32 0x47600001, v[8:9]
	s_xor_b32 s74, exec_lo, s14
	s_cbranch_execz .LBB6_3399
; %bb.3390:                             ;   in Loop: Header=BB6_2922 Depth=4
	v_mov_b32_e32 v13, 0
	s_mov_b32 s75, exec_lo
	v_cmpx_ne_u32_e32 0, v0
	s_cbranch_execz .LBB6_3398
; %bb.3391:                             ;   in Loop: Header=BB6_2922 Depth=4
	v_bfe_u32 v13, v0, 23, 8
	v_or_b32_e32 v8, 0x800000, v20
	s_mov_b32 s76, exec_lo
	s_delay_alu instid0(VALU_DEP_2) | instskip(SKIP_1) | instid1(VALU_DEP_1)
	v_dual_mov_b32 v9, v21 :: v_dual_sub_nc_u32 v0, 0x71, v13
	v_cmp_gt_u32_e64 s13, 0x72, v13
	v_cndmask_b32_e64 v0, 0, v0, s13
	v_cmp_eq_u32_e64 s13, 0, v13
	s_delay_alu instid0(VALU_DEP_1) | instskip(NEXT) | instid1(VALU_DEP_1)
	v_cndmask_b32_e64 v37, v0, 0x70, s13
	v_dual_cndmask_b32 v8, v8, v20, s13 :: v_dual_add_nc_u32 v0, 21, v37
	v_add_nc_u32_e32 v38, 20, v37
	s_delay_alu instid0(VALU_DEP_2) | instskip(NEXT) | instid1(VALU_DEP_2)
	v_lshlrev_b64_e64 v[0:1], v0, -1
	v_lshlrev_b64_e64 v[38:39], v38, 1
	s_delay_alu instid0(VALU_DEP_2) | instskip(NEXT) | instid1(VALU_DEP_3)
	v_bfi_b32 v49, v1, 0, 0
	v_bfi_b32 v48, v0, 0, v8
	v_lshrrev_b64 v[0:1], v37, v[8:9]
	s_delay_alu instid0(VALU_DEP_1) | instskip(NEXT) | instid1(VALU_DEP_3)
	v_mov_b64_e32 v[8:9], v[0:1]
	v_cmpx_eq_u64_e64 v[48:49], v[38:39]
; %bb.3392:                             ;   in Loop: Header=BB6_2922 Depth=4
	v_bfe_u32 v8, v0, 21, 1
	v_mov_b32_e32 v9, v21
	s_delay_alu instid0(VALU_DEP_1) | instskip(NEXT) | instid1(VALU_DEP_1)
	v_add_nc_u64_e32 v[8:9], v[0:1], v[8:9]
	v_add_nc_u64_e32 v[8:9], -1, v[8:9]
; %bb.3393:                             ;   in Loop: Header=BB6_2922 Depth=4
	s_or_b32 exec_lo, exec_lo, s76
	v_add_nc_u32_e32 v1, 0xffffff81, v13
	v_lshrrev_b32_e32 v9, 23, v0
	s_mov_b32 s14, exec_lo
	s_delay_alu instid0(VALU_DEP_2) | instskip(NEXT) | instid1(VALU_DEP_1)
	v_cndmask_b32_e64 v1, v1, 0xffffff82, s13
	v_add3_u32 v9, v37, v1, v9
	v_and_b32_e32 v1, 0x1fffff, v8
                                        ; implicit-def: $vgpr8
	s_delay_alu instid0(VALU_DEP_1) | instskip(NEXT) | instid1(VALU_DEP_1)
	v_dual_add_nc_u32 v13, 14, v9 :: v_dual_add_nc_u32 v20, v1, v0
                                        ; implicit-def: $vgpr0_vgpr1
	v_cmpx_ne_u32_e32 0, v13
	s_xor_b32 s14, exec_lo, s14
; %bb.3394:                             ;   in Loop: Header=BB6_2922 Depth=4
	s_delay_alu instid0(VALU_DEP_2) | instskip(SKIP_1) | instid1(VALU_DEP_1)
	v_cmp_lt_u64_e64 s13, 0xffffff, v[20:21]
	v_add_nc_u32_e32 v0, 15, v9
	v_cndmask_b32_e64 v8, v13, v0, s13
	v_cndmask_b32_e64 v0, 0, 1, s13
	s_delay_alu instid0(VALU_DEP_1)
	v_lshrrev_b64 v[0:1], v0, v[20:21]
; %bb.3395:                             ;   in Loop: Header=BB6_2922 Depth=4
	s_and_not1_saveexec_b32 s13, s14
; %bb.3396:                             ;   in Loop: Header=BB6_2922 Depth=4
	v_mov_b64_e32 v[0:1], v[20:21]
	v_bfe_u32 v8, v20, 23, 1
; %bb.3397:                             ;   in Loop: Header=BB6_2922 Depth=4
	s_or_b32 exec_lo, exec_lo, s13
	s_delay_alu instid0(VALU_DEP_2) | instskip(NEXT) | instid1(VALU_DEP_2)
	v_lshrrev_b64 v[0:1], 21, v[0:1]
	v_cmp_gt_i32_e64 s13, 32, v8
	v_min_i32_e32 v9, 31, v8
	v_cmp_eq_u32_e64 s14, 0, v8
	s_delay_alu instid0(VALU_DEP_3) | instskip(NEXT) | instid1(VALU_DEP_3)
	v_cndmask_b32_e64 v1, 0, v1, s13
	v_dual_lshlrev_b32 v9, 2, v9 :: v_dual_cndmask_b32 v0, 3, v0, s13
	s_delay_alu instid0(VALU_DEP_1) | instskip(NEXT) | instid1(VALU_DEP_2)
	v_and_b32_e32 v9, 0xfc, v9
	v_cmp_eq_u64_e64 s13, 0, v[0:1]
	s_delay_alu instid0(VALU_DEP_2)
	v_and_or_b32 v0, v0, 3, v9
	s_and_b32 s13, s14, s13
	s_delay_alu instid0(VALU_DEP_1) | instid1(SALU_CYCLE_1)
	v_cndmask_b32_e64 v0, v0, 0, s13
	s_delay_alu instid0(VALU_DEP_1)
	v_or_b32_e32 v13, v0, v36
.LBB6_3398:                             ;   in Loop: Header=BB6_2922 Depth=4
	s_or_b32 exec_lo, exec_lo, s75
                                        ; implicit-def: $vgpr36
.LBB6_3399:                             ;   in Loop: Header=BB6_2922 Depth=4
	s_and_not1_saveexec_b32 s13, s74
; %bb.3400:                             ;   in Loop: Header=BB6_2922 Depth=4
	v_or_b32_e32 v13, 0x7b, v36
; %bb.3401:                             ;   in Loop: Header=BB6_2922 Depth=4
	s_or_b32 exec_lo, exec_lo, s13
                                        ; implicit-def: $vgpr0
                                        ; implicit-def: $vgpr1
.LBB6_3402:                             ;   in Loop: Header=BB6_2922 Depth=4
	s_and_not1_saveexec_b32 s14, s73
	s_cbranch_execz .LBB6_3408
; %bb.3403:                             ;   in Loop: Header=BB6_2922 Depth=4
	v_cmp_ne_u64_e64 s13, 0, v[20:21]
                                        ; implicit-def: $vgpr13
	s_and_saveexec_b32 s73, s13
	s_delay_alu instid0(SALU_CYCLE_1)
	s_xor_b32 s13, exec_lo, s73
; %bb.3404:                             ;   in Loop: Header=BB6_2922 Depth=4
	v_or_b32_e32 v13, 0x7f, v1
                                        ; implicit-def: $vgpr0
; %bb.3405:                             ;   in Loop: Header=BB6_2922 Depth=4
	s_and_not1_saveexec_b32 s73, s13
; %bb.3406:                             ;   in Loop: Header=BB6_2922 Depth=4
	v_cmp_lt_i32_e64 s13, -1, v0
	v_mov_b32_e32 v0, 0x7c
	s_delay_alu instid0(VALU_DEP_1)
	v_cndmask_b32_e64 v13, 0xfc, v0, s13
; %bb.3407:                             ;   in Loop: Header=BB6_2922 Depth=4
	s_or_b32 exec_lo, exec_lo, s73
.LBB6_3408:                             ;   in Loop: Header=BB6_2922 Depth=4
	s_delay_alu instid0(SALU_CYCLE_1) | instskip(SKIP_2) | instid1(VALU_DEP_1)
	s_or_b32 exec_lo, exec_lo, s14
	v_dual_mov_b32 v1, 0 :: v_dual_lshrrev_b32 v0, 16, v3
	s_mov_b32 s14, exec_lo
	v_and_b32_e32 v8, 0xff, v0
	s_delay_alu instid0(VALU_DEP_1)
	v_cmpx_ne_u16_e32 0, v8
	s_cbranch_execz .LBB6_3418
; %bb.3409:                             ;   in Loop: Header=BB6_2922 Depth=4
	v_bfrev_b32_e32 v1, 1
	s_mov_b32 s73, exec_lo
	v_cmpx_ne_u16_e32 0x80, v8
	s_cbranch_execz .LBB6_3417
; %bb.3410:                             ;   in Loop: Header=BB6_2922 Depth=4
	v_and_b32_e32 v1, 0x7c0000, v3
	v_bfe_u32 v8, v3, 16, 2
	s_delay_alu instid0(VALU_DEP_2) | instskip(SKIP_1) | instid1(SALU_CYCLE_1)
	v_cmp_ne_u32_e64 s13, 0x7c0000, v1
                                        ; implicit-def: $vgpr1
	s_and_saveexec_b32 s74, s13
	s_xor_b32 s74, exec_lo, s74
	s_cbranch_execz .LBB6_3414
; %bb.3411:                             ;   in Loop: Header=BB6_2922 Depth=4
	v_bfe_u32 v1, v3, 18, 5
	s_mov_b32 s75, exec_lo
	s_delay_alu instid0(VALU_DEP_1)
	v_cmpx_eq_u32_e32 0, v1
; %bb.3412:                             ;   in Loop: Header=BB6_2922 Depth=4
	v_clz_i32_u32_e32 v1, v8
	s_delay_alu instid0(VALU_DEP_1) | instskip(NEXT) | instid1(VALU_DEP_1)
	v_min_u32_e32 v1, 32, v1
	v_subrev_nc_u32_e32 v8, 29, v1
	s_delay_alu instid0(VALU_DEP_1) | instskip(NEXT) | instid1(VALU_DEP_1)
	v_lshlrev_b64_e32 v[8:9], v8, v[0:1]
	v_dual_sub_nc_u32 v1, 30, v1 :: v_dual_bitop2_b32 v8, 3, v8 bitop3:0x40
; %bb.3413:                             ;   in Loop: Header=BB6_2922 Depth=4
	s_or_b32 exec_lo, exec_lo, s75
	v_lshlrev_b32_e32 v0, 24, v0
	s_delay_alu instid0(VALU_DEP_1) | instskip(NEXT) | instid1(VALU_DEP_1)
	v_and_b32_e32 v0, 0x80000000, v0
	v_lshl_add_u32 v0, v1, 23, v0
	s_delay_alu instid0(VALU_DEP_1) | instskip(NEXT) | instid1(VALU_DEP_1)
	v_lshl_or_b32 v0, v8, 21, v0
                                        ; implicit-def: $vgpr8
	v_add_nc_u32_e32 v1, 0x38000000, v0
                                        ; implicit-def: $vgpr0
.LBB6_3414:                             ;   in Loop: Header=BB6_2922 Depth=4
	s_and_not1_saveexec_b32 s74, s74
; %bb.3415:                             ;   in Loop: Header=BB6_2922 Depth=4
	v_bfe_i32 v0, v0, 0, 8
	s_delay_alu instid0(VALU_DEP_1) | instskip(SKIP_1) | instid1(VALU_DEP_1)
	v_cmp_lt_i16_e64 s13, -1, v0
	v_mov_b32_e32 v0, 0x7f800000
	v_cndmask_b32_e64 v0, 0xff800000, v0, s13
	v_cmp_eq_u32_e64 s13, 0, v8
	s_delay_alu instid0(VALU_DEP_1)
	v_cndmask_b32_e64 v1, 0x7f800001, v0, s13
; %bb.3416:                             ;   in Loop: Header=BB6_2922 Depth=4
	s_or_b32 exec_lo, exec_lo, s74
.LBB6_3417:                             ;   in Loop: Header=BB6_2922 Depth=4
	s_delay_alu instid0(SALU_CYCLE_1)
	s_or_b32 exec_lo, exec_lo, s73
.LBB6_3418:                             ;   in Loop: Header=BB6_2922 Depth=4
	s_delay_alu instid0(SALU_CYCLE_1) | instskip(SKIP_3) | instid1(VALU_DEP_1)
	s_or_b32 exec_lo, exec_lo, s14
	v_lshrrev_b32_e32 v0, 16, v11
	s_mov_b32 s73, 0
	s_mov_b32 s14, exec_lo
	v_and_b32_e32 v9, 0xff, v0
	s_delay_alu instid0(VALU_DEP_1)
	v_cmpx_lt_i16_e32 0x7f, v9
	s_xor_b32 s14, exec_lo, s14
	s_cbranch_execz .LBB6_3495
; %bb.3419:                             ;   in Loop: Header=BB6_2922 Depth=4
	s_mov_b32 s73, -1
	s_mov_b32 s74, exec_lo
	v_cmpx_eq_u16_e32 0x80, v9
; %bb.3420:                             ;   in Loop: Header=BB6_2922 Depth=4
	s_xor_b32 s73, exec_lo, -1
; %bb.3421:                             ;   in Loop: Header=BB6_2922 Depth=4
	s_or_b32 exec_lo, exec_lo, s74
	s_delay_alu instid0(SALU_CYCLE_1)
	s_and_b32 s73, s73, exec_lo
                                        ; implicit-def: $vgpr9
	s_or_saveexec_b32 s14, s14
	v_bfrev_b32_e32 v8, 1
	s_xor_b32 exec_lo, exec_lo, s14
	s_cbranch_execnz .LBB6_3496
.LBB6_3422:                             ;   in Loop: Header=BB6_2922 Depth=4
	s_or_b32 exec_lo, exec_lo, s14
	s_and_saveexec_b32 s14, s73
	s_cbranch_execz .LBB6_3424
.LBB6_3423:                             ;   in Loop: Header=BB6_2922 Depth=4
	v_and_b32_e32 v20, 3, v0
	v_bfe_u32 v37, v11, 18, 5
	s_delay_alu instid0(VALU_DEP_2) | instskip(NEXT) | instid1(VALU_DEP_2)
	v_clz_i32_u32_e32 v8, v20
	v_cmp_eq_u32_e64 s13, 0, v37
	s_delay_alu instid0(VALU_DEP_2) | instskip(NEXT) | instid1(VALU_DEP_1)
	v_min_u32_e32 v36, 32, v8
	v_subrev_nc_u32_e32 v8, 29, v36
	v_sub_nc_u32_e32 v36, 30, v36
	s_delay_alu instid0(VALU_DEP_2) | instskip(SKIP_1) | instid1(VALU_DEP_3)
	v_lshlrev_b64_e32 v[8:9], v8, v[0:1]
	v_lshlrev_b32_e32 v9, 24, v0
	v_cndmask_b32_e64 v36, v37, v36, s13
	v_bfe_i32 v0, v0, 0, 8
	s_delay_alu instid0(VALU_DEP_3) | instskip(SKIP_1) | instid1(VALU_DEP_2)
	v_and_b32_e32 v9, 0x80000000, v9
	v_and_b32_e32 v8, 3, v8
	v_lshl_add_u32 v9, v36, 23, v9
	s_delay_alu instid0(VALU_DEP_2) | instskip(SKIP_2) | instid1(VALU_DEP_3)
	v_cndmask_b32_e64 v8, v20, v8, s13
	v_cmp_lt_i16_e64 s13, -1, v0
	v_mov_b32_e32 v0, 0x7f800000
	v_lshl_or_b32 v8, v8, 21, v9
	v_and_b32_e32 v9, 0x7c0000, v11
	s_delay_alu instid0(VALU_DEP_3) | instskip(SKIP_1) | instid1(VALU_DEP_4)
	v_cndmask_b32_e64 v0, 0xff800000, v0, s13
	v_cmp_eq_u32_e64 s13, 0, v20
	v_add_nc_u32_e32 v8, 0x38000000, v8
	s_delay_alu instid0(VALU_DEP_2) | instskip(SKIP_1) | instid1(VALU_DEP_1)
	v_cndmask_b32_e64 v0, 0x7f800001, v0, s13
	v_cmp_eq_u32_e64 s13, 0x7c0000, v9
	v_cndmask_b32_e64 v8, v8, v0, s13
.LBB6_3424:                             ;   in Loop: Header=BB6_2922 Depth=4
	s_or_b32 exec_lo, exec_lo, s14
	s_delay_alu instid0(VALU_DEP_1) | instskip(NEXT) | instid1(VALU_DEP_1)
	v_mul_f32_e32 v0, v1, v8
	v_dual_mov_b32 v9, v21 :: v_dual_lshrrev_b32 v1, 24, v0
	v_and_b32_e32 v8, 0x7f800000, v0
	v_and_b32_e32 v20, 0x7fffff, v0
	s_delay_alu instid0(VALU_DEP_2) | instskip(SKIP_1) | instid1(SALU_CYCLE_1)
	v_cmp_ne_u64_e64 s13, 0x7f800000, v[8:9]
                                        ; implicit-def: $vgpr8
	s_and_saveexec_b32 s14, s13
	s_xor_b32 s73, exec_lo, s14
	s_cbranch_execz .LBB6_3438
; %bb.3425:                             ;   in Loop: Header=BB6_2922 Depth=4
	v_and_b32_e32 v8, 0x7fffffff, v0
	v_mov_b32_e32 v9, v21
	v_and_b32_e32 v36, 0x80, v1
	s_delay_alu instid0(VALU_DEP_2) | instskip(SKIP_1) | instid1(SALU_CYCLE_1)
	v_cmp_gt_u64_e64 s13, 0x47600001, v[8:9]
                                        ; implicit-def: $vgpr8
	s_and_saveexec_b32 s14, s13
	s_xor_b32 s74, exec_lo, s14
	s_cbranch_execz .LBB6_3435
; %bb.3426:                             ;   in Loop: Header=BB6_2922 Depth=4
	v_mov_b32_e32 v8, 0
	s_mov_b32 s75, exec_lo
	v_cmpx_ne_u32_e32 0, v0
	s_cbranch_execz .LBB6_3434
; %bb.3427:                             ;   in Loop: Header=BB6_2922 Depth=4
	v_bfe_u32 v37, v0, 23, 8
	v_or_b32_e32 v8, 0x800000, v20
	s_mov_b32 s76, exec_lo
	s_delay_alu instid0(VALU_DEP_2) | instskip(SKIP_1) | instid1(VALU_DEP_1)
	v_dual_mov_b32 v9, v21 :: v_dual_sub_nc_u32 v0, 0x71, v37
	v_cmp_gt_u32_e64 s13, 0x72, v37
	v_cndmask_b32_e64 v0, 0, v0, s13
	v_cmp_eq_u32_e64 s13, 0, v37
	s_delay_alu instid0(VALU_DEP_1) | instskip(NEXT) | instid1(VALU_DEP_1)
	v_cndmask_b32_e64 v38, v0, 0x70, s13
	v_dual_cndmask_b32 v8, v8, v20, s13 :: v_dual_add_nc_u32 v0, 21, v38
	v_add_nc_u32_e32 v39, 20, v38
	s_delay_alu instid0(VALU_DEP_2) | instskip(NEXT) | instid1(VALU_DEP_2)
	v_lshlrev_b64_e64 v[0:1], v0, -1
	v_lshlrev_b64_e64 v[48:49], v39, 1
	s_delay_alu instid0(VALU_DEP_2) | instskip(NEXT) | instid1(VALU_DEP_3)
	v_bfi_b32 v51, v1, 0, 0
	v_bfi_b32 v50, v0, 0, v8
	v_lshrrev_b64 v[0:1], v38, v[8:9]
	s_delay_alu instid0(VALU_DEP_1) | instskip(NEXT) | instid1(VALU_DEP_3)
	v_mov_b64_e32 v[8:9], v[0:1]
	v_cmpx_eq_u64_e64 v[50:51], v[48:49]
; %bb.3428:                             ;   in Loop: Header=BB6_2922 Depth=4
	v_bfe_u32 v8, v0, 21, 1
	v_mov_b32_e32 v9, v21
	s_delay_alu instid0(VALU_DEP_1) | instskip(NEXT) | instid1(VALU_DEP_1)
	v_add_nc_u64_e32 v[8:9], v[0:1], v[8:9]
	v_add_nc_u64_e32 v[8:9], -1, v[8:9]
; %bb.3429:                             ;   in Loop: Header=BB6_2922 Depth=4
	s_or_b32 exec_lo, exec_lo, s76
	v_add_nc_u32_e32 v1, 0xffffff81, v37
	v_lshrrev_b32_e32 v9, 23, v0
	s_mov_b32 s14, exec_lo
	s_delay_alu instid0(VALU_DEP_2) | instskip(NEXT) | instid1(VALU_DEP_1)
	v_cndmask_b32_e64 v1, v1, 0xffffff82, s13
	v_add3_u32 v9, v38, v1, v9
	v_and_b32_e32 v1, 0x1fffff, v8
                                        ; implicit-def: $vgpr8
	s_delay_alu instid0(VALU_DEP_1) | instskip(NEXT) | instid1(VALU_DEP_1)
	v_dual_add_nc_u32 v37, 14, v9 :: v_dual_add_nc_u32 v20, v1, v0
                                        ; implicit-def: $vgpr0_vgpr1
	v_cmpx_ne_u32_e32 0, v37
	s_xor_b32 s14, exec_lo, s14
; %bb.3430:                             ;   in Loop: Header=BB6_2922 Depth=4
	s_delay_alu instid0(VALU_DEP_2) | instskip(SKIP_1) | instid1(VALU_DEP_1)
	v_cmp_lt_u64_e64 s13, 0xffffff, v[20:21]
	v_add_nc_u32_e32 v0, 15, v9
	v_cndmask_b32_e64 v8, v37, v0, s13
	v_cndmask_b32_e64 v0, 0, 1, s13
	s_delay_alu instid0(VALU_DEP_1)
	v_lshrrev_b64 v[0:1], v0, v[20:21]
; %bb.3431:                             ;   in Loop: Header=BB6_2922 Depth=4
	s_and_not1_saveexec_b32 s13, s14
; %bb.3432:                             ;   in Loop: Header=BB6_2922 Depth=4
	v_mov_b64_e32 v[0:1], v[20:21]
	v_bfe_u32 v8, v20, 23, 1
; %bb.3433:                             ;   in Loop: Header=BB6_2922 Depth=4
	s_or_b32 exec_lo, exec_lo, s13
	s_delay_alu instid0(VALU_DEP_2) | instskip(NEXT) | instid1(VALU_DEP_2)
	v_lshrrev_b64 v[0:1], 21, v[0:1]
	v_cmp_gt_i32_e64 s13, 32, v8
	v_min_i32_e32 v9, 31, v8
	v_cmp_eq_u32_e64 s14, 0, v8
	s_delay_alu instid0(VALU_DEP_3) | instskip(NEXT) | instid1(VALU_DEP_3)
	v_cndmask_b32_e64 v1, 0, v1, s13
	v_dual_lshlrev_b32 v9, 2, v9 :: v_dual_cndmask_b32 v0, 3, v0, s13
	s_delay_alu instid0(VALU_DEP_1) | instskip(NEXT) | instid1(VALU_DEP_2)
	v_and_b32_e32 v9, 0xfc, v9
	v_cmp_eq_u64_e64 s13, 0, v[0:1]
	s_delay_alu instid0(VALU_DEP_2)
	v_and_or_b32 v0, v0, 3, v9
	s_and_b32 s13, s14, s13
	s_delay_alu instid0(VALU_DEP_1) | instid1(SALU_CYCLE_1)
	v_cndmask_b32_e64 v0, v0, 0, s13
	s_delay_alu instid0(VALU_DEP_1)
	v_or_b32_e32 v8, v0, v36
.LBB6_3434:                             ;   in Loop: Header=BB6_2922 Depth=4
	s_or_b32 exec_lo, exec_lo, s75
                                        ; implicit-def: $vgpr36
.LBB6_3435:                             ;   in Loop: Header=BB6_2922 Depth=4
	s_and_not1_saveexec_b32 s13, s74
; %bb.3436:                             ;   in Loop: Header=BB6_2922 Depth=4
	v_or_b32_e32 v8, 0x7b, v36
; %bb.3437:                             ;   in Loop: Header=BB6_2922 Depth=4
	s_or_b32 exec_lo, exec_lo, s13
                                        ; implicit-def: $vgpr0
                                        ; implicit-def: $vgpr1
.LBB6_3438:                             ;   in Loop: Header=BB6_2922 Depth=4
	s_and_not1_saveexec_b32 s14, s73
	s_cbranch_execz .LBB6_3444
; %bb.3439:                             ;   in Loop: Header=BB6_2922 Depth=4
	v_cmp_ne_u64_e64 s13, 0, v[20:21]
                                        ; implicit-def: $vgpr8
	s_and_saveexec_b32 s73, s13
	s_delay_alu instid0(SALU_CYCLE_1)
	s_xor_b32 s13, exec_lo, s73
; %bb.3440:                             ;   in Loop: Header=BB6_2922 Depth=4
	v_or_b32_e32 v8, 0x7f, v1
                                        ; implicit-def: $vgpr0
; %bb.3441:                             ;   in Loop: Header=BB6_2922 Depth=4
	s_and_not1_saveexec_b32 s73, s13
; %bb.3442:                             ;   in Loop: Header=BB6_2922 Depth=4
	v_cmp_lt_i32_e64 s13, -1, v0
	v_mov_b32_e32 v0, 0x7c
	s_delay_alu instid0(VALU_DEP_1)
	v_cndmask_b32_e64 v8, 0xfc, v0, s13
; %bb.3443:                             ;   in Loop: Header=BB6_2922 Depth=4
	s_or_b32 exec_lo, exec_lo, s73
.LBB6_3444:                             ;   in Loop: Header=BB6_2922 Depth=4
	s_delay_alu instid0(SALU_CYCLE_1)
	s_or_b32 exec_lo, exec_lo, s14
	v_mov_b32_e32 v1, 0
	s_mov_b32 s14, exec_lo
	v_cmpx_lt_u64_e64 s[22:23], v[2:3]
	s_cbranch_execz .LBB6_3454
; %bb.3445:                             ;   in Loop: Header=BB6_2922 Depth=4
	v_lshrrev_b32_e32 v0, 24, v3
	v_bfrev_b32_e32 v1, 1
	s_mov_b32 s73, exec_lo
	s_delay_alu instid0(VALU_DEP_2)
	v_cmpx_ne_u32_e32 0x80, v0
	s_cbranch_execz .LBB6_3453
; %bb.3446:                             ;   in Loop: Header=BB6_2922 Depth=4
	v_and_b32_e32 v1, 0x7c000000, v3
	v_bfe_u32 v9, v3, 24, 2
	s_delay_alu instid0(VALU_DEP_2) | instskip(SKIP_1) | instid1(SALU_CYCLE_1)
	v_cmp_ne_u32_e64 s13, 0x7c000000, v1
                                        ; implicit-def: $vgpr1
	s_and_saveexec_b32 s74, s13
	s_xor_b32 s74, exec_lo, s74
	s_cbranch_execz .LBB6_3450
; %bb.3447:                             ;   in Loop: Header=BB6_2922 Depth=4
	v_bfe_u32 v1, v3, 26, 5
	s_mov_b32 s75, exec_lo
	s_delay_alu instid0(VALU_DEP_1)
	v_cmpx_eq_u32_e32 0, v1
; %bb.3448:                             ;   in Loop: Header=BB6_2922 Depth=4
	v_clz_i32_u32_e32 v1, v9
	s_delay_alu instid0(VALU_DEP_1) | instskip(NEXT) | instid1(VALU_DEP_1)
	v_min_u32_e32 v2, 32, v1
	v_subrev_nc_u32_e32 v1, 29, v2
	s_delay_alu instid0(VALU_DEP_1) | instskip(NEXT) | instid1(VALU_DEP_1)
	v_lshlrev_b64_e32 v[0:1], v1, v[0:1]
	v_dual_sub_nc_u32 v1, 30, v2 :: v_dual_bitop2_b32 v9, 3, v0 bitop3:0x40
; %bb.3449:                             ;   in Loop: Header=BB6_2922 Depth=4
	s_or_b32 exec_lo, exec_lo, s75
	v_and_b32_e32 v0, 0x80000000, v3
                                        ; implicit-def: $vgpr2_vgpr3
	s_delay_alu instid0(VALU_DEP_1) | instskip(NEXT) | instid1(VALU_DEP_1)
	v_lshl_add_u32 v0, v1, 23, v0
	v_lshl_or_b32 v0, v9, 21, v0
                                        ; implicit-def: $vgpr9
	s_delay_alu instid0(VALU_DEP_1)
	v_add_nc_u32_e32 v1, 0x38000000, v0
.LBB6_3450:                             ;   in Loop: Header=BB6_2922 Depth=4
	s_and_not1_saveexec_b32 s74, s74
; %bb.3451:                             ;   in Loop: Header=BB6_2922 Depth=4
	v_cmp_lt_i64_e64 s13, -1, v[2:3]
	v_mov_b32_e32 v0, 0x7f800000
	s_delay_alu instid0(VALU_DEP_1) | instskip(SKIP_1) | instid1(VALU_DEP_1)
	v_cndmask_b32_e64 v0, 0xff800000, v0, s13
	v_cmp_eq_u32_e64 s13, 0, v9
	v_cndmask_b32_e64 v1, 0x7f800001, v0, s13
; %bb.3452:                             ;   in Loop: Header=BB6_2922 Depth=4
	s_or_b32 exec_lo, exec_lo, s74
.LBB6_3453:                             ;   in Loop: Header=BB6_2922 Depth=4
	s_delay_alu instid0(SALU_CYCLE_1)
	s_or_b32 exec_lo, exec_lo, s73
.LBB6_3454:                             ;   in Loop: Header=BB6_2922 Depth=4
	s_delay_alu instid0(SALU_CYCLE_1) | instskip(SKIP_2) | instid1(VALU_DEP_2)
	s_or_b32 exec_lo, exec_lo, s14
	v_bfe_u32 v9, v11, 24, 2
	v_bfe_u32 v36, v11, 26, 5
	v_clz_i32_u32_e32 v0, v9
	s_delay_alu instid0(VALU_DEP_2) | instskip(NEXT) | instid1(VALU_DEP_2)
	v_cmp_eq_u32_e64 s13, 0, v36
	v_min_u32_e32 v20, 32, v0
	v_lshrrev_b32_e32 v0, 24, v11
	s_delay_alu instid0(VALU_DEP_2) | instskip(NEXT) | instid1(VALU_DEP_1)
	v_subrev_nc_u32_e32 v2, 29, v20
	v_lshlrev_b64_e32 v[2:3], v2, v[0:1]
	v_sub_nc_u32_e32 v3, 30, v20
	v_and_b32_e32 v20, 0x80000000, v11
	s_delay_alu instid0(VALU_DEP_2) | instskip(NEXT) | instid1(VALU_DEP_1)
	v_dual_cndmask_b32 v3, v36, v3, s13 :: v_dual_bitop2_b32 v2, 3, v2 bitop3:0x40
	v_lshl_add_u32 v3, v3, 23, v20
	s_delay_alu instid0(VALU_DEP_2) | instskip(SKIP_2) | instid1(VALU_DEP_3)
	v_cndmask_b32_e64 v2, v9, v2, s13
	v_cmp_lt_i64_e64 s13, -1, v[10:11]
	v_mov_b32_e32 v20, 0x7f800000
	v_lshl_or_b32 v2, v2, 21, v3
	v_and_b32_e32 v3, 0x7c000000, v11
	s_delay_alu instid0(VALU_DEP_3) | instskip(SKIP_1) | instid1(VALU_DEP_4)
	v_cndmask_b32_e64 v20, 0xff800000, v20, s13
	v_cmp_eq_u32_e64 s13, 0, v9
	v_add_nc_u32_e32 v2, 0x38000000, v2
	s_delay_alu instid0(VALU_DEP_2) | instskip(SKIP_1) | instid1(VALU_DEP_1)
	v_cndmask_b32_e64 v9, 0x7f800001, v20, s13
	v_cmp_eq_u32_e64 s13, 0x7c000000, v3
	v_dual_mov_b32 v3, v21 :: v_dual_cndmask_b32 v2, v2, v9, s13
	v_cmp_ne_u32_e64 s13, 0x80, v0
	s_delay_alu instid0(VALU_DEP_1) | instskip(SKIP_1) | instid1(VALU_DEP_1)
	v_cndmask_b32_e64 v0, 0x80000000, v2, s13
	v_cmp_lt_u64_e64 s13, s[22:23], v[10:11]
	v_cndmask_b32_e64 v0, 0, v0, s13
	s_delay_alu instid0(VALU_DEP_1) | instskip(NEXT) | instid1(VALU_DEP_1)
	v_mul_f32_e32 v1, v0, v1
                                        ; implicit-def: $vgpr0
	v_and_b32_e32 v2, 0x7f800000, v1
	v_and_b32_e32 v20, 0x7fffff, v1
	s_delay_alu instid0(VALU_DEP_2) | instskip(SKIP_2) | instid1(SALU_CYCLE_1)
	v_cmp_ne_u64_e64 s13, 0x7f800000, v[2:3]
	v_lshrrev_b32_e32 v2, 24, v1
	s_and_saveexec_b32 s14, s13
	s_xor_b32 s73, exec_lo, s14
	s_cbranch_execz .LBB6_3468
; %bb.3455:                             ;   in Loop: Header=BB6_2922 Depth=4
	v_and_b32_e32 v10, 0x7fffffff, v1
	v_mov_b32_e32 v11, v21
	v_and_b32_e32 v9, 0x80, v2
                                        ; implicit-def: $vgpr0
	s_mov_b32 s14, exec_lo
	s_delay_alu instid0(VALU_DEP_2)
	v_cmpx_gt_u64_e32 0x47600001, v[10:11]
	s_xor_b32 s74, exec_lo, s14
	s_cbranch_execz .LBB6_3465
; %bb.3456:                             ;   in Loop: Header=BB6_2922 Depth=4
	v_mov_b32_e32 v0, 0
	s_mov_b32 s75, exec_lo
	v_cmpx_ne_u32_e32 0, v1
	s_cbranch_execz .LBB6_3464
; %bb.3457:                             ;   in Loop: Header=BB6_2922 Depth=4
	v_bfe_u32 v10, v1, 23, 8
	v_or_b32_e32 v2, 0x800000, v20
	s_mov_b32 s76, exec_lo
	s_delay_alu instid0(VALU_DEP_2) | instskip(SKIP_1) | instid1(VALU_DEP_1)
	v_dual_mov_b32 v3, v21 :: v_dual_sub_nc_u32 v0, 0x71, v10
	v_cmp_gt_u32_e64 s13, 0x72, v10
	v_cndmask_b32_e64 v0, 0, v0, s13
	v_cmp_eq_u32_e64 s13, 0, v10
	s_delay_alu instid0(VALU_DEP_1) | instskip(NEXT) | instid1(VALU_DEP_1)
	v_cndmask_b32_e64 v11, v0, 0x70, s13
	v_dual_cndmask_b32 v2, v2, v20, s13 :: v_dual_add_nc_u32 v0, 21, v11
	v_add_nc_u32_e32 v36, 20, v11
	s_delay_alu instid0(VALU_DEP_2) | instskip(NEXT) | instid1(VALU_DEP_2)
	v_lshlrev_b64_e64 v[0:1], v0, -1
	v_lshlrev_b64_e64 v[36:37], v36, 1
	s_delay_alu instid0(VALU_DEP_2) | instskip(NEXT) | instid1(VALU_DEP_3)
	v_bfi_b32 v39, v1, 0, 0
	v_bfi_b32 v38, v0, 0, v2
	v_lshrrev_b64 v[0:1], v11, v[2:3]
	s_delay_alu instid0(VALU_DEP_1) | instskip(NEXT) | instid1(VALU_DEP_3)
	v_mov_b64_e32 v[2:3], v[0:1]
	v_cmpx_eq_u64_e64 v[38:39], v[36:37]
; %bb.3458:                             ;   in Loop: Header=BB6_2922 Depth=4
	v_bfe_u32 v2, v0, 21, 1
	v_mov_b32_e32 v3, v21
	s_delay_alu instid0(VALU_DEP_1) | instskip(NEXT) | instid1(VALU_DEP_1)
	v_add_nc_u64_e32 v[2:3], v[0:1], v[2:3]
	v_add_nc_u64_e32 v[2:3], -1, v[2:3]
; %bb.3459:                             ;   in Loop: Header=BB6_2922 Depth=4
	s_or_b32 exec_lo, exec_lo, s76
	v_add_nc_u32_e32 v1, 0xffffff81, v10
	v_lshrrev_b32_e32 v3, 23, v0
	s_mov_b32 s14, exec_lo
	s_delay_alu instid0(VALU_DEP_2) | instskip(NEXT) | instid1(VALU_DEP_1)
	v_cndmask_b32_e64 v1, v1, 0xffffff82, s13
	v_add3_u32 v3, v11, v1, v3
	v_and_b32_e32 v1, 0x1fffff, v2
                                        ; implicit-def: $vgpr2
	s_delay_alu instid0(VALU_DEP_1) | instskip(NEXT) | instid1(VALU_DEP_1)
	v_dual_add_nc_u32 v10, 14, v3 :: v_dual_add_nc_u32 v20, v1, v0
                                        ; implicit-def: $vgpr0_vgpr1
	v_cmpx_ne_u32_e32 0, v10
	s_xor_b32 s14, exec_lo, s14
; %bb.3460:                             ;   in Loop: Header=BB6_2922 Depth=4
	s_delay_alu instid0(VALU_DEP_2) | instskip(SKIP_1) | instid1(VALU_DEP_1)
	v_cmp_lt_u64_e64 s13, 0xffffff, v[20:21]
	v_add_nc_u32_e32 v0, 15, v3
	v_cndmask_b32_e64 v2, v10, v0, s13
	v_cndmask_b32_e64 v0, 0, 1, s13
	s_delay_alu instid0(VALU_DEP_1)
	v_lshrrev_b64 v[0:1], v0, v[20:21]
; %bb.3461:                             ;   in Loop: Header=BB6_2922 Depth=4
	s_and_not1_saveexec_b32 s13, s14
; %bb.3462:                             ;   in Loop: Header=BB6_2922 Depth=4
	v_mov_b64_e32 v[0:1], v[20:21]
	v_bfe_u32 v2, v20, 23, 1
; %bb.3463:                             ;   in Loop: Header=BB6_2922 Depth=4
	s_or_b32 exec_lo, exec_lo, s13
	s_delay_alu instid0(VALU_DEP_2) | instskip(NEXT) | instid1(VALU_DEP_2)
	v_lshrrev_b64 v[0:1], 21, v[0:1]
	v_cmp_gt_i32_e64 s13, 32, v2
	v_min_i32_e32 v3, 31, v2
	v_cmp_eq_u32_e64 s14, 0, v2
	s_delay_alu instid0(VALU_DEP_2) | instskip(SKIP_1) | instid1(VALU_DEP_2)
	v_dual_cndmask_b32 v1, 0, v1, s13 :: v_dual_lshlrev_b32 v3, 2, v3
	v_cndmask_b32_e64 v0, 3, v0, s13
	v_and_b32_e32 v3, 0xfc, v3
	s_delay_alu instid0(VALU_DEP_2) | instskip(NEXT) | instid1(VALU_DEP_2)
	v_cmp_eq_u64_e64 s13, 0, v[0:1]
	v_and_or_b32 v0, v0, 3, v3
	s_and_b32 s13, s14, s13
	s_delay_alu instid0(VALU_DEP_1) | instid1(SALU_CYCLE_1)
	v_cndmask_b32_e64 v0, v0, 0, s13
	s_delay_alu instid0(VALU_DEP_1)
	v_or_b32_e32 v0, v0, v9
.LBB6_3464:                             ;   in Loop: Header=BB6_2922 Depth=4
	s_or_b32 exec_lo, exec_lo, s75
                                        ; implicit-def: $vgpr9
.LBB6_3465:                             ;   in Loop: Header=BB6_2922 Depth=4
	s_and_not1_saveexec_b32 s13, s74
; %bb.3466:                             ;   in Loop: Header=BB6_2922 Depth=4
	v_or_b32_e32 v0, 0x7b, v9
; %bb.3467:                             ;   in Loop: Header=BB6_2922 Depth=4
	s_or_b32 exec_lo, exec_lo, s13
                                        ; implicit-def: $vgpr1
                                        ; implicit-def: $vgpr2
.LBB6_3468:                             ;   in Loop: Header=BB6_2922 Depth=4
	s_and_not1_saveexec_b32 s14, s73
	s_cbranch_execz .LBB6_2921
; %bb.3469:                             ;   in Loop: Header=BB6_2922 Depth=4
	v_cmp_ne_u64_e64 s13, 0, v[20:21]
                                        ; implicit-def: $vgpr0
	s_and_saveexec_b32 s73, s13
	s_delay_alu instid0(SALU_CYCLE_1)
	s_xor_b32 s13, exec_lo, s73
; %bb.3470:                             ;   in Loop: Header=BB6_2922 Depth=4
	v_or_b32_e32 v0, 0x7f, v2
                                        ; implicit-def: $vgpr1
; %bb.3471:                             ;   in Loop: Header=BB6_2922 Depth=4
	s_and_not1_saveexec_b32 s73, s13
	s_cbranch_execz .LBB6_2920
; %bb.3472:                             ;   in Loop: Header=BB6_2922 Depth=4
	v_cmp_lt_i32_e64 s13, -1, v1
	v_mov_b32_e32 v0, 0x7c
	s_delay_alu instid0(VALU_DEP_1)
	v_cndmask_b32_e64 v0, 0xfc, v0, s13
	s_branch .LBB6_2920
.LBB6_3473:                             ;   in Loop: Header=BB6_2922 Depth=4
	s_or_saveexec_b32 s14, s14
	v_bfrev_b32_e32 v13, 1
	s_xor_b32 exec_lo, exec_lo, s14
	s_cbranch_execz .LBB6_2936
.LBB6_3474:                             ;   in Loop: Header=BB6_2922 Depth=4
	v_cmp_ne_u16_e64 s13, 0, v16
	v_mov_b32_e32 v13, 0
	s_and_not1_b32 s73, s73, exec_lo
	s_and_b32 s13, s13, exec_lo
	s_delay_alu instid0(SALU_CYCLE_1)
	s_or_b32 s73, s73, s13
	s_or_b32 exec_lo, exec_lo, s14
	s_and_saveexec_b32 s14, s73
	s_cbranch_execnz .LBB6_2937
	s_branch .LBB6_2938
.LBB6_3475:                             ;   in Loop: Header=BB6_2922 Depth=4
	s_or_saveexec_b32 s14, s14
	v_bfrev_b32_e32 v13, 1
	s_xor_b32 exec_lo, exec_lo, s14
	s_cbranch_execz .LBB6_2972
.LBB6_3476:                             ;   in Loop: Header=BB6_2922 Depth=4
	v_cmp_ne_u16_e64 s13, 0, v12
	v_mov_b32_e32 v13, 0
	s_and_not1_b32 s73, s73, exec_lo
	s_and_b32 s13, s13, exec_lo
	s_delay_alu instid0(SALU_CYCLE_1)
	s_or_b32 s73, s73, s13
	s_or_b32 exec_lo, exec_lo, s14
	s_and_saveexec_b32 s14, s73
	s_cbranch_execnz .LBB6_2973
	s_branch .LBB6_2974
.LBB6_3477:                             ;   in Loop: Header=BB6_2922 Depth=4
	s_or_saveexec_b32 s14, s14
	v_bfrev_b32_e32 v16, 1
	s_xor_b32 exec_lo, exec_lo, s14
	s_cbranch_execz .LBB6_3008
.LBB6_3478:                             ;   in Loop: Header=BB6_2922 Depth=4
	v_cmp_ne_u16_e64 s13, 0, v17
	v_mov_b32_e32 v16, 0
	s_and_not1_b32 s73, s73, exec_lo
	s_and_b32 s13, s13, exec_lo
	s_delay_alu instid0(SALU_CYCLE_1)
	s_or_b32 s73, s73, s13
	s_or_b32 exec_lo, exec_lo, s14
	s_and_saveexec_b32 s14, s73
	s_cbranch_execnz .LBB6_3009
	s_branch .LBB6_3010
.LBB6_3479:                             ;   in Loop: Header=BB6_2922 Depth=4
	s_or_saveexec_b32 s14, s14
	v_bfrev_b32_e32 v17, 1
	s_xor_b32 exec_lo, exec_lo, s14
	s_cbranch_execz .LBB6_3074
.LBB6_3480:                             ;   in Loop: Header=BB6_2922 Depth=4
	v_cmp_ne_u16_e64 s13, 0, v13
	v_mov_b32_e32 v17, 0
	s_and_not1_b32 s73, s73, exec_lo
	s_and_b32 s13, s13, exec_lo
	s_delay_alu instid0(SALU_CYCLE_1)
	s_or_b32 s73, s73, s13
	s_or_b32 exec_lo, exec_lo, s14
	v_mov_b32_e32 v13, v21
	s_and_saveexec_b32 s14, s73
	s_cbranch_execnz .LBB6_3075
	s_branch .LBB6_3076
.LBB6_3481:                             ;   in Loop: Header=BB6_2922 Depth=4
	s_or_saveexec_b32 s14, s14
	v_bfrev_b32_e32 v17, 1
	s_xor_b32 exec_lo, exec_lo, s14
	s_cbranch_execz .LBB6_3110
.LBB6_3482:                             ;   in Loop: Header=BB6_2922 Depth=4
	v_cmp_ne_u16_e64 s13, 0, v16
	v_mov_b32_e32 v17, 0
	s_and_not1_b32 s73, s73, exec_lo
	s_and_b32 s13, s13, exec_lo
	s_delay_alu instid0(SALU_CYCLE_1)
	s_or_b32 s73, s73, s13
	s_or_b32 exec_lo, exec_lo, s14
	s_and_saveexec_b32 s14, s73
	s_cbranch_execnz .LBB6_3111
	s_branch .LBB6_3112
.LBB6_3483:                             ;   in Loop: Header=BB6_2922 Depth=4
	s_or_saveexec_b32 s14, s14
	v_bfrev_b32_e32 v16, 1
	s_xor_b32 exec_lo, exec_lo, s14
	s_cbranch_execz .LBB6_3146
.LBB6_3484:                             ;   in Loop: Header=BB6_2922 Depth=4
	v_cmp_ne_u16_e64 s13, 0, v17
	v_mov_b32_e32 v16, 0
	s_and_not1_b32 s73, s73, exec_lo
	s_and_b32 s13, s13, exec_lo
	s_delay_alu instid0(SALU_CYCLE_1)
	s_or_b32 s73, s73, s13
	s_or_b32 exec_lo, exec_lo, s14
	s_and_saveexec_b32 s14, s73
	s_cbranch_execnz .LBB6_3147
	s_branch .LBB6_3148
.LBB6_3485:                             ;   in Loop: Header=BB6_2922 Depth=4
	s_or_saveexec_b32 s14, s14
	v_bfrev_b32_e32 v1, 1
	s_xor_b32 exec_lo, exec_lo, s14
	s_cbranch_execz .LBB6_3212
.LBB6_3486:                             ;   in Loop: Header=BB6_2922 Depth=4
	v_cmp_ne_u16_e64 s13, 0, v8
	v_mov_b32_e32 v1, 0
	s_and_not1_b32 s73, s73, exec_lo
	s_and_b32 s13, s13, exec_lo
	s_delay_alu instid0(SALU_CYCLE_1)
	s_or_b32 s73, s73, s13
	s_or_b32 exec_lo, exec_lo, s14
	s_and_saveexec_b32 s14, s73
	s_cbranch_execnz .LBB6_3213
	s_branch .LBB6_3214
.LBB6_3487:                             ;   in Loop: Header=BB6_2922 Depth=4
	s_or_saveexec_b32 s14, s14
	v_bfrev_b32_e32 v1, 1
	s_xor_b32 exec_lo, exec_lo, s14
	s_cbranch_execz .LBB6_3248
.LBB6_3488:                             ;   in Loop: Header=BB6_2922 Depth=4
	v_cmp_ne_u16_e64 s13, 0, v0
	v_mov_b32_e32 v1, 0
	s_and_not1_b32 s73, s73, exec_lo
	s_and_b32 s13, s13, exec_lo
	s_delay_alu instid0(SALU_CYCLE_1)
	s_or_b32 s73, s73, s13
	s_or_b32 exec_lo, exec_lo, s14
	s_and_saveexec_b32 s14, s73
	s_cbranch_execnz .LBB6_3249
	s_branch .LBB6_3250
.LBB6_3489:                             ;   in Loop: Header=BB6_2922 Depth=4
	s_or_saveexec_b32 s14, s14
	v_bfrev_b32_e32 v8, 1
	s_xor_b32 exec_lo, exec_lo, s14
	s_cbranch_execz .LBB6_3284
.LBB6_3490:                             ;   in Loop: Header=BB6_2922 Depth=4
	v_cmp_ne_u16_e64 s13, 0, v9
	v_mov_b32_e32 v8, 0
	s_and_not1_b32 s73, s73, exec_lo
	s_and_b32 s13, s13, exec_lo
	s_delay_alu instid0(SALU_CYCLE_1)
	s_or_b32 s73, s73, s13
	s_or_b32 exec_lo, exec_lo, s14
	s_and_saveexec_b32 s14, s73
	s_cbranch_execnz .LBB6_3285
	s_branch .LBB6_3286
.LBB6_3491:                             ;   in Loop: Header=BB6_2922 Depth=4
	s_or_saveexec_b32 s14, s14
	v_bfrev_b32_e32 v9, 1
	s_xor_b32 exec_lo, exec_lo, s14
	s_cbranch_execz .LBB6_3350
.LBB6_3492:                             ;   in Loop: Header=BB6_2922 Depth=4
	v_cmp_ne_u16_e64 s13, 0, v1
	v_mov_b32_e32 v9, 0
	s_and_not1_b32 s73, s73, exec_lo
	s_and_b32 s13, s13, exec_lo
	s_delay_alu instid0(SALU_CYCLE_1)
	s_or_b32 s73, s73, s13
	s_or_b32 exec_lo, exec_lo, s14
	v_mov_b32_e32 v1, v21
	s_and_saveexec_b32 s14, s73
	s_cbranch_execnz .LBB6_3351
	s_branch .LBB6_3352
.LBB6_3493:                             ;   in Loop: Header=BB6_2922 Depth=4
	s_or_saveexec_b32 s14, s14
	v_bfrev_b32_e32 v9, 1
	s_xor_b32 exec_lo, exec_lo, s14
	s_cbranch_execz .LBB6_3386
.LBB6_3494:                             ;   in Loop: Header=BB6_2922 Depth=4
	v_cmp_ne_u16_e64 s13, 0, v8
	v_mov_b32_e32 v9, 0
	s_and_not1_b32 s73, s73, exec_lo
	s_and_b32 s13, s13, exec_lo
	s_delay_alu instid0(SALU_CYCLE_1)
	s_or_b32 s73, s73, s13
	s_or_b32 exec_lo, exec_lo, s14
	s_and_saveexec_b32 s14, s73
	s_cbranch_execnz .LBB6_3387
	s_branch .LBB6_3388
.LBB6_3495:                             ;   in Loop: Header=BB6_2922 Depth=4
	s_or_saveexec_b32 s14, s14
	v_bfrev_b32_e32 v8, 1
	s_xor_b32 exec_lo, exec_lo, s14
	s_cbranch_execz .LBB6_3422
.LBB6_3496:                             ;   in Loop: Header=BB6_2922 Depth=4
	v_cmp_ne_u16_e64 s13, 0, v9
	v_mov_b32_e32 v8, 0
	s_and_not1_b32 s73, s73, exec_lo
	s_and_b32 s13, s13, exec_lo
	s_delay_alu instid0(SALU_CYCLE_1)
	s_or_b32 s73, s73, s13
	s_or_b32 exec_lo, exec_lo, s14
	s_and_saveexec_b32 s14, s73
	s_cbranch_execnz .LBB6_3423
	s_branch .LBB6_3424
.LBB6_3497:                             ;   in Loop: Header=BB6_274 Depth=3
	s_or_b32 exec_lo, exec_lo, s72
.LBB6_3498:                             ;   in Loop: Header=BB6_274 Depth=3
	s_delay_alu instid0(SALU_CYCLE_1) | instskip(SKIP_3) | instid1(VALU_DEP_1)
	s_or_b32 exec_lo, exec_lo, s63
	v_dual_mov_b32 v8, 0 :: v_dual_bitop2_b32 v1, 15, v107 bitop3:0x40
	s_mov_b32 s14, 0
	s_mov_b32 s63, exec_lo
                                        ; implicit-def: $vgpr5
                                        ; implicit-def: $vgpr0
	v_cndmask_b32_e32 v4, v25, v1, vcc_lo
	s_delay_alu instid0(VALU_DEP_1)
	v_cmpx_ne_u32_e32 0, v4
	s_cbranch_execz .LBB6_3500
; %bb.3499:                             ;   in Loop: Header=BB6_274 Depth=3
	scratch_load_b64 v[2:3], off, s33 offset:188 ; 8-byte Folded Reload
	v_cmp_lt_i32_e64 s13, 0, v26
	s_mov_b32 s14, exec_lo
	v_sub_nc_u32_e32 v1, v25, v1
	s_delay_alu instid0(VALU_DEP_1) | instskip(NEXT) | instid1(VALU_DEP_1)
	v_cndmask_b32_e32 v1, 0, v1, vcc_lo
	v_add3_u32 v8, v22, v23, v1
	s_wait_loadcnt 0x0
	v_cndmask_b32_e64 v0, 0, v2, s13
	s_delay_alu instid0(VALU_DEP_1) | instskip(NEXT) | instid1(VALU_DEP_1)
	v_sub_nc_u32_e32 v0, v0, v26
	v_lshl_add_u32 v5, v0, 5, v24
	s_delay_alu instid0(VALU_DEP_1) | instskip(NEXT) | instid1(VALU_DEP_1)
	v_ashrrev_i32_e32 v0, 31, v5
	v_lshrrev_b32_e32 v0, 27, v0
	s_delay_alu instid0(VALU_DEP_1) | instskip(NEXT) | instid1(VALU_DEP_1)
	v_add_nc_u32_e32 v0, v5, v0
	v_ashrrev_i32_e32 v0, 5, v0
.LBB6_3500:                             ;   in Loop: Header=BB6_274 Depth=3
	s_wait_xcnt 0x0
	s_or_b32 exec_lo, exec_lo, s63
	scratch_load_b64 v[26:27], off, s33 offset:188 ; 8-byte Folded Reload
	s_and_b32 s13, s14, exec_lo
.LBB6_3501:                             ;   in Loop: Header=BB6_274 Depth=3
	s_wait_xcnt 0x0
	s_or_b32 exec_lo, exec_lo, s62
	s_and_saveexec_b32 s14, s13
	s_cbranch_execz .LBB6_4962
.LBB6_3502:                             ;   in Loop: Header=BB6_274 Depth=3
	v_ashrrev_i32_e32 v1, 31, v4
	s_mov_b32 s62, exec_lo
	s_delay_alu instid0(VALU_DEP_1) | instskip(NEXT) | instid1(VALU_DEP_1)
	v_lshrrev_b32_e32 v1, 22, v1
	v_add_nc_u32_e32 v1, v4, v1
	s_delay_alu instid0(VALU_DEP_1) | instskip(SKIP_1) | instid1(VALU_DEP_1)
	v_ashrrev_i32_e32 v2, 10, v1
	v_ashrrev_i32_e32 v1, 31, v5
	v_dual_lshrrev_b32 v1, 27, v1 :: v_dual_sub_nc_u32 v126, v2, v0
	s_delay_alu instid0(VALU_DEP_1)
	v_cmpx_lt_i32_e32 0, v126
	s_cbranch_execz .LBB6_4914
; %bb.3503:                             ;   in Loop: Header=BB6_274 Depth=3
	s_clause 0x5
	scratch_store_b32 off, v2, s33 offset:340
	scratch_store_b32 off, v4, s33 offset:320
	;; [unrolled: 1-line block ×3, first 2 shown]
	scratch_store_b64 off, v[110:111], s33 offset:296
	scratch_store_b64 off, v[108:109], s33 offset:260
	;; [unrolled: 1-line block ×3, first 2 shown]
	s_wait_loadcnt 0x0
	s_clause 0x3
	scratch_store_b64 off, v[102:103], s33 offset:280
	scratch_store_b64 off, v[84:85], s33 offset:272
	scratch_store_b32 off, v81, s33 offset:268
	scratch_store_b32 off, v1, s33 offset:336
	s_wait_xcnt 0x0
	v_add_nc_u32_e32 v1, v5, v1
	s_trap 2
	ds_load_b64 v[2:3], v0
	v_lshlrev_b32_e32 v0, 10, v0
	s_clause 0x1
	scratch_store_b32 off, v5, s33 offset:328
	scratch_store_b32 off, v8, s33 offset:312
	v_and_b32_e32 v1, 0xffffffe0, v1
	s_mov_b32 s63, 0
	s_delay_alu instid0(VALU_DEP_1) | instskip(SKIP_2) | instid1(VALU_DEP_2)
	v_sub_nc_u32_e32 v1, v5, v1
	s_wait_xcnt 0x1
	v_add_nc_u64_e32 v[4:5], 0x3e0, v[90:91]
	v_add3_u32 v0, v8, v1, v0
	s_delay_alu instid0(VALU_DEP_1) | instskip(SKIP_1) | instid1(VALU_DEP_1)
	v_ashrrev_i32_e32 v1, 31, v0
	s_wait_xcnt 0x0
	v_add_nc_u64_e32 v[8:9], v[0:1], v[88:89]
	s_wait_dscnt 0x0
	v_add_nc_u64_e32 v[10:11], v[2:3], v[0:1]
	v_add_nc_u64_e32 v[12:13], v[4:5], v[0:1]
	s_branch .LBB6_3506
.LBB6_3504:                             ;   in Loop: Header=BB6_3506 Depth=4
	s_or_b32 exec_lo, exec_lo, s72
.LBB6_3505:                             ;   in Loop: Header=BB6_3506 Depth=4
	s_delay_alu instid0(SALU_CYCLE_1)
	s_or_b32 exec_lo, exec_lo, s13
	s_clause 0x17
	flat_store_b8 v[12:13], v18 offset:-992 th:TH_STORE_NT
	flat_store_b8 v[12:13], v16 offset:-960 th:TH_STORE_NT
	;; [unrolled: 1-line block ×24, first 2 shown]
	scratch_load_b64 v[2:3], off, s33 offset:188 ; 8-byte Folded Reload
	s_clause 0x7
	flat_store_b8 v[12:13], v53 offset:-224 th:TH_STORE_NT
	flat_store_b8 v[12:13], v50 offset:-192 th:TH_STORE_NT
	;; [unrolled: 1-line block ×7, first 2 shown]
	flat_store_b8 v[12:13], v1 th:TH_STORE_NT
	scratch_load_b64 v[0:1], off, s33 offset:244 ; 8-byte Folded Reload
	s_wait_loadcnt 0x1
	v_sub_nc_u32_e32 v126, v126, v2
	s_wait_loadcnt 0x0
	v_add_nc_u64_e32 v[8:9], v[8:9], v[0:1]
	v_add_nc_u64_e32 v[10:11], v[10:11], v[0:1]
	;; [unrolled: 1-line block ×3, first 2 shown]
	v_cmp_gt_i32_e32 vcc_lo, 1, v126
	s_or_b32 s63, vcc_lo, s63
	s_wait_xcnt 0x0
	s_and_not1_b32 exec_lo, exec_lo, s63
	s_cbranch_execz .LBB6_4913
.LBB6_3506:                             ;   Parent Loop BB6_47 Depth=1
                                        ;     Parent Loop BB6_271 Depth=2
                                        ;       Parent Loop BB6_274 Depth=3
                                        ; =>      This Inner Loop Header: Depth=4
	s_clause 0x1d
	flat_load_i8 v18, v[8:9] th:TH_LOAD_NT
	flat_load_i8 v14, v[8:9] offset:32 th:TH_LOAD_NT
	flat_load_i8 v82, v[8:9] offset:64 th:TH_LOAD_NT
	;; [unrolled: 1-line block ×29, first 2 shown]
	v_mov_b32_e32 v1, 0
	s_mov_b32 s72, exec_lo
	s_wait_loadcnt_dscnt 0x0
	scratch_store_b64 off, v[2:3], s33 offset:236 ; 8-byte Folded Spill
	flat_load_i8 v2, v[8:9] offset:960 th:TH_LOAD_NT
	s_wait_loadcnt_dscnt 0x0
	scratch_store_b64 off, v[2:3], s33 offset:220 ; 8-byte Folded Spill
	flat_load_i8 v2, v[8:9] offset:992 th:TH_LOAD_NT
	s_wait_loadcnt_dscnt 0x0
	scratch_store_b64 off, v[2:3], s33 offset:204 ; 8-byte Folded Spill
	s_clause 0x1d
	flat_load_i8 v16, v[10:11] th:TH_LOAD_NT
	flat_load_i8 v76, v[10:11] offset:32 th:TH_LOAD_NT
	flat_load_i8 v2, v[10:11] offset:64 th:TH_LOAD_NT
	flat_load_i8 v64, v[10:11] offset:96 th:TH_LOAD_NT
	flat_load_i8 v112, v[10:11] offset:128 th:TH_LOAD_NT
	flat_load_i8 v84, v[10:11] offset:160 th:TH_LOAD_NT
	flat_load_i8 v114, v[10:11] offset:192 th:TH_LOAD_NT
	flat_load_i8 v102, v[10:11] offset:224 th:TH_LOAD_NT
	flat_load_i8 v44, v[10:11] offset:256 th:TH_LOAD_NT
	flat_load_i8 v6, v[10:11] offset:288 th:TH_LOAD_NT
	flat_load_i8 v116, v[10:11] offset:320 th:TH_LOAD_NT
	flat_load_i8 v40, v[10:11] offset:352 th:TH_LOAD_NT
	flat_load_i8 v66, v[10:11] offset:384 th:TH_LOAD_NT
	flat_load_i8 v46, v[10:11] offset:416 th:TH_LOAD_NT
	flat_load_i8 v72, v[10:11] offset:448 th:TH_LOAD_NT
	flat_load_i8 v96, v[10:11] offset:480 th:TH_LOAD_NT
	flat_load_i8 v62, v[10:11] offset:512 th:TH_LOAD_NT
	flat_load_i8 v4, v[10:11] offset:544 th:TH_LOAD_NT
	flat_load_i8 v28, v[10:11] offset:576 th:TH_LOAD_NT
	flat_load_i8 v30, v[10:11] offset:608 th:TH_LOAD_NT
	flat_load_i8 v52, v[10:11] offset:640 th:TH_LOAD_NT
	flat_load_i8 v110, v[10:11] offset:672 th:TH_LOAD_NT
	flat_load_i8 v106, v[10:11] offset:704 th:TH_LOAD_NT
	flat_load_i8 v94, v[10:11] offset:736 th:TH_LOAD_NT
	flat_load_i8 v90, v[10:11] offset:768 th:TH_LOAD_NT
	flat_load_i8 v50, v[10:11] offset:800 th:TH_LOAD_NT
	flat_load_i8 v38, v[10:11] offset:832 th:TH_LOAD_NT
	flat_load_i8 v34, v[10:11] offset:864 th:TH_LOAD_NT
	flat_load_i8 v26, v[10:11] offset:896 th:TH_LOAD_NT
	flat_load_i8 v20, v[10:11] offset:928 th:TH_LOAD_NT
	v_mov_b32_e32 v3, 0
	s_wait_loadcnt_dscnt 0x0
	scratch_store_b64 off, v[20:21], s33 offset:228 ; 8-byte Folded Spill
	flat_load_i8 v20, v[10:11] offset:960 th:TH_LOAD_NT
	s_wait_loadcnt_dscnt 0x0
	scratch_store_b64 off, v[20:21], s33 offset:212 ; 8-byte Folded Spill
	flat_load_i8 v20, v[10:11] offset:992 th:TH_LOAD_NT
	s_wait_loadcnt_dscnt 0x0
	scratch_store_b64 off, v[20:21], s33 offset:196 ; 8-byte Folded Spill
	s_wait_xcnt 0x0
	v_cmpx_ne_u16_e32 0, v18
	s_cbranch_execz .LBB6_3516
; %bb.3507:                             ;   in Loop: Header=BB6_3506 Depth=4
	v_bfrev_b32_e32 v3, 1
	s_mov_b32 s73, exec_lo
	v_cmpx_ne_u16_e32 0xff80, v18
	s_cbranch_execz .LBB6_3515
; %bb.3508:                             ;   in Loop: Header=BB6_3506 Depth=4
	v_and_b32_e32 v3, 0x7c, v18
	v_and_b32_e32 v5, 3, v18
	s_delay_alu instid0(VALU_DEP_2) | instskip(SKIP_1) | instid1(SALU_CYCLE_1)
	v_cmp_ne_u32_e32 vcc_lo, 0x7c, v3
                                        ; implicit-def: $vgpr3
	s_and_saveexec_b32 s13, vcc_lo
	s_xor_b32 s13, exec_lo, s13
	s_cbranch_execz .LBB6_3512
; %bb.3509:                             ;   in Loop: Header=BB6_3506 Depth=4
	v_and_b32_e32 v3, 0xff, v18
	s_mov_b32 s74, exec_lo
	s_delay_alu instid0(VALU_DEP_1) | instskip(NEXT) | instid1(VALU_DEP_1)
	v_bfe_u32 v3, v3, 2, 5
	v_cmpx_eq_u32_e32 0, v3
	s_cbranch_execz .LBB6_3511
; %bb.3510:                             ;   in Loop: Header=BB6_3506 Depth=4
	v_clz_i32_u32_e32 v3, v5
	s_delay_alu instid0(VALU_DEP_1) | instskip(SKIP_1) | instid1(VALU_DEP_2)
	v_min_u32_e32 v3, 32, v3
	v_mov_b32_e32 v19, v21
	v_subrev_nc_u32_e32 v5, 29, v3
	v_sub_nc_u32_e32 v3, 30, v3
	s_delay_alu instid0(VALU_DEP_2) | instskip(NEXT) | instid1(VALU_DEP_1)
	v_lshlrev_b64_e32 v[24:25], v5, v[18:19]
	v_and_b32_e32 v5, 3, v24
.LBB6_3511:                             ;   in Loop: Header=BB6_3506 Depth=4
	s_or_b32 exec_lo, exec_lo, s74
	v_bfe_i32 v7, v18, 0, 16
                                        ; implicit-def: $vgpr18
	s_delay_alu instid0(VALU_DEP_1) | instskip(NEXT) | instid1(VALU_DEP_1)
	v_and_b32_e32 v7, 0x80000000, v7
	v_lshl_add_u32 v3, v3, 23, v7
	s_delay_alu instid0(VALU_DEP_1) | instskip(NEXT) | instid1(VALU_DEP_1)
	v_lshl_or_b32 v3, v5, 21, v3
                                        ; implicit-def: $vgpr5
	v_add_nc_u32_e32 v3, 0x38000000, v3
.LBB6_3512:                             ;   in Loop: Header=BB6_3506 Depth=4
	s_and_not1_saveexec_b32 s74, s13
; %bb.3513:                             ;   in Loop: Header=BB6_3506 Depth=4
	v_cmp_lt_i16_e64 s13, -1, v18
	v_mov_b32_e32 v3, 0x7f800000
	v_cmp_eq_u32_e32 vcc_lo, 0, v5
	s_delay_alu instid0(VALU_DEP_2) | instskip(NEXT) | instid1(VALU_DEP_1)
	v_cndmask_b32_e64 v3, 0xff800000, v3, s13
	v_cndmask_b32_e32 v3, 0x7f800001, v3, vcc_lo
; %bb.3514:                             ;   in Loop: Header=BB6_3506 Depth=4
	s_or_b32 exec_lo, exec_lo, s74
.LBB6_3515:                             ;   in Loop: Header=BB6_3506 Depth=4
	s_delay_alu instid0(SALU_CYCLE_1)
	s_or_b32 exec_lo, exec_lo, s73
.LBB6_3516:                             ;   in Loop: Header=BB6_3506 Depth=4
	s_delay_alu instid0(SALU_CYCLE_1) | instskip(NEXT) | instid1(SALU_CYCLE_1)
	s_or_b32 exec_lo, exec_lo, s72
	s_mov_b32 s72, exec_lo
	v_cmpx_ne_u16_e32 0, v16
	s_cbranch_execz .LBB6_3526
; %bb.3517:                             ;   in Loop: Header=BB6_3506 Depth=4
	v_bfrev_b32_e32 v1, 1
	s_mov_b32 s73, exec_lo
	v_cmpx_ne_u16_e32 0xff80, v16
	s_cbranch_execz .LBB6_3525
; %bb.3518:                             ;   in Loop: Header=BB6_3506 Depth=4
	v_and_b32_e32 v1, 0x7c, v16
	v_and_b32_e32 v5, 3, v16
	s_delay_alu instid0(VALU_DEP_2) | instskip(SKIP_1) | instid1(SALU_CYCLE_1)
	v_cmp_ne_u32_e32 vcc_lo, 0x7c, v1
                                        ; implicit-def: $vgpr1
	s_and_saveexec_b32 s13, vcc_lo
	s_xor_b32 s13, exec_lo, s13
	s_cbranch_execz .LBB6_3522
; %bb.3519:                             ;   in Loop: Header=BB6_3506 Depth=4
	v_and_b32_e32 v1, 0xff, v16
	s_mov_b32 s74, exec_lo
	s_delay_alu instid0(VALU_DEP_1) | instskip(NEXT) | instid1(VALU_DEP_1)
	v_bfe_u32 v1, v1, 2, 5
	v_cmpx_eq_u32_e32 0, v1
	s_cbranch_execz .LBB6_3521
; %bb.3520:                             ;   in Loop: Header=BB6_3506 Depth=4
	v_clz_i32_u32_e32 v1, v5
	s_delay_alu instid0(VALU_DEP_1) | instskip(SKIP_1) | instid1(VALU_DEP_2)
	v_min_u32_e32 v1, 32, v1
	v_mov_b32_e32 v17, v21
	v_subrev_nc_u32_e32 v5, 29, v1
	v_sub_nc_u32_e32 v1, 30, v1
	s_delay_alu instid0(VALU_DEP_2) | instskip(NEXT) | instid1(VALU_DEP_1)
	v_lshlrev_b64_e32 v[18:19], v5, v[16:17]
	v_and_b32_e32 v5, 3, v18
.LBB6_3521:                             ;   in Loop: Header=BB6_3506 Depth=4
	s_or_b32 exec_lo, exec_lo, s74
	v_bfe_i32 v7, v16, 0, 16
                                        ; implicit-def: $vgpr16
	s_delay_alu instid0(VALU_DEP_1) | instskip(NEXT) | instid1(VALU_DEP_1)
	v_and_b32_e32 v7, 0x80000000, v7
	v_lshl_add_u32 v1, v1, 23, v7
	s_delay_alu instid0(VALU_DEP_1) | instskip(NEXT) | instid1(VALU_DEP_1)
	v_lshl_or_b32 v1, v5, 21, v1
                                        ; implicit-def: $vgpr5
	v_add_nc_u32_e32 v1, 0x38000000, v1
.LBB6_3522:                             ;   in Loop: Header=BB6_3506 Depth=4
	s_and_not1_saveexec_b32 s74, s13
; %bb.3523:                             ;   in Loop: Header=BB6_3506 Depth=4
	v_cmp_lt_i16_e64 s13, -1, v16
	v_mov_b32_e32 v1, 0x7f800000
	v_cmp_eq_u32_e32 vcc_lo, 0, v5
	s_delay_alu instid0(VALU_DEP_2) | instskip(NEXT) | instid1(VALU_DEP_1)
	v_cndmask_b32_e64 v1, 0xff800000, v1, s13
	v_cndmask_b32_e32 v1, 0x7f800001, v1, vcc_lo
; %bb.3524:                             ;   in Loop: Header=BB6_3506 Depth=4
	s_or_b32 exec_lo, exec_lo, s74
.LBB6_3525:                             ;   in Loop: Header=BB6_3506 Depth=4
	s_delay_alu instid0(SALU_CYCLE_1)
	s_or_b32 exec_lo, exec_lo, s73
.LBB6_3526:                             ;   in Loop: Header=BB6_3506 Depth=4
	s_delay_alu instid0(SALU_CYCLE_1) | instskip(NEXT) | instid1(VALU_DEP_1)
	s_or_b32 exec_lo, exec_lo, s72
	v_dual_mul_f32 v3, v3, v1 :: v_dual_mov_b32 v17, v21
                                        ; implicit-def: $vgpr18
	s_mov_b32 s13, exec_lo
	s_delay_alu instid0(VALU_DEP_1) | instskip(SKIP_1) | instid1(VALU_DEP_2)
	v_and_b32_e32 v16, 0x7f800000, v3
	v_and_b32_e32 v20, 0x7fffff, v3
	v_cmpx_ne_u64_e32 0x7f800000, v[16:17]
	s_xor_b32 s72, exec_lo, s13
	s_cbranch_execz .LBB6_3544
; %bb.3527:                             ;   in Loop: Header=BB6_3506 Depth=4
	v_dual_mov_b32 v17, v21 :: v_dual_lshrrev_b32 v1, 24, v3
	v_and_b32_e32 v16, 0x7fffffff, v3
                                        ; implicit-def: $vgpr18
	s_mov_b32 s13, exec_lo
	s_delay_alu instid0(VALU_DEP_2) | instskip(NEXT) | instid1(VALU_DEP_2)
	v_and_b32_e32 v1, 0x80, v1
	v_cmpx_gt_u64_e32 0x47600001, v[16:17]
	s_xor_b32 s73, exec_lo, s13
	s_cbranch_execz .LBB6_3541
; %bb.3528:                             ;   in Loop: Header=BB6_3506 Depth=4
	v_mov_b32_e32 v18, 0
	s_mov_b32 s74, exec_lo
	v_cmpx_ne_u32_e32 0, v3
	s_cbranch_execz .LBB6_3540
; %bb.3529:                             ;   in Loop: Header=BB6_3506 Depth=4
	v_bfe_u32 v3, v3, 23, 8
	v_or_b32_e32 v7, 0x800000, v20
	v_mov_b32_e32 v17, v21
	s_delay_alu instid0(VALU_DEP_3) | instskip(SKIP_1) | instid1(VALU_DEP_4)
	v_cmp_eq_u32_e32 vcc_lo, 0, v3
	v_cmp_gt_u32_e64 s13, 0x72, v3
	v_dual_cndmask_b32 v16, v7, v20 :: v_dual_sub_nc_u32 v5, 0x71, v3
	s_delay_alu instid0(VALU_DEP_1) | instskip(NEXT) | instid1(VALU_DEP_1)
	v_cndmask_b32_e64 v5, 0, v5, s13
	v_cndmask_b32_e64 v5, v5, 0x70, vcc_lo
	s_delay_alu instid0(VALU_DEP_1) | instskip(NEXT) | instid1(VALU_DEP_1)
	v_add_nc_u32_e32 v7, 21, v5
	v_lshlrev_b64_e64 v[18:19], v7, -1
	v_add_nc_u32_e32 v7, 20, v5
	s_delay_alu instid0(VALU_DEP_1) | instskip(NEXT) | instid1(VALU_DEP_3)
	v_lshlrev_b64_e64 v[24:25], v7, 1
	v_bfi_b32 v18, v18, 0, v16
	v_lshrrev_b64 v[16:17], v5, v[16:17]
	v_bfi_b32 v19, v19, 0, 0
	s_delay_alu instid0(VALU_DEP_1) | instskip(NEXT) | instid1(VALU_DEP_3)
	v_cmp_eq_u64_e64 s13, v[18:19], v[24:25]
	v_mov_b64_e32 v[18:19], v[16:17]
	s_and_saveexec_b32 s75, s13
; %bb.3530:                             ;   in Loop: Header=BB6_3506 Depth=4
	v_bfe_u32 v18, v16, 21, 1
	v_mov_b32_e32 v19, v21
	s_delay_alu instid0(VALU_DEP_1) | instskip(NEXT) | instid1(VALU_DEP_1)
	v_add_nc_u64_e32 v[18:19], v[16:17], v[18:19]
	v_add_nc_u64_e32 v[18:19], -1, v[18:19]
; %bb.3531:                             ;   in Loop: Header=BB6_3506 Depth=4
	s_or_b32 exec_lo, exec_lo, s75
	v_add_nc_u32_e32 v3, 0xffffff81, v3
	v_lshrrev_b32_e32 v7, 23, v16
	s_mov_b32 s13, exec_lo
	s_delay_alu instid0(VALU_DEP_2) | instskip(NEXT) | instid1(VALU_DEP_1)
	v_cndmask_b32_e64 v3, v3, 0xffffff82, vcc_lo
	v_add3_u32 v7, v5, v3, v7
	v_and_b32_e32 v3, 0x1fffff, v18
	s_delay_alu instid0(VALU_DEP_1) | instskip(NEXT) | instid1(VALU_DEP_1)
	v_dual_add_nc_u32 v5, 14, v7 :: v_dual_add_nc_u32 v20, v3, v16
                                        ; implicit-def: $vgpr16_vgpr17
                                        ; implicit-def: $vgpr3
	v_cmpx_ne_u32_e32 0, v5
	s_xor_b32 s13, exec_lo, s13
; %bb.3532:                             ;   in Loop: Header=BB6_3506 Depth=4
	s_delay_alu instid0(VALU_DEP_2) | instskip(SKIP_1) | instid1(VALU_DEP_1)
	v_cmp_lt_u64_e32 vcc_lo, 0xffffff, v[20:21]
	v_add_nc_u32_e32 v3, 15, v7
	v_cndmask_b32_e32 v3, v5, v3, vcc_lo
	v_cndmask_b32_e64 v5, 0, 1, vcc_lo
	s_delay_alu instid0(VALU_DEP_1)
	v_lshrrev_b64 v[16:17], v5, v[20:21]
; %bb.3533:                             ;   in Loop: Header=BB6_3506 Depth=4
	s_and_not1_saveexec_b32 s13, s13
; %bb.3534:                             ;   in Loop: Header=BB6_3506 Depth=4
	v_mov_b64_e32 v[16:17], v[20:21]
	v_bfe_u32 v3, v20, 23, 1
; %bb.3535:                             ;   in Loop: Header=BB6_3506 Depth=4
	s_or_b32 exec_lo, exec_lo, s13
	s_delay_alu instid0(VALU_DEP_2) | instskip(NEXT) | instid1(VALU_DEP_2)
	v_lshrrev_b64 v[16:17], 21, v[16:17]
	v_cmp_gt_i32_e32 vcc_lo, 32, v3
	v_cmp_ne_u32_e64 s13, 0, v3
                                        ; implicit-def: $vgpr18
	s_delay_alu instid0(VALU_DEP_3) | instskip(NEXT) | instid1(VALU_DEP_1)
	v_dual_cndmask_b32 v17, 0, v17 :: v_dual_cndmask_b32 v16, 3, v16
	v_cmp_ne_u64_e32 vcc_lo, 0, v[16:17]
	s_or_b32 s13, s13, vcc_lo
	s_delay_alu instid0(SALU_CYCLE_1) | instskip(NEXT) | instid1(SALU_CYCLE_1)
	s_and_saveexec_b32 s75, s13
	s_xor_b32 s13, exec_lo, s75
; %bb.3536:                             ;   in Loop: Header=BB6_3506 Depth=4
	v_min_i32_e32 v3, 31, v3
	s_delay_alu instid0(VALU_DEP_1) | instskip(NEXT) | instid1(VALU_DEP_1)
	v_lshl_or_b32 v1, v3, 2, v1
	v_and_or_b32 v18, v16, 3, v1
                                        ; implicit-def: $vgpr1
; %bb.3537:                             ;   in Loop: Header=BB6_3506 Depth=4
	s_and_not1_saveexec_b32 s13, s13
; %bb.3538:                             ;   in Loop: Header=BB6_3506 Depth=4
	v_mov_b32_e32 v18, v1
; %bb.3539:                             ;   in Loop: Header=BB6_3506 Depth=4
	s_or_b32 exec_lo, exec_lo, s13
.LBB6_3540:                             ;   in Loop: Header=BB6_3506 Depth=4
	s_delay_alu instid0(SALU_CYCLE_1)
	s_or_b32 exec_lo, exec_lo, s74
                                        ; implicit-def: $vgpr1
.LBB6_3541:                             ;   in Loop: Header=BB6_3506 Depth=4
	s_and_not1_saveexec_b32 s13, s73
; %bb.3542:                             ;   in Loop: Header=BB6_3506 Depth=4
	v_or_b32_e32 v18, 0x7b, v1
; %bb.3543:                             ;   in Loop: Header=BB6_3506 Depth=4
	s_or_b32 exec_lo, exec_lo, s13
                                        ; implicit-def: $vgpr3
.LBB6_3544:                             ;   in Loop: Header=BB6_3506 Depth=4
	s_and_not1_saveexec_b32 s13, s72
	s_cbranch_execz .LBB6_3550
; %bb.3545:                             ;   in Loop: Header=BB6_3506 Depth=4
	s_mov_b32 s72, exec_lo
                                        ; implicit-def: $vgpr18
	v_cmpx_ne_u64_e32 0, v[20:21]
	s_xor_b32 s72, exec_lo, s72
; %bb.3546:                             ;   in Loop: Header=BB6_3506 Depth=4
	v_lshrrev_b32_e32 v1, 24, v3
                                        ; implicit-def: $vgpr3
	s_delay_alu instid0(VALU_DEP_1)
	v_or_b32_e32 v18, 0x7f, v1
; %bb.3547:                             ;   in Loop: Header=BB6_3506 Depth=4
	s_and_not1_saveexec_b32 s72, s72
; %bb.3548:                             ;   in Loop: Header=BB6_3506 Depth=4
	v_cmp_lt_i32_e32 vcc_lo, -1, v3
	v_cndmask_b32_e64 v18, -4, 0x7c, vcc_lo
; %bb.3549:                             ;   in Loop: Header=BB6_3506 Depth=4
	s_or_b32 exec_lo, exec_lo, s72
.LBB6_3550:                             ;   in Loop: Header=BB6_3506 Depth=4
	s_delay_alu instid0(SALU_CYCLE_1)
	s_or_b32 exec_lo, exec_lo, s13
	v_dual_mov_b32 v1, 0 :: v_dual_mov_b32 v3, 0
	s_mov_b32 s72, exec_lo
	v_cmpx_ne_u16_e32 0, v14
	s_cbranch_execz .LBB6_3560
; %bb.3551:                             ;   in Loop: Header=BB6_3506 Depth=4
	v_bfrev_b32_e32 v3, 1
	s_mov_b32 s73, exec_lo
	v_cmpx_ne_u16_e32 0xff80, v14
	s_cbranch_execz .LBB6_3559
; %bb.3552:                             ;   in Loop: Header=BB6_3506 Depth=4
	v_and_b32_e32 v3, 0x7c, v14
	v_and_b32_e32 v5, 3, v14
	s_delay_alu instid0(VALU_DEP_2) | instskip(SKIP_1) | instid1(SALU_CYCLE_1)
	v_cmp_ne_u32_e32 vcc_lo, 0x7c, v3
                                        ; implicit-def: $vgpr3
	s_and_saveexec_b32 s13, vcc_lo
	s_xor_b32 s13, exec_lo, s13
	s_cbranch_execz .LBB6_3556
; %bb.3553:                             ;   in Loop: Header=BB6_3506 Depth=4
	v_and_b32_e32 v3, 0xff, v14
	s_mov_b32 s74, exec_lo
	s_delay_alu instid0(VALU_DEP_1) | instskip(NEXT) | instid1(VALU_DEP_1)
	v_bfe_u32 v3, v3, 2, 5
	v_cmpx_eq_u32_e32 0, v3
	s_cbranch_execz .LBB6_3555
; %bb.3554:                             ;   in Loop: Header=BB6_3506 Depth=4
	v_clz_i32_u32_e32 v3, v5
	s_delay_alu instid0(VALU_DEP_1) | instskip(SKIP_1) | instid1(VALU_DEP_2)
	v_min_u32_e32 v3, 32, v3
	v_mov_b32_e32 v15, v21
	v_subrev_nc_u32_e32 v5, 29, v3
	v_sub_nc_u32_e32 v3, 30, v3
	s_delay_alu instid0(VALU_DEP_2) | instskip(NEXT) | instid1(VALU_DEP_1)
	v_lshlrev_b64_e32 v[16:17], v5, v[14:15]
	v_and_b32_e32 v5, 3, v16
.LBB6_3555:                             ;   in Loop: Header=BB6_3506 Depth=4
	s_or_b32 exec_lo, exec_lo, s74
	v_bfe_i32 v7, v14, 0, 16
                                        ; implicit-def: $vgpr14
	s_delay_alu instid0(VALU_DEP_1) | instskip(NEXT) | instid1(VALU_DEP_1)
	v_and_b32_e32 v7, 0x80000000, v7
	v_lshl_add_u32 v3, v3, 23, v7
	s_delay_alu instid0(VALU_DEP_1) | instskip(NEXT) | instid1(VALU_DEP_1)
	v_lshl_or_b32 v3, v5, 21, v3
                                        ; implicit-def: $vgpr5
	v_add_nc_u32_e32 v3, 0x38000000, v3
.LBB6_3556:                             ;   in Loop: Header=BB6_3506 Depth=4
	s_and_not1_saveexec_b32 s74, s13
; %bb.3557:                             ;   in Loop: Header=BB6_3506 Depth=4
	v_cmp_lt_i16_e64 s13, -1, v14
	v_mov_b32_e32 v3, 0x7f800000
	v_cmp_eq_u32_e32 vcc_lo, 0, v5
	s_delay_alu instid0(VALU_DEP_2) | instskip(NEXT) | instid1(VALU_DEP_1)
	v_cndmask_b32_e64 v3, 0xff800000, v3, s13
	v_cndmask_b32_e32 v3, 0x7f800001, v3, vcc_lo
; %bb.3558:                             ;   in Loop: Header=BB6_3506 Depth=4
	s_or_b32 exec_lo, exec_lo, s74
.LBB6_3559:                             ;   in Loop: Header=BB6_3506 Depth=4
	s_delay_alu instid0(SALU_CYCLE_1)
	s_or_b32 exec_lo, exec_lo, s73
.LBB6_3560:                             ;   in Loop: Header=BB6_3506 Depth=4
	s_delay_alu instid0(SALU_CYCLE_1) | instskip(NEXT) | instid1(SALU_CYCLE_1)
	s_or_b32 exec_lo, exec_lo, s72
	s_mov_b32 s72, exec_lo
	v_cmpx_ne_u16_e32 0, v76
	s_cbranch_execz .LBB6_3570
; %bb.3561:                             ;   in Loop: Header=BB6_3506 Depth=4
	v_bfrev_b32_e32 v1, 1
	s_mov_b32 s73, exec_lo
	v_cmpx_ne_u16_e32 0xff80, v76
	s_cbranch_execz .LBB6_3569
; %bb.3562:                             ;   in Loop: Header=BB6_3506 Depth=4
	v_and_b32_e32 v1, 0x7c, v76
	v_and_b32_e32 v5, 3, v76
	s_delay_alu instid0(VALU_DEP_2) | instskip(SKIP_1) | instid1(SALU_CYCLE_1)
	v_cmp_ne_u32_e32 vcc_lo, 0x7c, v1
                                        ; implicit-def: $vgpr1
	s_and_saveexec_b32 s13, vcc_lo
	s_xor_b32 s13, exec_lo, s13
	s_cbranch_execz .LBB6_3566
; %bb.3563:                             ;   in Loop: Header=BB6_3506 Depth=4
	v_and_b32_e32 v1, 0xff, v76
	s_mov_b32 s74, exec_lo
	s_delay_alu instid0(VALU_DEP_1) | instskip(NEXT) | instid1(VALU_DEP_1)
	v_bfe_u32 v1, v1, 2, 5
	v_cmpx_eq_u32_e32 0, v1
	s_cbranch_execz .LBB6_3565
; %bb.3564:                             ;   in Loop: Header=BB6_3506 Depth=4
	v_clz_i32_u32_e32 v1, v5
	s_delay_alu instid0(VALU_DEP_1) | instskip(SKIP_1) | instid1(VALU_DEP_2)
	v_min_u32_e32 v1, 32, v1
	v_mov_b32_e32 v77, v21
	v_subrev_nc_u32_e32 v5, 29, v1
	v_sub_nc_u32_e32 v1, 30, v1
	s_delay_alu instid0(VALU_DEP_2) | instskip(NEXT) | instid1(VALU_DEP_1)
	v_lshlrev_b64_e32 v[14:15], v5, v[76:77]
	v_and_b32_e32 v5, 3, v14
.LBB6_3565:                             ;   in Loop: Header=BB6_3506 Depth=4
	s_or_b32 exec_lo, exec_lo, s74
	v_bfe_i32 v7, v76, 0, 16
                                        ; implicit-def: $vgpr76
	s_delay_alu instid0(VALU_DEP_1) | instskip(NEXT) | instid1(VALU_DEP_1)
	v_and_b32_e32 v7, 0x80000000, v7
	v_lshl_add_u32 v1, v1, 23, v7
	s_delay_alu instid0(VALU_DEP_1) | instskip(NEXT) | instid1(VALU_DEP_1)
	v_lshl_or_b32 v1, v5, 21, v1
                                        ; implicit-def: $vgpr5
	v_add_nc_u32_e32 v1, 0x38000000, v1
.LBB6_3566:                             ;   in Loop: Header=BB6_3506 Depth=4
	s_and_not1_saveexec_b32 s74, s13
; %bb.3567:                             ;   in Loop: Header=BB6_3506 Depth=4
	v_cmp_lt_i16_e64 s13, -1, v76
	v_mov_b32_e32 v1, 0x7f800000
	v_cmp_eq_u32_e32 vcc_lo, 0, v5
	s_delay_alu instid0(VALU_DEP_2) | instskip(NEXT) | instid1(VALU_DEP_1)
	v_cndmask_b32_e64 v1, 0xff800000, v1, s13
	v_cndmask_b32_e32 v1, 0x7f800001, v1, vcc_lo
; %bb.3568:                             ;   in Loop: Header=BB6_3506 Depth=4
	s_or_b32 exec_lo, exec_lo, s74
.LBB6_3569:                             ;   in Loop: Header=BB6_3506 Depth=4
	s_delay_alu instid0(SALU_CYCLE_1)
	s_or_b32 exec_lo, exec_lo, s73
.LBB6_3570:                             ;   in Loop: Header=BB6_3506 Depth=4
	s_delay_alu instid0(SALU_CYCLE_1) | instskip(NEXT) | instid1(VALU_DEP_1)
	s_or_b32 exec_lo, exec_lo, s72
	v_dual_mul_f32 v3, v3, v1 :: v_dual_mov_b32 v15, v21
                                        ; implicit-def: $vgpr16
	s_mov_b32 s13, exec_lo
	s_delay_alu instid0(VALU_DEP_1) | instskip(SKIP_1) | instid1(VALU_DEP_2)
	v_and_b32_e32 v14, 0x7f800000, v3
	v_and_b32_e32 v20, 0x7fffff, v3
	v_cmpx_ne_u64_e32 0x7f800000, v[14:15]
	s_xor_b32 s72, exec_lo, s13
	s_cbranch_execz .LBB6_3588
; %bb.3571:                             ;   in Loop: Header=BB6_3506 Depth=4
	v_dual_mov_b32 v15, v21 :: v_dual_lshrrev_b32 v1, 24, v3
	v_and_b32_e32 v14, 0x7fffffff, v3
                                        ; implicit-def: $vgpr16
	s_mov_b32 s13, exec_lo
	s_delay_alu instid0(VALU_DEP_2) | instskip(NEXT) | instid1(VALU_DEP_2)
	v_and_b32_e32 v1, 0x80, v1
	v_cmpx_gt_u64_e32 0x47600001, v[14:15]
	s_xor_b32 s73, exec_lo, s13
	s_cbranch_execz .LBB6_3585
; %bb.3572:                             ;   in Loop: Header=BB6_3506 Depth=4
	v_mov_b32_e32 v16, 0
	s_mov_b32 s74, exec_lo
	v_cmpx_ne_u32_e32 0, v3
	s_cbranch_execz .LBB6_3584
; %bb.3573:                             ;   in Loop: Header=BB6_3506 Depth=4
	v_bfe_u32 v3, v3, 23, 8
	v_or_b32_e32 v7, 0x800000, v20
	v_mov_b32_e32 v15, v21
	s_delay_alu instid0(VALU_DEP_3) | instskip(SKIP_1) | instid1(VALU_DEP_4)
	v_cmp_eq_u32_e32 vcc_lo, 0, v3
	v_cmp_gt_u32_e64 s13, 0x72, v3
	v_dual_cndmask_b32 v14, v7, v20 :: v_dual_sub_nc_u32 v5, 0x71, v3
	s_delay_alu instid0(VALU_DEP_1) | instskip(NEXT) | instid1(VALU_DEP_1)
	v_cndmask_b32_e64 v5, 0, v5, s13
	v_cndmask_b32_e64 v5, v5, 0x70, vcc_lo
	s_delay_alu instid0(VALU_DEP_1) | instskip(NEXT) | instid1(VALU_DEP_1)
	v_add_nc_u32_e32 v7, 21, v5
	v_lshlrev_b64_e64 v[16:17], v7, -1
	v_add_nc_u32_e32 v7, 20, v5
	s_delay_alu instid0(VALU_DEP_1) | instskip(NEXT) | instid1(VALU_DEP_3)
	v_lshlrev_b64_e64 v[24:25], v7, 1
	v_bfi_b32 v16, v16, 0, v14
	v_lshrrev_b64 v[14:15], v5, v[14:15]
	v_bfi_b32 v17, v17, 0, 0
	s_delay_alu instid0(VALU_DEP_1) | instskip(NEXT) | instid1(VALU_DEP_3)
	v_cmp_eq_u64_e64 s13, v[16:17], v[24:25]
	v_mov_b64_e32 v[16:17], v[14:15]
	s_and_saveexec_b32 s75, s13
; %bb.3574:                             ;   in Loop: Header=BB6_3506 Depth=4
	v_bfe_u32 v16, v14, 21, 1
	v_mov_b32_e32 v17, v21
	s_delay_alu instid0(VALU_DEP_1) | instskip(NEXT) | instid1(VALU_DEP_1)
	v_add_nc_u64_e32 v[16:17], v[14:15], v[16:17]
	v_add_nc_u64_e32 v[16:17], -1, v[16:17]
; %bb.3575:                             ;   in Loop: Header=BB6_3506 Depth=4
	s_or_b32 exec_lo, exec_lo, s75
	v_add_nc_u32_e32 v3, 0xffffff81, v3
	v_lshrrev_b32_e32 v7, 23, v14
	s_mov_b32 s13, exec_lo
	s_delay_alu instid0(VALU_DEP_2) | instskip(NEXT) | instid1(VALU_DEP_1)
	v_cndmask_b32_e64 v3, v3, 0xffffff82, vcc_lo
	v_add3_u32 v7, v5, v3, v7
	v_and_b32_e32 v3, 0x1fffff, v16
	s_delay_alu instid0(VALU_DEP_1) | instskip(NEXT) | instid1(VALU_DEP_1)
	v_dual_add_nc_u32 v5, 14, v7 :: v_dual_add_nc_u32 v20, v3, v14
                                        ; implicit-def: $vgpr14_vgpr15
                                        ; implicit-def: $vgpr3
	v_cmpx_ne_u32_e32 0, v5
	s_xor_b32 s13, exec_lo, s13
; %bb.3576:                             ;   in Loop: Header=BB6_3506 Depth=4
	s_delay_alu instid0(VALU_DEP_2) | instskip(SKIP_1) | instid1(VALU_DEP_1)
	v_cmp_lt_u64_e32 vcc_lo, 0xffffff, v[20:21]
	v_add_nc_u32_e32 v3, 15, v7
	v_cndmask_b32_e32 v3, v5, v3, vcc_lo
	v_cndmask_b32_e64 v5, 0, 1, vcc_lo
	s_delay_alu instid0(VALU_DEP_1)
	v_lshrrev_b64 v[14:15], v5, v[20:21]
; %bb.3577:                             ;   in Loop: Header=BB6_3506 Depth=4
	s_and_not1_saveexec_b32 s13, s13
; %bb.3578:                             ;   in Loop: Header=BB6_3506 Depth=4
	v_mov_b64_e32 v[14:15], v[20:21]
	v_bfe_u32 v3, v20, 23, 1
; %bb.3579:                             ;   in Loop: Header=BB6_3506 Depth=4
	s_or_b32 exec_lo, exec_lo, s13
	s_delay_alu instid0(VALU_DEP_2) | instskip(NEXT) | instid1(VALU_DEP_2)
	v_lshrrev_b64 v[14:15], 21, v[14:15]
	v_cmp_gt_i32_e32 vcc_lo, 32, v3
	v_cmp_ne_u32_e64 s13, 0, v3
                                        ; implicit-def: $vgpr16
	s_delay_alu instid0(VALU_DEP_3) | instskip(NEXT) | instid1(VALU_DEP_1)
	v_dual_cndmask_b32 v15, 0, v15 :: v_dual_cndmask_b32 v14, 3, v14
	v_cmp_ne_u64_e32 vcc_lo, 0, v[14:15]
	s_or_b32 s13, s13, vcc_lo
	s_delay_alu instid0(SALU_CYCLE_1) | instskip(NEXT) | instid1(SALU_CYCLE_1)
	s_and_saveexec_b32 s75, s13
	s_xor_b32 s13, exec_lo, s75
; %bb.3580:                             ;   in Loop: Header=BB6_3506 Depth=4
	v_min_i32_e32 v3, 31, v3
	s_delay_alu instid0(VALU_DEP_1) | instskip(NEXT) | instid1(VALU_DEP_1)
	v_lshl_or_b32 v1, v3, 2, v1
	v_and_or_b32 v16, v14, 3, v1
                                        ; implicit-def: $vgpr1
; %bb.3581:                             ;   in Loop: Header=BB6_3506 Depth=4
	s_and_not1_saveexec_b32 s13, s13
; %bb.3582:                             ;   in Loop: Header=BB6_3506 Depth=4
	v_mov_b32_e32 v16, v1
; %bb.3583:                             ;   in Loop: Header=BB6_3506 Depth=4
	s_or_b32 exec_lo, exec_lo, s13
.LBB6_3584:                             ;   in Loop: Header=BB6_3506 Depth=4
	s_delay_alu instid0(SALU_CYCLE_1)
	s_or_b32 exec_lo, exec_lo, s74
                                        ; implicit-def: $vgpr1
.LBB6_3585:                             ;   in Loop: Header=BB6_3506 Depth=4
	s_and_not1_saveexec_b32 s13, s73
; %bb.3586:                             ;   in Loop: Header=BB6_3506 Depth=4
	v_or_b32_e32 v16, 0x7b, v1
; %bb.3587:                             ;   in Loop: Header=BB6_3506 Depth=4
	s_or_b32 exec_lo, exec_lo, s13
                                        ; implicit-def: $vgpr3
.LBB6_3588:                             ;   in Loop: Header=BB6_3506 Depth=4
	s_and_not1_saveexec_b32 s13, s72
	s_cbranch_execz .LBB6_3594
; %bb.3589:                             ;   in Loop: Header=BB6_3506 Depth=4
	s_mov_b32 s72, exec_lo
                                        ; implicit-def: $vgpr16
	v_cmpx_ne_u64_e32 0, v[20:21]
	s_xor_b32 s72, exec_lo, s72
; %bb.3590:                             ;   in Loop: Header=BB6_3506 Depth=4
	v_lshrrev_b32_e32 v1, 24, v3
                                        ; implicit-def: $vgpr3
	s_delay_alu instid0(VALU_DEP_1)
	v_or_b32_e32 v16, 0x7f, v1
; %bb.3591:                             ;   in Loop: Header=BB6_3506 Depth=4
	s_and_not1_saveexec_b32 s72, s72
; %bb.3592:                             ;   in Loop: Header=BB6_3506 Depth=4
	v_cmp_lt_i32_e32 vcc_lo, -1, v3
	v_cndmask_b32_e64 v16, -4, 0x7c, vcc_lo
; %bb.3593:                             ;   in Loop: Header=BB6_3506 Depth=4
	s_or_b32 exec_lo, exec_lo, s72
.LBB6_3594:                             ;   in Loop: Header=BB6_3506 Depth=4
	s_delay_alu instid0(SALU_CYCLE_1)
	s_or_b32 exec_lo, exec_lo, s13
	v_dual_mov_b32 v1, 0 :: v_dual_mov_b32 v5, 0
	s_mov_b32 s72, exec_lo
	v_cmpx_ne_u16_e32 0, v82
	s_cbranch_execz .LBB6_3604
; %bb.3595:                             ;   in Loop: Header=BB6_3506 Depth=4
	v_bfrev_b32_e32 v5, 1
	s_mov_b32 s73, exec_lo
	v_cmpx_ne_u16_e32 0xff80, v82
	s_cbranch_execz .LBB6_3603
; %bb.3596:                             ;   in Loop: Header=BB6_3506 Depth=4
	v_and_b32_e32 v5, 0x7c, v82
	v_and_b32_e32 v3, 3, v82
	s_delay_alu instid0(VALU_DEP_2) | instskip(SKIP_1) | instid1(SALU_CYCLE_1)
	v_cmp_ne_u32_e32 vcc_lo, 0x7c, v5
                                        ; implicit-def: $vgpr5
	s_and_saveexec_b32 s13, vcc_lo
	s_xor_b32 s13, exec_lo, s13
	s_cbranch_execz .LBB6_3600
; %bb.3597:                             ;   in Loop: Header=BB6_3506 Depth=4
	v_and_b32_e32 v5, 0xff, v82
	s_mov_b32 s74, exec_lo
	s_delay_alu instid0(VALU_DEP_1) | instskip(NEXT) | instid1(VALU_DEP_1)
	v_bfe_u32 v5, v5, 2, 5
	v_cmpx_eq_u32_e32 0, v5
; %bb.3598:                             ;   in Loop: Header=BB6_3506 Depth=4
	v_clz_i32_u32_e32 v3, v3
	s_delay_alu instid0(VALU_DEP_1) | instskip(SKIP_1) | instid1(VALU_DEP_2)
	v_min_u32_e32 v3, 32, v3
	v_mov_b32_e32 v83, v21
	v_subrev_nc_u32_e32 v5, 29, v3
	s_delay_alu instid0(VALU_DEP_1) | instskip(NEXT) | instid1(VALU_DEP_1)
	v_lshlrev_b64_e32 v[14:15], v5, v[82:83]
	v_dual_sub_nc_u32 v5, 30, v3 :: v_dual_bitop2_b32 v3, 3, v14 bitop3:0x40
; %bb.3599:                             ;   in Loop: Header=BB6_3506 Depth=4
	s_or_b32 exec_lo, exec_lo, s74
	v_bfe_i32 v7, v82, 0, 16
                                        ; implicit-def: $vgpr82
	s_delay_alu instid0(VALU_DEP_1) | instskip(NEXT) | instid1(VALU_DEP_1)
	v_and_b32_e32 v7, 0x80000000, v7
	v_lshl_add_u32 v5, v5, 23, v7
	s_delay_alu instid0(VALU_DEP_1) | instskip(NEXT) | instid1(VALU_DEP_1)
	v_lshl_or_b32 v3, v3, 21, v5
	v_add_nc_u32_e32 v5, 0x38000000, v3
                                        ; implicit-def: $vgpr3
.LBB6_3600:                             ;   in Loop: Header=BB6_3506 Depth=4
	s_and_not1_saveexec_b32 s74, s13
; %bb.3601:                             ;   in Loop: Header=BB6_3506 Depth=4
	v_cmp_eq_u32_e32 vcc_lo, 0, v3
	v_cmp_lt_i16_e64 s13, -1, v82
	v_mov_b32_e32 v3, 0x7f800000
	s_delay_alu instid0(VALU_DEP_1) | instskip(NEXT) | instid1(VALU_DEP_1)
	v_cndmask_b32_e64 v3, 0xff800000, v3, s13
	v_cndmask_b32_e32 v5, 0x7f800001, v3, vcc_lo
; %bb.3602:                             ;   in Loop: Header=BB6_3506 Depth=4
	s_or_b32 exec_lo, exec_lo, s74
.LBB6_3603:                             ;   in Loop: Header=BB6_3506 Depth=4
	s_delay_alu instid0(SALU_CYCLE_1)
	s_or_b32 exec_lo, exec_lo, s73
.LBB6_3604:                             ;   in Loop: Header=BB6_3506 Depth=4
	s_delay_alu instid0(SALU_CYCLE_1) | instskip(NEXT) | instid1(SALU_CYCLE_1)
	s_or_b32 exec_lo, exec_lo, s72
	s_mov_b32 s72, exec_lo
	v_cmpx_ne_u16_e32 0, v2
	s_cbranch_execz .LBB6_3614
; %bb.3605:                             ;   in Loop: Header=BB6_3506 Depth=4
	v_bfrev_b32_e32 v1, 1
	s_mov_b32 s73, exec_lo
	v_cmpx_ne_u16_e32 0xff80, v2
	s_cbranch_execz .LBB6_3613
; %bb.3606:                             ;   in Loop: Header=BB6_3506 Depth=4
	v_and_b32_e32 v1, 0x7c, v2
	v_and_b32_e32 v3, 3, v2
	s_delay_alu instid0(VALU_DEP_2) | instskip(SKIP_1) | instid1(SALU_CYCLE_1)
	v_cmp_ne_u32_e32 vcc_lo, 0x7c, v1
                                        ; implicit-def: $vgpr1
	s_and_saveexec_b32 s13, vcc_lo
	s_xor_b32 s13, exec_lo, s13
	s_cbranch_execz .LBB6_3610
; %bb.3607:                             ;   in Loop: Header=BB6_3506 Depth=4
	v_and_b32_e32 v1, 0xff, v2
	s_mov_b32 s74, exec_lo
	s_delay_alu instid0(VALU_DEP_1) | instskip(NEXT) | instid1(VALU_DEP_1)
	v_bfe_u32 v1, v1, 2, 5
	v_cmpx_eq_u32_e32 0, v1
	s_cbranch_execz .LBB6_3609
; %bb.3608:                             ;   in Loop: Header=BB6_3506 Depth=4
	v_clz_i32_u32_e32 v1, v3
	s_delay_alu instid0(VALU_DEP_1) | instskip(SKIP_1) | instid1(VALU_DEP_2)
	v_min_u32_e32 v1, 32, v1
	v_mov_b32_e32 v3, v21
	v_subrev_nc_u32_e32 v7, 29, v1
	v_sub_nc_u32_e32 v1, 30, v1
	s_delay_alu instid0(VALU_DEP_2) | instskip(NEXT) | instid1(VALU_DEP_1)
	v_lshlrev_b64_e32 v[14:15], v7, v[2:3]
	v_and_b32_e32 v3, 3, v14
.LBB6_3609:                             ;   in Loop: Header=BB6_3506 Depth=4
	s_or_b32 exec_lo, exec_lo, s74
	v_bfe_i32 v2, v2, 0, 16
	s_delay_alu instid0(VALU_DEP_1) | instskip(NEXT) | instid1(VALU_DEP_1)
	v_and_b32_e32 v2, 0x80000000, v2
	v_lshl_add_u32 v1, v1, 23, v2
                                        ; implicit-def: $vgpr2
	s_delay_alu instid0(VALU_DEP_1) | instskip(NEXT) | instid1(VALU_DEP_1)
	v_lshl_or_b32 v1, v3, 21, v1
                                        ; implicit-def: $vgpr3
	v_add_nc_u32_e32 v1, 0x38000000, v1
.LBB6_3610:                             ;   in Loop: Header=BB6_3506 Depth=4
	s_and_not1_saveexec_b32 s74, s13
; %bb.3611:                             ;   in Loop: Header=BB6_3506 Depth=4
	v_cmp_lt_i16_e64 s13, -1, v2
	v_mov_b32_e32 v1, 0x7f800000
	v_cmp_eq_u32_e32 vcc_lo, 0, v3
	s_delay_alu instid0(VALU_DEP_2) | instskip(NEXT) | instid1(VALU_DEP_1)
	v_cndmask_b32_e64 v1, 0xff800000, v1, s13
	v_cndmask_b32_e32 v1, 0x7f800001, v1, vcc_lo
; %bb.3612:                             ;   in Loop: Header=BB6_3506 Depth=4
	s_or_b32 exec_lo, exec_lo, s74
.LBB6_3613:                             ;   in Loop: Header=BB6_3506 Depth=4
	s_delay_alu instid0(SALU_CYCLE_1)
	s_or_b32 exec_lo, exec_lo, s73
.LBB6_3614:                             ;   in Loop: Header=BB6_3506 Depth=4
	s_delay_alu instid0(SALU_CYCLE_1) | instskip(NEXT) | instid1(VALU_DEP_1)
	s_or_b32 exec_lo, exec_lo, s72
	v_mul_f32_e32 v2, v5, v1
	v_mov_b32_e32 v15, v21
                                        ; implicit-def: $vgpr17
	s_mov_b32 s13, exec_lo
	s_delay_alu instid0(VALU_DEP_2) | instskip(SKIP_1) | instid1(VALU_DEP_2)
	v_and_b32_e32 v14, 0x7f800000, v2
	v_and_b32_e32 v20, 0x7fffff, v2
	v_cmpx_ne_u64_e32 0x7f800000, v[14:15]
	s_xor_b32 s72, exec_lo, s13
	s_cbranch_execz .LBB6_3632
; %bb.3615:                             ;   in Loop: Header=BB6_3506 Depth=4
	v_dual_mov_b32 v15, v21 :: v_dual_lshrrev_b32 v1, 24, v2
	v_and_b32_e32 v14, 0x7fffffff, v2
                                        ; implicit-def: $vgpr17
	s_mov_b32 s13, exec_lo
	s_delay_alu instid0(VALU_DEP_2) | instskip(NEXT) | instid1(VALU_DEP_2)
	v_and_b32_e32 v1, 0x80, v1
	v_cmpx_gt_u64_e32 0x47600001, v[14:15]
	s_xor_b32 s73, exec_lo, s13
	s_cbranch_execz .LBB6_3629
; %bb.3616:                             ;   in Loop: Header=BB6_3506 Depth=4
	v_mov_b32_e32 v17, 0
	s_mov_b32 s74, exec_lo
	v_cmpx_ne_u32_e32 0, v2
	s_cbranch_execz .LBB6_3628
; %bb.3617:                             ;   in Loop: Header=BB6_3506 Depth=4
	v_bfe_u32 v5, v2, 23, 8
	v_or_b32_e32 v3, 0x800000, v20
	s_delay_alu instid0(VALU_DEP_2) | instskip(SKIP_2) | instid1(VALU_DEP_2)
	v_cmp_gt_u32_e64 s13, 0x72, v5
	v_sub_nc_u32_e32 v2, 0x71, v5
	v_cmp_eq_u32_e32 vcc_lo, 0, v5
	v_cndmask_b32_e64 v2, 0, v2, s13
	s_delay_alu instid0(VALU_DEP_1) | instskip(SKIP_1) | instid1(VALU_DEP_2)
	v_cndmask_b32_e64 v7, v2, 0x70, vcc_lo
	v_dual_cndmask_b32 v2, v3, v20 :: v_dual_mov_b32 v3, v21
	v_dual_add_nc_u32 v14, 21, v7 :: v_dual_add_nc_u32 v17, 20, v7
	s_delay_alu instid0(VALU_DEP_1) | instskip(NEXT) | instid1(VALU_DEP_2)
	v_lshlrev_b64_e64 v[14:15], v14, -1
	v_lshlrev_b64_e64 v[24:25], v17, 1
	s_delay_alu instid0(VALU_DEP_2) | instskip(SKIP_1) | instid1(VALU_DEP_4)
	v_bfi_b32 v14, v14, 0, v2
	v_lshrrev_b64 v[2:3], v7, v[2:3]
	v_bfi_b32 v15, v15, 0, 0
	s_delay_alu instid0(VALU_DEP_1) | instskip(NEXT) | instid1(VALU_DEP_3)
	v_cmp_eq_u64_e64 s13, v[14:15], v[24:25]
	v_mov_b64_e32 v[14:15], v[2:3]
	s_and_saveexec_b32 s75, s13
; %bb.3618:                             ;   in Loop: Header=BB6_3506 Depth=4
	v_bfe_u32 v14, v2, 21, 1
	v_mov_b32_e32 v15, v21
	s_delay_alu instid0(VALU_DEP_1) | instskip(NEXT) | instid1(VALU_DEP_1)
	v_add_nc_u64_e32 v[14:15], v[2:3], v[14:15]
	v_add_nc_u64_e32 v[14:15], -1, v[14:15]
; %bb.3619:                             ;   in Loop: Header=BB6_3506 Depth=4
	s_or_b32 exec_lo, exec_lo, s75
	v_add_nc_u32_e32 v3, 0xffffff81, v5
	v_lshrrev_b32_e32 v5, 23, v2
	s_mov_b32 s13, exec_lo
	s_delay_alu instid0(VALU_DEP_2) | instskip(NEXT) | instid1(VALU_DEP_1)
	v_cndmask_b32_e64 v3, v3, 0xffffff82, vcc_lo
	v_add3_u32 v15, v7, v3, v5
	v_and_b32_e32 v3, 0x1fffff, v14
                                        ; implicit-def: $vgpr5
	s_delay_alu instid0(VALU_DEP_1) | instskip(NEXT) | instid1(VALU_DEP_1)
	v_dual_add_nc_u32 v7, 14, v15 :: v_dual_add_nc_u32 v20, v3, v2
                                        ; implicit-def: $vgpr2_vgpr3
	v_cmpx_ne_u32_e32 0, v7
	s_xor_b32 s13, exec_lo, s13
; %bb.3620:                             ;   in Loop: Header=BB6_3506 Depth=4
	s_delay_alu instid0(VALU_DEP_2) | instskip(SKIP_1) | instid1(VALU_DEP_1)
	v_cmp_lt_u64_e32 vcc_lo, 0xffffff, v[20:21]
	v_add_nc_u32_e32 v2, 15, v15
	v_cndmask_b32_e32 v5, v7, v2, vcc_lo
	v_cndmask_b32_e64 v2, 0, 1, vcc_lo
	s_delay_alu instid0(VALU_DEP_1)
	v_lshrrev_b64 v[2:3], v2, v[20:21]
; %bb.3621:                             ;   in Loop: Header=BB6_3506 Depth=4
	s_and_not1_saveexec_b32 s13, s13
; %bb.3622:                             ;   in Loop: Header=BB6_3506 Depth=4
	v_mov_b64_e32 v[2:3], v[20:21]
	v_bfe_u32 v5, v20, 23, 1
; %bb.3623:                             ;   in Loop: Header=BB6_3506 Depth=4
	s_or_b32 exec_lo, exec_lo, s13
	s_delay_alu instid0(VALU_DEP_2) | instskip(NEXT) | instid1(VALU_DEP_2)
	v_lshrrev_b64 v[2:3], 21, v[2:3]
	v_cmp_gt_i32_e32 vcc_lo, 32, v5
	v_cmp_ne_u32_e64 s13, 0, v5
                                        ; implicit-def: $vgpr17
	s_delay_alu instid0(VALU_DEP_3) | instskip(NEXT) | instid1(VALU_DEP_1)
	v_dual_cndmask_b32 v3, 0, v3 :: v_dual_cndmask_b32 v2, 3, v2
	v_cmp_ne_u64_e32 vcc_lo, 0, v[2:3]
	s_or_b32 s13, s13, vcc_lo
	s_delay_alu instid0(SALU_CYCLE_1) | instskip(NEXT) | instid1(SALU_CYCLE_1)
	s_and_saveexec_b32 s75, s13
	s_xor_b32 s13, exec_lo, s75
; %bb.3624:                             ;   in Loop: Header=BB6_3506 Depth=4
	v_min_i32_e32 v3, 31, v5
	s_delay_alu instid0(VALU_DEP_1) | instskip(NEXT) | instid1(VALU_DEP_1)
	v_lshl_or_b32 v1, v3, 2, v1
	v_and_or_b32 v17, v2, 3, v1
                                        ; implicit-def: $vgpr1
; %bb.3625:                             ;   in Loop: Header=BB6_3506 Depth=4
	s_and_not1_saveexec_b32 s13, s13
; %bb.3626:                             ;   in Loop: Header=BB6_3506 Depth=4
	v_mov_b32_e32 v17, v1
; %bb.3627:                             ;   in Loop: Header=BB6_3506 Depth=4
	s_or_b32 exec_lo, exec_lo, s13
.LBB6_3628:                             ;   in Loop: Header=BB6_3506 Depth=4
	s_delay_alu instid0(SALU_CYCLE_1)
	s_or_b32 exec_lo, exec_lo, s74
                                        ; implicit-def: $vgpr1
.LBB6_3629:                             ;   in Loop: Header=BB6_3506 Depth=4
	s_and_not1_saveexec_b32 s13, s73
; %bb.3630:                             ;   in Loop: Header=BB6_3506 Depth=4
	v_or_b32_e32 v17, 0x7b, v1
; %bb.3631:                             ;   in Loop: Header=BB6_3506 Depth=4
	s_or_b32 exec_lo, exec_lo, s13
                                        ; implicit-def: $vgpr2
.LBB6_3632:                             ;   in Loop: Header=BB6_3506 Depth=4
	s_and_not1_saveexec_b32 s13, s72
	s_cbranch_execz .LBB6_3638
; %bb.3633:                             ;   in Loop: Header=BB6_3506 Depth=4
	s_mov_b32 s72, exec_lo
                                        ; implicit-def: $vgpr17
	v_cmpx_ne_u64_e32 0, v[20:21]
	s_xor_b32 s72, exec_lo, s72
; %bb.3634:                             ;   in Loop: Header=BB6_3506 Depth=4
	v_lshrrev_b32_e32 v1, 24, v2
                                        ; implicit-def: $vgpr2
	s_delay_alu instid0(VALU_DEP_1)
	v_or_b32_e32 v17, 0x7f, v1
; %bb.3635:                             ;   in Loop: Header=BB6_3506 Depth=4
	s_and_not1_saveexec_b32 s72, s72
; %bb.3636:                             ;   in Loop: Header=BB6_3506 Depth=4
	v_cmp_lt_i32_e32 vcc_lo, -1, v2
	v_cndmask_b32_e64 v17, -4, 0x7c, vcc_lo
; %bb.3637:                             ;   in Loop: Header=BB6_3506 Depth=4
	s_or_b32 exec_lo, exec_lo, s72
.LBB6_3638:                             ;   in Loop: Header=BB6_3506 Depth=4
	s_delay_alu instid0(SALU_CYCLE_1)
	s_or_b32 exec_lo, exec_lo, s13
	v_dual_mov_b32 v1, 0 :: v_dual_mov_b32 v2, 0
	s_mov_b32 s72, exec_lo
	v_cmpx_ne_u16_e32 0, v22
	s_cbranch_execz .LBB6_3648
; %bb.3639:                             ;   in Loop: Header=BB6_3506 Depth=4
	v_bfrev_b32_e32 v2, 1
	s_mov_b32 s73, exec_lo
	v_cmpx_ne_u16_e32 0xff80, v22
	s_cbranch_execz .LBB6_3647
; %bb.3640:                             ;   in Loop: Header=BB6_3506 Depth=4
	v_and_b32_e32 v2, 0x7c, v22
	v_and_b32_e32 v3, 3, v22
	s_delay_alu instid0(VALU_DEP_2) | instskip(SKIP_1) | instid1(SALU_CYCLE_1)
	v_cmp_ne_u32_e32 vcc_lo, 0x7c, v2
                                        ; implicit-def: $vgpr2
	s_and_saveexec_b32 s13, vcc_lo
	s_xor_b32 s13, exec_lo, s13
	s_cbranch_execz .LBB6_3644
; %bb.3641:                             ;   in Loop: Header=BB6_3506 Depth=4
	v_and_b32_e32 v2, 0xff, v22
	s_mov_b32 s74, exec_lo
	s_delay_alu instid0(VALU_DEP_1) | instskip(NEXT) | instid1(VALU_DEP_1)
	v_bfe_u32 v2, v2, 2, 5
	v_cmpx_eq_u32_e32 0, v2
	s_cbranch_execz .LBB6_3643
; %bb.3642:                             ;   in Loop: Header=BB6_3506 Depth=4
	v_clz_i32_u32_e32 v2, v3
	s_delay_alu instid0(VALU_DEP_1) | instskip(SKIP_1) | instid1(VALU_DEP_2)
	v_min_u32_e32 v2, 32, v2
	v_mov_b32_e32 v23, v21
	v_subrev_nc_u32_e32 v3, 29, v2
	v_sub_nc_u32_e32 v2, 30, v2
	s_delay_alu instid0(VALU_DEP_2) | instskip(NEXT) | instid1(VALU_DEP_1)
	v_lshlrev_b64_e32 v[14:15], v3, v[22:23]
	v_and_b32_e32 v3, 3, v14
.LBB6_3643:                             ;   in Loop: Header=BB6_3506 Depth=4
	s_or_b32 exec_lo, exec_lo, s74
	v_bfe_i32 v5, v22, 0, 16
                                        ; implicit-def: $vgpr22
	s_delay_alu instid0(VALU_DEP_1) | instskip(NEXT) | instid1(VALU_DEP_1)
	v_and_b32_e32 v5, 0x80000000, v5
	v_lshl_add_u32 v2, v2, 23, v5
	s_delay_alu instid0(VALU_DEP_1) | instskip(NEXT) | instid1(VALU_DEP_1)
	v_lshl_or_b32 v2, v3, 21, v2
                                        ; implicit-def: $vgpr3
	v_add_nc_u32_e32 v2, 0x38000000, v2
.LBB6_3644:                             ;   in Loop: Header=BB6_3506 Depth=4
	s_and_not1_saveexec_b32 s74, s13
; %bb.3645:                             ;   in Loop: Header=BB6_3506 Depth=4
	v_cmp_lt_i16_e64 s13, -1, v22
	v_mov_b32_e32 v2, 0x7f800000
	v_cmp_eq_u32_e32 vcc_lo, 0, v3
	s_delay_alu instid0(VALU_DEP_2) | instskip(NEXT) | instid1(VALU_DEP_1)
	v_cndmask_b32_e64 v2, 0xff800000, v2, s13
	v_cndmask_b32_e32 v2, 0x7f800001, v2, vcc_lo
; %bb.3646:                             ;   in Loop: Header=BB6_3506 Depth=4
	s_or_b32 exec_lo, exec_lo, s74
.LBB6_3647:                             ;   in Loop: Header=BB6_3506 Depth=4
	s_delay_alu instid0(SALU_CYCLE_1)
	s_or_b32 exec_lo, exec_lo, s73
.LBB6_3648:                             ;   in Loop: Header=BB6_3506 Depth=4
	s_delay_alu instid0(SALU_CYCLE_1) | instskip(NEXT) | instid1(SALU_CYCLE_1)
	s_or_b32 exec_lo, exec_lo, s72
	s_mov_b32 s72, exec_lo
	v_cmpx_ne_u16_e32 0, v64
	s_cbranch_execz .LBB6_3658
; %bb.3649:                             ;   in Loop: Header=BB6_3506 Depth=4
	v_bfrev_b32_e32 v1, 1
	s_mov_b32 s73, exec_lo
	v_cmpx_ne_u16_e32 0xff80, v64
	s_cbranch_execz .LBB6_3657
; %bb.3650:                             ;   in Loop: Header=BB6_3506 Depth=4
	v_and_b32_e32 v1, 0x7c, v64
	v_and_b32_e32 v3, 3, v64
	s_delay_alu instid0(VALU_DEP_2) | instskip(SKIP_1) | instid1(SALU_CYCLE_1)
	v_cmp_ne_u32_e32 vcc_lo, 0x7c, v1
                                        ; implicit-def: $vgpr1
	s_and_saveexec_b32 s13, vcc_lo
	s_xor_b32 s13, exec_lo, s13
	s_cbranch_execz .LBB6_3654
; %bb.3651:                             ;   in Loop: Header=BB6_3506 Depth=4
	v_and_b32_e32 v1, 0xff, v64
	s_mov_b32 s74, exec_lo
	s_delay_alu instid0(VALU_DEP_1) | instskip(NEXT) | instid1(VALU_DEP_1)
	v_bfe_u32 v1, v1, 2, 5
	v_cmpx_eq_u32_e32 0, v1
	s_cbranch_execz .LBB6_3653
; %bb.3652:                             ;   in Loop: Header=BB6_3506 Depth=4
	v_clz_i32_u32_e32 v1, v3
	s_delay_alu instid0(VALU_DEP_1) | instskip(SKIP_1) | instid1(VALU_DEP_2)
	v_min_u32_e32 v1, 32, v1
	v_mov_b32_e32 v65, v21
	v_subrev_nc_u32_e32 v3, 29, v1
	v_sub_nc_u32_e32 v1, 30, v1
	s_delay_alu instid0(VALU_DEP_2) | instskip(NEXT) | instid1(VALU_DEP_1)
	v_lshlrev_b64_e32 v[14:15], v3, v[64:65]
	v_and_b32_e32 v3, 3, v14
.LBB6_3653:                             ;   in Loop: Header=BB6_3506 Depth=4
	s_or_b32 exec_lo, exec_lo, s74
	v_bfe_i32 v5, v64, 0, 16
                                        ; implicit-def: $vgpr64
	s_delay_alu instid0(VALU_DEP_1) | instskip(NEXT) | instid1(VALU_DEP_1)
	v_and_b32_e32 v5, 0x80000000, v5
	v_lshl_add_u32 v1, v1, 23, v5
	s_delay_alu instid0(VALU_DEP_1) | instskip(NEXT) | instid1(VALU_DEP_1)
	v_lshl_or_b32 v1, v3, 21, v1
                                        ; implicit-def: $vgpr3
	v_add_nc_u32_e32 v1, 0x38000000, v1
.LBB6_3654:                             ;   in Loop: Header=BB6_3506 Depth=4
	s_and_not1_saveexec_b32 s74, s13
; %bb.3655:                             ;   in Loop: Header=BB6_3506 Depth=4
	v_cmp_lt_i16_e64 s13, -1, v64
	v_mov_b32_e32 v1, 0x7f800000
	v_cmp_eq_u32_e32 vcc_lo, 0, v3
	s_delay_alu instid0(VALU_DEP_2) | instskip(NEXT) | instid1(VALU_DEP_1)
	v_cndmask_b32_e64 v1, 0xff800000, v1, s13
	v_cndmask_b32_e32 v1, 0x7f800001, v1, vcc_lo
; %bb.3656:                             ;   in Loop: Header=BB6_3506 Depth=4
	s_or_b32 exec_lo, exec_lo, s74
.LBB6_3657:                             ;   in Loop: Header=BB6_3506 Depth=4
	s_delay_alu instid0(SALU_CYCLE_1)
	s_or_b32 exec_lo, exec_lo, s73
.LBB6_3658:                             ;   in Loop: Header=BB6_3506 Depth=4
	s_delay_alu instid0(SALU_CYCLE_1) | instskip(NEXT) | instid1(VALU_DEP_1)
	s_or_b32 exec_lo, exec_lo, s72
	v_dual_mul_f32 v2, v2, v1 :: v_dual_mov_b32 v15, v21
                                        ; implicit-def: $vgpr19
	s_mov_b32 s13, exec_lo
	s_delay_alu instid0(VALU_DEP_1) | instskip(SKIP_1) | instid1(VALU_DEP_2)
	v_and_b32_e32 v14, 0x7f800000, v2
	v_and_b32_e32 v20, 0x7fffff, v2
	v_cmpx_ne_u64_e32 0x7f800000, v[14:15]
	s_xor_b32 s72, exec_lo, s13
	s_cbranch_execz .LBB6_3676
; %bb.3659:                             ;   in Loop: Header=BB6_3506 Depth=4
	v_dual_mov_b32 v15, v21 :: v_dual_lshrrev_b32 v1, 24, v2
	v_and_b32_e32 v14, 0x7fffffff, v2
                                        ; implicit-def: $vgpr19
	s_mov_b32 s13, exec_lo
	s_delay_alu instid0(VALU_DEP_2) | instskip(NEXT) | instid1(VALU_DEP_2)
	v_and_b32_e32 v1, 0x80, v1
	v_cmpx_gt_u64_e32 0x47600001, v[14:15]
	s_xor_b32 s73, exec_lo, s13
	s_cbranch_execz .LBB6_3673
; %bb.3660:                             ;   in Loop: Header=BB6_3506 Depth=4
	v_mov_b32_e32 v19, 0
	s_mov_b32 s74, exec_lo
	v_cmpx_ne_u32_e32 0, v2
	s_cbranch_execz .LBB6_3672
; %bb.3661:                             ;   in Loop: Header=BB6_3506 Depth=4
	v_bfe_u32 v5, v2, 23, 8
	v_or_b32_e32 v3, 0x800000, v20
	s_delay_alu instid0(VALU_DEP_2) | instskip(SKIP_2) | instid1(VALU_DEP_2)
	v_cmp_gt_u32_e64 s13, 0x72, v5
	v_sub_nc_u32_e32 v2, 0x71, v5
	v_cmp_eq_u32_e32 vcc_lo, 0, v5
	v_cndmask_b32_e64 v2, 0, v2, s13
	s_delay_alu instid0(VALU_DEP_1) | instskip(SKIP_1) | instid1(VALU_DEP_2)
	v_cndmask_b32_e64 v7, v2, 0x70, vcc_lo
	v_dual_cndmask_b32 v2, v3, v20 :: v_dual_mov_b32 v3, v21
	v_dual_add_nc_u32 v14, 21, v7 :: v_dual_add_nc_u32 v19, 20, v7
	s_delay_alu instid0(VALU_DEP_1) | instskip(NEXT) | instid1(VALU_DEP_2)
	v_lshlrev_b64_e64 v[14:15], v14, -1
	v_lshlrev_b64_e64 v[22:23], v19, 1
	s_delay_alu instid0(VALU_DEP_2) | instskip(SKIP_1) | instid1(VALU_DEP_4)
	v_bfi_b32 v14, v14, 0, v2
	v_lshrrev_b64 v[2:3], v7, v[2:3]
	v_bfi_b32 v15, v15, 0, 0
	s_delay_alu instid0(VALU_DEP_1) | instskip(NEXT) | instid1(VALU_DEP_3)
	v_cmp_eq_u64_e64 s13, v[14:15], v[22:23]
	v_mov_b64_e32 v[14:15], v[2:3]
	s_and_saveexec_b32 s75, s13
; %bb.3662:                             ;   in Loop: Header=BB6_3506 Depth=4
	v_bfe_u32 v14, v2, 21, 1
	v_mov_b32_e32 v15, v21
	s_delay_alu instid0(VALU_DEP_1) | instskip(NEXT) | instid1(VALU_DEP_1)
	v_add_nc_u64_e32 v[14:15], v[2:3], v[14:15]
	v_add_nc_u64_e32 v[14:15], -1, v[14:15]
; %bb.3663:                             ;   in Loop: Header=BB6_3506 Depth=4
	s_or_b32 exec_lo, exec_lo, s75
	v_add_nc_u32_e32 v3, 0xffffff81, v5
	v_lshrrev_b32_e32 v5, 23, v2
	s_mov_b32 s13, exec_lo
	s_delay_alu instid0(VALU_DEP_2) | instskip(NEXT) | instid1(VALU_DEP_1)
	v_cndmask_b32_e64 v3, v3, 0xffffff82, vcc_lo
	v_add3_u32 v15, v7, v3, v5
	v_and_b32_e32 v3, 0x1fffff, v14
                                        ; implicit-def: $vgpr5
	s_delay_alu instid0(VALU_DEP_1) | instskip(NEXT) | instid1(VALU_DEP_1)
	v_dual_add_nc_u32 v7, 14, v15 :: v_dual_add_nc_u32 v20, v3, v2
                                        ; implicit-def: $vgpr2_vgpr3
	v_cmpx_ne_u32_e32 0, v7
	s_xor_b32 s13, exec_lo, s13
; %bb.3664:                             ;   in Loop: Header=BB6_3506 Depth=4
	s_delay_alu instid0(VALU_DEP_2) | instskip(SKIP_1) | instid1(VALU_DEP_1)
	v_cmp_lt_u64_e32 vcc_lo, 0xffffff, v[20:21]
	v_add_nc_u32_e32 v2, 15, v15
	v_cndmask_b32_e32 v5, v7, v2, vcc_lo
	v_cndmask_b32_e64 v2, 0, 1, vcc_lo
	s_delay_alu instid0(VALU_DEP_1)
	v_lshrrev_b64 v[2:3], v2, v[20:21]
; %bb.3665:                             ;   in Loop: Header=BB6_3506 Depth=4
	s_and_not1_saveexec_b32 s13, s13
; %bb.3666:                             ;   in Loop: Header=BB6_3506 Depth=4
	v_mov_b64_e32 v[2:3], v[20:21]
	v_bfe_u32 v5, v20, 23, 1
; %bb.3667:                             ;   in Loop: Header=BB6_3506 Depth=4
	s_or_b32 exec_lo, exec_lo, s13
	s_delay_alu instid0(VALU_DEP_2) | instskip(NEXT) | instid1(VALU_DEP_2)
	v_lshrrev_b64 v[2:3], 21, v[2:3]
	v_cmp_gt_i32_e32 vcc_lo, 32, v5
	v_cmp_ne_u32_e64 s13, 0, v5
                                        ; implicit-def: $vgpr19
	s_delay_alu instid0(VALU_DEP_3) | instskip(NEXT) | instid1(VALU_DEP_1)
	v_dual_cndmask_b32 v3, 0, v3 :: v_dual_cndmask_b32 v2, 3, v2
	v_cmp_ne_u64_e32 vcc_lo, 0, v[2:3]
	s_or_b32 s13, s13, vcc_lo
	s_delay_alu instid0(SALU_CYCLE_1) | instskip(NEXT) | instid1(SALU_CYCLE_1)
	s_and_saveexec_b32 s75, s13
	s_xor_b32 s13, exec_lo, s75
; %bb.3668:                             ;   in Loop: Header=BB6_3506 Depth=4
	v_min_i32_e32 v3, 31, v5
	s_delay_alu instid0(VALU_DEP_1) | instskip(NEXT) | instid1(VALU_DEP_1)
	v_lshl_or_b32 v1, v3, 2, v1
	v_and_or_b32 v19, v2, 3, v1
                                        ; implicit-def: $vgpr1
; %bb.3669:                             ;   in Loop: Header=BB6_3506 Depth=4
	s_and_not1_saveexec_b32 s13, s13
; %bb.3670:                             ;   in Loop: Header=BB6_3506 Depth=4
	v_mov_b32_e32 v19, v1
; %bb.3671:                             ;   in Loop: Header=BB6_3506 Depth=4
	s_or_b32 exec_lo, exec_lo, s13
.LBB6_3672:                             ;   in Loop: Header=BB6_3506 Depth=4
	s_delay_alu instid0(SALU_CYCLE_1)
	s_or_b32 exec_lo, exec_lo, s74
                                        ; implicit-def: $vgpr1
.LBB6_3673:                             ;   in Loop: Header=BB6_3506 Depth=4
	s_and_not1_saveexec_b32 s13, s73
; %bb.3674:                             ;   in Loop: Header=BB6_3506 Depth=4
	v_or_b32_e32 v19, 0x7b, v1
; %bb.3675:                             ;   in Loop: Header=BB6_3506 Depth=4
	s_or_b32 exec_lo, exec_lo, s13
                                        ; implicit-def: $vgpr2
.LBB6_3676:                             ;   in Loop: Header=BB6_3506 Depth=4
	s_and_not1_saveexec_b32 s13, s72
	s_cbranch_execz .LBB6_3682
; %bb.3677:                             ;   in Loop: Header=BB6_3506 Depth=4
	s_mov_b32 s72, exec_lo
                                        ; implicit-def: $vgpr19
	v_cmpx_ne_u64_e32 0, v[20:21]
	s_xor_b32 s72, exec_lo, s72
; %bb.3678:                             ;   in Loop: Header=BB6_3506 Depth=4
	v_lshrrev_b32_e32 v1, 24, v2
                                        ; implicit-def: $vgpr2
	s_delay_alu instid0(VALU_DEP_1)
	v_or_b32_e32 v19, 0x7f, v1
; %bb.3679:                             ;   in Loop: Header=BB6_3506 Depth=4
	s_and_not1_saveexec_b32 s72, s72
; %bb.3680:                             ;   in Loop: Header=BB6_3506 Depth=4
	v_cmp_lt_i32_e32 vcc_lo, -1, v2
	v_cndmask_b32_e64 v19, -4, 0x7c, vcc_lo
; %bb.3681:                             ;   in Loop: Header=BB6_3506 Depth=4
	s_or_b32 exec_lo, exec_lo, s72
.LBB6_3682:                             ;   in Loop: Header=BB6_3506 Depth=4
	s_delay_alu instid0(SALU_CYCLE_1)
	s_or_b32 exec_lo, exec_lo, s13
	v_dual_mov_b32 v1, 0 :: v_dual_mov_b32 v2, 0
	s_mov_b32 s72, exec_lo
	v_cmpx_ne_u16_e32 0, v74
	s_cbranch_execz .LBB6_3692
; %bb.3683:                             ;   in Loop: Header=BB6_3506 Depth=4
	v_bfrev_b32_e32 v2, 1
	s_mov_b32 s73, exec_lo
	v_cmpx_ne_u16_e32 0xff80, v74
	s_cbranch_execz .LBB6_3691
; %bb.3684:                             ;   in Loop: Header=BB6_3506 Depth=4
	v_and_b32_e32 v2, 0x7c, v74
	v_and_b32_e32 v3, 3, v74
	s_delay_alu instid0(VALU_DEP_2) | instskip(SKIP_1) | instid1(SALU_CYCLE_1)
	v_cmp_ne_u32_e32 vcc_lo, 0x7c, v2
                                        ; implicit-def: $vgpr2
	s_and_saveexec_b32 s13, vcc_lo
	s_xor_b32 s13, exec_lo, s13
	s_cbranch_execz .LBB6_3688
; %bb.3685:                             ;   in Loop: Header=BB6_3506 Depth=4
	v_and_b32_e32 v2, 0xff, v74
	s_mov_b32 s74, exec_lo
	s_delay_alu instid0(VALU_DEP_1) | instskip(NEXT) | instid1(VALU_DEP_1)
	v_bfe_u32 v2, v2, 2, 5
	v_cmpx_eq_u32_e32 0, v2
	s_cbranch_execz .LBB6_3687
; %bb.3686:                             ;   in Loop: Header=BB6_3506 Depth=4
	v_clz_i32_u32_e32 v2, v3
	s_delay_alu instid0(VALU_DEP_1) | instskip(SKIP_1) | instid1(VALU_DEP_2)
	v_min_u32_e32 v2, 32, v2
	v_mov_b32_e32 v75, v21
	v_subrev_nc_u32_e32 v3, 29, v2
	v_sub_nc_u32_e32 v2, 30, v2
	s_delay_alu instid0(VALU_DEP_2) | instskip(NEXT) | instid1(VALU_DEP_1)
	v_lshlrev_b64_e32 v[14:15], v3, v[74:75]
	v_and_b32_e32 v3, 3, v14
.LBB6_3687:                             ;   in Loop: Header=BB6_3506 Depth=4
	s_or_b32 exec_lo, exec_lo, s74
	v_bfe_i32 v5, v74, 0, 16
                                        ; implicit-def: $vgpr74
	s_delay_alu instid0(VALU_DEP_1) | instskip(NEXT) | instid1(VALU_DEP_1)
	v_and_b32_e32 v5, 0x80000000, v5
	v_lshl_add_u32 v2, v2, 23, v5
	s_delay_alu instid0(VALU_DEP_1) | instskip(NEXT) | instid1(VALU_DEP_1)
	v_lshl_or_b32 v2, v3, 21, v2
                                        ; implicit-def: $vgpr3
	v_add_nc_u32_e32 v2, 0x38000000, v2
.LBB6_3688:                             ;   in Loop: Header=BB6_3506 Depth=4
	s_and_not1_saveexec_b32 s74, s13
; %bb.3689:                             ;   in Loop: Header=BB6_3506 Depth=4
	v_cmp_lt_i16_e64 s13, -1, v74
	v_mov_b32_e32 v2, 0x7f800000
	v_cmp_eq_u32_e32 vcc_lo, 0, v3
	s_delay_alu instid0(VALU_DEP_2) | instskip(NEXT) | instid1(VALU_DEP_1)
	v_cndmask_b32_e64 v2, 0xff800000, v2, s13
	v_cndmask_b32_e32 v2, 0x7f800001, v2, vcc_lo
; %bb.3690:                             ;   in Loop: Header=BB6_3506 Depth=4
	s_or_b32 exec_lo, exec_lo, s74
.LBB6_3691:                             ;   in Loop: Header=BB6_3506 Depth=4
	s_delay_alu instid0(SALU_CYCLE_1)
	s_or_b32 exec_lo, exec_lo, s73
.LBB6_3692:                             ;   in Loop: Header=BB6_3506 Depth=4
	s_delay_alu instid0(SALU_CYCLE_1) | instskip(NEXT) | instid1(SALU_CYCLE_1)
	s_or_b32 exec_lo, exec_lo, s72
	s_mov_b32 s72, exec_lo
	v_cmpx_ne_u16_e32 0, v112
	s_cbranch_execz .LBB6_3702
; %bb.3693:                             ;   in Loop: Header=BB6_3506 Depth=4
	v_bfrev_b32_e32 v1, 1
	s_mov_b32 s73, exec_lo
	v_cmpx_ne_u16_e32 0xff80, v112
	s_cbranch_execz .LBB6_3701
; %bb.3694:                             ;   in Loop: Header=BB6_3506 Depth=4
	v_and_b32_e32 v1, 0x7c, v112
	v_and_b32_e32 v3, 3, v112
	s_delay_alu instid0(VALU_DEP_2) | instskip(SKIP_1) | instid1(SALU_CYCLE_1)
	v_cmp_ne_u32_e32 vcc_lo, 0x7c, v1
                                        ; implicit-def: $vgpr1
	s_and_saveexec_b32 s13, vcc_lo
	s_xor_b32 s13, exec_lo, s13
	s_cbranch_execz .LBB6_3698
; %bb.3695:                             ;   in Loop: Header=BB6_3506 Depth=4
	v_and_b32_e32 v1, 0xff, v112
	s_mov_b32 s74, exec_lo
	s_delay_alu instid0(VALU_DEP_1) | instskip(NEXT) | instid1(VALU_DEP_1)
	v_bfe_u32 v1, v1, 2, 5
	v_cmpx_eq_u32_e32 0, v1
	s_cbranch_execz .LBB6_3697
; %bb.3696:                             ;   in Loop: Header=BB6_3506 Depth=4
	v_clz_i32_u32_e32 v1, v3
	s_delay_alu instid0(VALU_DEP_1) | instskip(SKIP_1) | instid1(VALU_DEP_2)
	v_min_u32_e32 v1, 32, v1
	v_mov_b32_e32 v113, v21
	v_subrev_nc_u32_e32 v3, 29, v1
	v_sub_nc_u32_e32 v1, 30, v1
	s_delay_alu instid0(VALU_DEP_2) | instskip(NEXT) | instid1(VALU_DEP_1)
	v_lshlrev_b64_e32 v[14:15], v3, v[112:113]
	v_and_b32_e32 v3, 3, v14
.LBB6_3697:                             ;   in Loop: Header=BB6_3506 Depth=4
	s_or_b32 exec_lo, exec_lo, s74
	v_bfe_i32 v5, v112, 0, 16
                                        ; implicit-def: $vgpr112
	s_delay_alu instid0(VALU_DEP_1) | instskip(NEXT) | instid1(VALU_DEP_1)
	v_and_b32_e32 v5, 0x80000000, v5
	v_lshl_add_u32 v1, v1, 23, v5
	s_delay_alu instid0(VALU_DEP_1) | instskip(NEXT) | instid1(VALU_DEP_1)
	v_lshl_or_b32 v1, v3, 21, v1
                                        ; implicit-def: $vgpr3
	v_add_nc_u32_e32 v1, 0x38000000, v1
.LBB6_3698:                             ;   in Loop: Header=BB6_3506 Depth=4
	s_and_not1_saveexec_b32 s74, s13
; %bb.3699:                             ;   in Loop: Header=BB6_3506 Depth=4
	v_cmp_lt_i16_e64 s13, -1, v112
	v_mov_b32_e32 v1, 0x7f800000
	v_cmp_eq_u32_e32 vcc_lo, 0, v3
	s_delay_alu instid0(VALU_DEP_2) | instskip(NEXT) | instid1(VALU_DEP_1)
	v_cndmask_b32_e64 v1, 0xff800000, v1, s13
	v_cndmask_b32_e32 v1, 0x7f800001, v1, vcc_lo
; %bb.3700:                             ;   in Loop: Header=BB6_3506 Depth=4
	s_or_b32 exec_lo, exec_lo, s74
.LBB6_3701:                             ;   in Loop: Header=BB6_3506 Depth=4
	s_delay_alu instid0(SALU_CYCLE_1)
	s_or_b32 exec_lo, exec_lo, s73
.LBB6_3702:                             ;   in Loop: Header=BB6_3506 Depth=4
	s_delay_alu instid0(SALU_CYCLE_1) | instskip(NEXT) | instid1(VALU_DEP_1)
	s_or_b32 exec_lo, exec_lo, s72
	v_dual_mul_f32 v2, v2, v1 :: v_dual_mov_b32 v15, v21
                                        ; implicit-def: $vgpr22
	s_mov_b32 s13, exec_lo
	s_delay_alu instid0(VALU_DEP_1) | instskip(SKIP_1) | instid1(VALU_DEP_2)
	v_and_b32_e32 v14, 0x7f800000, v2
	v_and_b32_e32 v20, 0x7fffff, v2
	v_cmpx_ne_u64_e32 0x7f800000, v[14:15]
	s_xor_b32 s72, exec_lo, s13
	s_cbranch_execz .LBB6_3720
; %bb.3703:                             ;   in Loop: Header=BB6_3506 Depth=4
	v_dual_mov_b32 v15, v21 :: v_dual_lshrrev_b32 v1, 24, v2
	v_and_b32_e32 v14, 0x7fffffff, v2
                                        ; implicit-def: $vgpr22
	s_mov_b32 s13, exec_lo
	s_delay_alu instid0(VALU_DEP_2) | instskip(NEXT) | instid1(VALU_DEP_2)
	v_and_b32_e32 v1, 0x80, v1
	v_cmpx_gt_u64_e32 0x47600001, v[14:15]
	s_xor_b32 s73, exec_lo, s13
	s_cbranch_execz .LBB6_3717
; %bb.3704:                             ;   in Loop: Header=BB6_3506 Depth=4
	v_mov_b32_e32 v22, 0
	s_mov_b32 s74, exec_lo
	v_cmpx_ne_u32_e32 0, v2
	s_cbranch_execz .LBB6_3716
; %bb.3705:                             ;   in Loop: Header=BB6_3506 Depth=4
	v_bfe_u32 v5, v2, 23, 8
	v_or_b32_e32 v3, 0x800000, v20
	s_delay_alu instid0(VALU_DEP_2) | instskip(SKIP_2) | instid1(VALU_DEP_2)
	v_cmp_gt_u32_e64 s13, 0x72, v5
	v_sub_nc_u32_e32 v2, 0x71, v5
	v_cmp_eq_u32_e32 vcc_lo, 0, v5
	v_cndmask_b32_e64 v2, 0, v2, s13
	s_delay_alu instid0(VALU_DEP_1) | instskip(SKIP_1) | instid1(VALU_DEP_2)
	v_cndmask_b32_e64 v7, v2, 0x70, vcc_lo
	v_dual_cndmask_b32 v2, v3, v20 :: v_dual_mov_b32 v3, v21
	v_dual_add_nc_u32 v14, 21, v7 :: v_dual_add_nc_u32 v20, 20, v7
	s_delay_alu instid0(VALU_DEP_1) | instskip(NEXT) | instid1(VALU_DEP_2)
	v_lshlrev_b64_e64 v[14:15], v14, -1
	v_lshlrev_b64_e64 v[22:23], v20, 1
	s_delay_alu instid0(VALU_DEP_2) | instskip(SKIP_1) | instid1(VALU_DEP_4)
	v_bfi_b32 v14, v14, 0, v2
	v_lshrrev_b64 v[2:3], v7, v[2:3]
	v_bfi_b32 v15, v15, 0, 0
	s_delay_alu instid0(VALU_DEP_1) | instskip(NEXT) | instid1(VALU_DEP_3)
	v_cmp_eq_u64_e64 s13, v[14:15], v[22:23]
	v_mov_b64_e32 v[14:15], v[2:3]
	s_and_saveexec_b32 s75, s13
; %bb.3706:                             ;   in Loop: Header=BB6_3506 Depth=4
	v_bfe_u32 v14, v2, 21, 1
	v_mov_b32_e32 v15, v21
	s_delay_alu instid0(VALU_DEP_1) | instskip(NEXT) | instid1(VALU_DEP_1)
	v_add_nc_u64_e32 v[14:15], v[2:3], v[14:15]
	v_add_nc_u64_e32 v[14:15], -1, v[14:15]
; %bb.3707:                             ;   in Loop: Header=BB6_3506 Depth=4
	s_or_b32 exec_lo, exec_lo, s75
	v_add_nc_u32_e32 v3, 0xffffff81, v5
	v_lshrrev_b32_e32 v5, 23, v2
	s_mov_b32 s13, exec_lo
	s_delay_alu instid0(VALU_DEP_2) | instskip(NEXT) | instid1(VALU_DEP_1)
	v_cndmask_b32_e64 v3, v3, 0xffffff82, vcc_lo
	v_add3_u32 v15, v7, v3, v5
	v_and_b32_e32 v3, 0x1fffff, v14
                                        ; implicit-def: $vgpr5
	s_delay_alu instid0(VALU_DEP_1) | instskip(NEXT) | instid1(VALU_DEP_1)
	v_dual_add_nc_u32 v7, 14, v15 :: v_dual_add_nc_u32 v20, v3, v2
                                        ; implicit-def: $vgpr2_vgpr3
	v_cmpx_ne_u32_e32 0, v7
	s_xor_b32 s13, exec_lo, s13
; %bb.3708:                             ;   in Loop: Header=BB6_3506 Depth=4
	s_delay_alu instid0(VALU_DEP_2) | instskip(SKIP_1) | instid1(VALU_DEP_1)
	v_cmp_lt_u64_e32 vcc_lo, 0xffffff, v[20:21]
	v_add_nc_u32_e32 v2, 15, v15
	v_cndmask_b32_e32 v5, v7, v2, vcc_lo
	v_cndmask_b32_e64 v2, 0, 1, vcc_lo
	s_delay_alu instid0(VALU_DEP_1)
	v_lshrrev_b64 v[2:3], v2, v[20:21]
; %bb.3709:                             ;   in Loop: Header=BB6_3506 Depth=4
	s_and_not1_saveexec_b32 s13, s13
; %bb.3710:                             ;   in Loop: Header=BB6_3506 Depth=4
	v_mov_b64_e32 v[2:3], v[20:21]
	v_bfe_u32 v5, v20, 23, 1
; %bb.3711:                             ;   in Loop: Header=BB6_3506 Depth=4
	s_or_b32 exec_lo, exec_lo, s13
	s_delay_alu instid0(VALU_DEP_2) | instskip(NEXT) | instid1(VALU_DEP_2)
	v_lshrrev_b64 v[2:3], 21, v[2:3]
	v_cmp_gt_i32_e32 vcc_lo, 32, v5
	v_cmp_ne_u32_e64 s13, 0, v5
                                        ; implicit-def: $vgpr22
	s_delay_alu instid0(VALU_DEP_3) | instskip(NEXT) | instid1(VALU_DEP_1)
	v_dual_cndmask_b32 v3, 0, v3 :: v_dual_cndmask_b32 v2, 3, v2
	v_cmp_ne_u64_e32 vcc_lo, 0, v[2:3]
	s_or_b32 s13, s13, vcc_lo
	s_delay_alu instid0(SALU_CYCLE_1) | instskip(NEXT) | instid1(SALU_CYCLE_1)
	s_and_saveexec_b32 s75, s13
	s_xor_b32 s13, exec_lo, s75
; %bb.3712:                             ;   in Loop: Header=BB6_3506 Depth=4
	v_min_i32_e32 v3, 31, v5
	s_delay_alu instid0(VALU_DEP_1) | instskip(NEXT) | instid1(VALU_DEP_1)
	v_lshl_or_b32 v1, v3, 2, v1
	v_and_or_b32 v22, v2, 3, v1
                                        ; implicit-def: $vgpr1
; %bb.3713:                             ;   in Loop: Header=BB6_3506 Depth=4
	s_and_not1_saveexec_b32 s13, s13
; %bb.3714:                             ;   in Loop: Header=BB6_3506 Depth=4
	v_mov_b32_e32 v22, v1
; %bb.3715:                             ;   in Loop: Header=BB6_3506 Depth=4
	s_or_b32 exec_lo, exec_lo, s13
.LBB6_3716:                             ;   in Loop: Header=BB6_3506 Depth=4
	s_delay_alu instid0(SALU_CYCLE_1)
	s_or_b32 exec_lo, exec_lo, s74
                                        ; implicit-def: $vgpr1
.LBB6_3717:                             ;   in Loop: Header=BB6_3506 Depth=4
	s_and_not1_saveexec_b32 s13, s73
; %bb.3718:                             ;   in Loop: Header=BB6_3506 Depth=4
	v_or_b32_e32 v22, 0x7b, v1
; %bb.3719:                             ;   in Loop: Header=BB6_3506 Depth=4
	s_or_b32 exec_lo, exec_lo, s13
                                        ; implicit-def: $vgpr2
.LBB6_3720:                             ;   in Loop: Header=BB6_3506 Depth=4
	s_and_not1_saveexec_b32 s13, s72
	s_cbranch_execz .LBB6_3726
; %bb.3721:                             ;   in Loop: Header=BB6_3506 Depth=4
	s_mov_b32 s72, exec_lo
                                        ; implicit-def: $vgpr22
	v_cmpx_ne_u64_e32 0, v[20:21]
	s_xor_b32 s72, exec_lo, s72
; %bb.3722:                             ;   in Loop: Header=BB6_3506 Depth=4
	v_lshrrev_b32_e32 v1, 24, v2
                                        ; implicit-def: $vgpr2
	s_delay_alu instid0(VALU_DEP_1)
	v_or_b32_e32 v22, 0x7f, v1
; %bb.3723:                             ;   in Loop: Header=BB6_3506 Depth=4
	s_and_not1_saveexec_b32 s72, s72
; %bb.3724:                             ;   in Loop: Header=BB6_3506 Depth=4
	v_cmp_lt_i32_e32 vcc_lo, -1, v2
	v_cndmask_b32_e64 v22, -4, 0x7c, vcc_lo
; %bb.3725:                             ;   in Loop: Header=BB6_3506 Depth=4
	s_or_b32 exec_lo, exec_lo, s72
.LBB6_3726:                             ;   in Loop: Header=BB6_3506 Depth=4
	s_delay_alu instid0(SALU_CYCLE_1)
	s_or_b32 exec_lo, exec_lo, s13
	v_dual_mov_b32 v1, 0 :: v_dual_mov_b32 v2, 0
	s_mov_b32 s72, exec_lo
	v_cmpx_ne_u16_e32 0, v80
	s_cbranch_execz .LBB6_3736
; %bb.3727:                             ;   in Loop: Header=BB6_3506 Depth=4
	v_bfrev_b32_e32 v2, 1
	s_mov_b32 s73, exec_lo
	v_cmpx_ne_u16_e32 0xff80, v80
	s_cbranch_execz .LBB6_3735
; %bb.3728:                             ;   in Loop: Header=BB6_3506 Depth=4
	v_and_b32_e32 v2, 0x7c, v80
	v_and_b32_e32 v3, 3, v80
	s_delay_alu instid0(VALU_DEP_2) | instskip(SKIP_1) | instid1(SALU_CYCLE_1)
	v_cmp_ne_u32_e32 vcc_lo, 0x7c, v2
                                        ; implicit-def: $vgpr2
	s_and_saveexec_b32 s13, vcc_lo
	s_xor_b32 s13, exec_lo, s13
	s_cbranch_execz .LBB6_3732
; %bb.3729:                             ;   in Loop: Header=BB6_3506 Depth=4
	v_and_b32_e32 v2, 0xff, v80
	s_mov_b32 s74, exec_lo
	s_delay_alu instid0(VALU_DEP_1) | instskip(NEXT) | instid1(VALU_DEP_1)
	v_bfe_u32 v2, v2, 2, 5
	v_cmpx_eq_u32_e32 0, v2
	s_cbranch_execz .LBB6_3731
; %bb.3730:                             ;   in Loop: Header=BB6_3506 Depth=4
	v_clz_i32_u32_e32 v2, v3
	s_delay_alu instid0(VALU_DEP_1) | instskip(SKIP_1) | instid1(VALU_DEP_2)
	v_min_u32_e32 v2, 32, v2
	v_mov_b32_e32 v81, v21
	v_subrev_nc_u32_e32 v3, 29, v2
	v_sub_nc_u32_e32 v2, 30, v2
	s_delay_alu instid0(VALU_DEP_2) | instskip(NEXT) | instid1(VALU_DEP_1)
	v_lshlrev_b64_e32 v[14:15], v3, v[80:81]
	v_and_b32_e32 v3, 3, v14
.LBB6_3731:                             ;   in Loop: Header=BB6_3506 Depth=4
	s_or_b32 exec_lo, exec_lo, s74
	v_bfe_i32 v5, v80, 0, 16
                                        ; implicit-def: $vgpr80
	s_delay_alu instid0(VALU_DEP_1) | instskip(NEXT) | instid1(VALU_DEP_1)
	v_and_b32_e32 v5, 0x80000000, v5
	v_lshl_add_u32 v2, v2, 23, v5
	s_delay_alu instid0(VALU_DEP_1) | instskip(NEXT) | instid1(VALU_DEP_1)
	v_lshl_or_b32 v2, v3, 21, v2
                                        ; implicit-def: $vgpr3
	v_add_nc_u32_e32 v2, 0x38000000, v2
.LBB6_3732:                             ;   in Loop: Header=BB6_3506 Depth=4
	s_and_not1_saveexec_b32 s74, s13
; %bb.3733:                             ;   in Loop: Header=BB6_3506 Depth=4
	v_cmp_lt_i16_e64 s13, -1, v80
	v_mov_b32_e32 v2, 0x7f800000
	v_cmp_eq_u32_e32 vcc_lo, 0, v3
	s_delay_alu instid0(VALU_DEP_2) | instskip(NEXT) | instid1(VALU_DEP_1)
	v_cndmask_b32_e64 v2, 0xff800000, v2, s13
	v_cndmask_b32_e32 v2, 0x7f800001, v2, vcc_lo
; %bb.3734:                             ;   in Loop: Header=BB6_3506 Depth=4
	s_or_b32 exec_lo, exec_lo, s74
.LBB6_3735:                             ;   in Loop: Header=BB6_3506 Depth=4
	s_delay_alu instid0(SALU_CYCLE_1)
	s_or_b32 exec_lo, exec_lo, s73
.LBB6_3736:                             ;   in Loop: Header=BB6_3506 Depth=4
	s_delay_alu instid0(SALU_CYCLE_1) | instskip(NEXT) | instid1(SALU_CYCLE_1)
	s_or_b32 exec_lo, exec_lo, s72
	s_mov_b32 s72, exec_lo
	v_cmpx_ne_u16_e32 0, v84
	s_cbranch_execz .LBB6_3746
; %bb.3737:                             ;   in Loop: Header=BB6_3506 Depth=4
	v_bfrev_b32_e32 v1, 1
	s_mov_b32 s73, exec_lo
	v_cmpx_ne_u16_e32 0xff80, v84
	s_cbranch_execz .LBB6_3745
; %bb.3738:                             ;   in Loop: Header=BB6_3506 Depth=4
	v_and_b32_e32 v1, 0x7c, v84
	v_and_b32_e32 v3, 3, v84
	s_delay_alu instid0(VALU_DEP_2) | instskip(SKIP_1) | instid1(SALU_CYCLE_1)
	v_cmp_ne_u32_e32 vcc_lo, 0x7c, v1
                                        ; implicit-def: $vgpr1
	s_and_saveexec_b32 s13, vcc_lo
	s_xor_b32 s13, exec_lo, s13
	s_cbranch_execz .LBB6_3742
; %bb.3739:                             ;   in Loop: Header=BB6_3506 Depth=4
	v_and_b32_e32 v1, 0xff, v84
	s_mov_b32 s74, exec_lo
	s_delay_alu instid0(VALU_DEP_1) | instskip(NEXT) | instid1(VALU_DEP_1)
	v_bfe_u32 v1, v1, 2, 5
	v_cmpx_eq_u32_e32 0, v1
	s_cbranch_execz .LBB6_3741
; %bb.3740:                             ;   in Loop: Header=BB6_3506 Depth=4
	v_clz_i32_u32_e32 v1, v3
	s_delay_alu instid0(VALU_DEP_1) | instskip(SKIP_1) | instid1(VALU_DEP_2)
	v_min_u32_e32 v1, 32, v1
	v_mov_b32_e32 v85, v21
	v_subrev_nc_u32_e32 v3, 29, v1
	v_sub_nc_u32_e32 v1, 30, v1
	s_delay_alu instid0(VALU_DEP_2) | instskip(NEXT) | instid1(VALU_DEP_1)
	v_lshlrev_b64_e32 v[14:15], v3, v[84:85]
	v_and_b32_e32 v3, 3, v14
.LBB6_3741:                             ;   in Loop: Header=BB6_3506 Depth=4
	s_or_b32 exec_lo, exec_lo, s74
	v_bfe_i32 v5, v84, 0, 16
                                        ; implicit-def: $vgpr84
	s_delay_alu instid0(VALU_DEP_1) | instskip(NEXT) | instid1(VALU_DEP_1)
	v_and_b32_e32 v5, 0x80000000, v5
	v_lshl_add_u32 v1, v1, 23, v5
	s_delay_alu instid0(VALU_DEP_1) | instskip(NEXT) | instid1(VALU_DEP_1)
	v_lshl_or_b32 v1, v3, 21, v1
                                        ; implicit-def: $vgpr3
	v_add_nc_u32_e32 v1, 0x38000000, v1
.LBB6_3742:                             ;   in Loop: Header=BB6_3506 Depth=4
	s_and_not1_saveexec_b32 s74, s13
; %bb.3743:                             ;   in Loop: Header=BB6_3506 Depth=4
	v_cmp_lt_i16_e64 s13, -1, v84
	v_mov_b32_e32 v1, 0x7f800000
	v_cmp_eq_u32_e32 vcc_lo, 0, v3
	s_delay_alu instid0(VALU_DEP_2) | instskip(NEXT) | instid1(VALU_DEP_1)
	v_cndmask_b32_e64 v1, 0xff800000, v1, s13
	v_cndmask_b32_e32 v1, 0x7f800001, v1, vcc_lo
; %bb.3744:                             ;   in Loop: Header=BB6_3506 Depth=4
	s_or_b32 exec_lo, exec_lo, s74
.LBB6_3745:                             ;   in Loop: Header=BB6_3506 Depth=4
	s_delay_alu instid0(SALU_CYCLE_1)
	s_or_b32 exec_lo, exec_lo, s73
.LBB6_3746:                             ;   in Loop: Header=BB6_3506 Depth=4
	s_delay_alu instid0(SALU_CYCLE_1) | instskip(NEXT) | instid1(VALU_DEP_1)
	s_or_b32 exec_lo, exec_lo, s72
	v_dual_mul_f32 v2, v2, v1 :: v_dual_mov_b32 v15, v21
                                        ; implicit-def: $vgpr23
	s_mov_b32 s13, exec_lo
	s_delay_alu instid0(VALU_DEP_1) | instskip(SKIP_1) | instid1(VALU_DEP_2)
	v_and_b32_e32 v14, 0x7f800000, v2
	v_and_b32_e32 v20, 0x7fffff, v2
	v_cmpx_ne_u64_e32 0x7f800000, v[14:15]
	s_xor_b32 s72, exec_lo, s13
	s_cbranch_execz .LBB6_3764
; %bb.3747:                             ;   in Loop: Header=BB6_3506 Depth=4
	v_dual_mov_b32 v15, v21 :: v_dual_lshrrev_b32 v1, 24, v2
	v_and_b32_e32 v14, 0x7fffffff, v2
                                        ; implicit-def: $vgpr23
	s_mov_b32 s13, exec_lo
	s_delay_alu instid0(VALU_DEP_2) | instskip(NEXT) | instid1(VALU_DEP_2)
	v_and_b32_e32 v1, 0x80, v1
	v_cmpx_gt_u64_e32 0x47600001, v[14:15]
	s_xor_b32 s73, exec_lo, s13
	s_cbranch_execz .LBB6_3761
; %bb.3748:                             ;   in Loop: Header=BB6_3506 Depth=4
	v_mov_b32_e32 v23, 0
	s_mov_b32 s74, exec_lo
	v_cmpx_ne_u32_e32 0, v2
	s_cbranch_execz .LBB6_3760
; %bb.3749:                             ;   in Loop: Header=BB6_3506 Depth=4
	v_bfe_u32 v5, v2, 23, 8
	v_or_b32_e32 v3, 0x800000, v20
	s_delay_alu instid0(VALU_DEP_2) | instskip(SKIP_2) | instid1(VALU_DEP_2)
	v_cmp_gt_u32_e64 s13, 0x72, v5
	v_sub_nc_u32_e32 v2, 0x71, v5
	v_cmp_eq_u32_e32 vcc_lo, 0, v5
	v_cndmask_b32_e64 v2, 0, v2, s13
	s_delay_alu instid0(VALU_DEP_1) | instskip(SKIP_1) | instid1(VALU_DEP_2)
	v_cndmask_b32_e64 v7, v2, 0x70, vcc_lo
	v_dual_cndmask_b32 v2, v3, v20 :: v_dual_mov_b32 v3, v21
	v_dual_add_nc_u32 v14, 21, v7 :: v_dual_add_nc_u32 v20, 20, v7
	s_delay_alu instid0(VALU_DEP_1) | instskip(NEXT) | instid1(VALU_DEP_2)
	v_lshlrev_b64_e64 v[14:15], v14, -1
	v_lshlrev_b64_e64 v[24:25], v20, 1
	s_delay_alu instid0(VALU_DEP_2) | instskip(SKIP_1) | instid1(VALU_DEP_4)
	v_bfi_b32 v14, v14, 0, v2
	v_lshrrev_b64 v[2:3], v7, v[2:3]
	v_bfi_b32 v15, v15, 0, 0
	s_delay_alu instid0(VALU_DEP_1) | instskip(NEXT) | instid1(VALU_DEP_3)
	v_cmp_eq_u64_e64 s13, v[14:15], v[24:25]
	v_mov_b64_e32 v[14:15], v[2:3]
	s_and_saveexec_b32 s75, s13
; %bb.3750:                             ;   in Loop: Header=BB6_3506 Depth=4
	v_bfe_u32 v14, v2, 21, 1
	v_mov_b32_e32 v15, v21
	s_delay_alu instid0(VALU_DEP_1) | instskip(NEXT) | instid1(VALU_DEP_1)
	v_add_nc_u64_e32 v[14:15], v[2:3], v[14:15]
	v_add_nc_u64_e32 v[14:15], -1, v[14:15]
; %bb.3751:                             ;   in Loop: Header=BB6_3506 Depth=4
	s_or_b32 exec_lo, exec_lo, s75
	v_add_nc_u32_e32 v3, 0xffffff81, v5
	v_lshrrev_b32_e32 v5, 23, v2
	s_mov_b32 s13, exec_lo
	s_delay_alu instid0(VALU_DEP_2) | instskip(NEXT) | instid1(VALU_DEP_1)
	v_cndmask_b32_e64 v3, v3, 0xffffff82, vcc_lo
	v_add3_u32 v15, v7, v3, v5
	v_and_b32_e32 v3, 0x1fffff, v14
                                        ; implicit-def: $vgpr5
	s_delay_alu instid0(VALU_DEP_1) | instskip(NEXT) | instid1(VALU_DEP_1)
	v_dual_add_nc_u32 v7, 14, v15 :: v_dual_add_nc_u32 v20, v3, v2
                                        ; implicit-def: $vgpr2_vgpr3
	v_cmpx_ne_u32_e32 0, v7
	s_xor_b32 s13, exec_lo, s13
; %bb.3752:                             ;   in Loop: Header=BB6_3506 Depth=4
	s_delay_alu instid0(VALU_DEP_2) | instskip(SKIP_1) | instid1(VALU_DEP_1)
	v_cmp_lt_u64_e32 vcc_lo, 0xffffff, v[20:21]
	v_add_nc_u32_e32 v2, 15, v15
	v_cndmask_b32_e32 v5, v7, v2, vcc_lo
	v_cndmask_b32_e64 v2, 0, 1, vcc_lo
	s_delay_alu instid0(VALU_DEP_1)
	v_lshrrev_b64 v[2:3], v2, v[20:21]
; %bb.3753:                             ;   in Loop: Header=BB6_3506 Depth=4
	s_and_not1_saveexec_b32 s13, s13
; %bb.3754:                             ;   in Loop: Header=BB6_3506 Depth=4
	v_mov_b64_e32 v[2:3], v[20:21]
	v_bfe_u32 v5, v20, 23, 1
; %bb.3755:                             ;   in Loop: Header=BB6_3506 Depth=4
	s_or_b32 exec_lo, exec_lo, s13
	s_delay_alu instid0(VALU_DEP_2) | instskip(NEXT) | instid1(VALU_DEP_2)
	v_lshrrev_b64 v[2:3], 21, v[2:3]
	v_cmp_gt_i32_e32 vcc_lo, 32, v5
	v_cmp_ne_u32_e64 s13, 0, v5
                                        ; implicit-def: $vgpr23
	s_delay_alu instid0(VALU_DEP_3) | instskip(NEXT) | instid1(VALU_DEP_1)
	v_dual_cndmask_b32 v3, 0, v3 :: v_dual_cndmask_b32 v2, 3, v2
	v_cmp_ne_u64_e32 vcc_lo, 0, v[2:3]
	s_or_b32 s13, s13, vcc_lo
	s_delay_alu instid0(SALU_CYCLE_1) | instskip(NEXT) | instid1(SALU_CYCLE_1)
	s_and_saveexec_b32 s75, s13
	s_xor_b32 s13, exec_lo, s75
; %bb.3756:                             ;   in Loop: Header=BB6_3506 Depth=4
	v_min_i32_e32 v3, 31, v5
	s_delay_alu instid0(VALU_DEP_1) | instskip(NEXT) | instid1(VALU_DEP_1)
	v_lshl_or_b32 v1, v3, 2, v1
	v_and_or_b32 v23, v2, 3, v1
                                        ; implicit-def: $vgpr1
; %bb.3757:                             ;   in Loop: Header=BB6_3506 Depth=4
	s_and_not1_saveexec_b32 s13, s13
; %bb.3758:                             ;   in Loop: Header=BB6_3506 Depth=4
	v_mov_b32_e32 v23, v1
; %bb.3759:                             ;   in Loop: Header=BB6_3506 Depth=4
	s_or_b32 exec_lo, exec_lo, s13
.LBB6_3760:                             ;   in Loop: Header=BB6_3506 Depth=4
	s_delay_alu instid0(SALU_CYCLE_1)
	s_or_b32 exec_lo, exec_lo, s74
                                        ; implicit-def: $vgpr1
.LBB6_3761:                             ;   in Loop: Header=BB6_3506 Depth=4
	s_and_not1_saveexec_b32 s13, s73
; %bb.3762:                             ;   in Loop: Header=BB6_3506 Depth=4
	v_or_b32_e32 v23, 0x7b, v1
; %bb.3763:                             ;   in Loop: Header=BB6_3506 Depth=4
	s_or_b32 exec_lo, exec_lo, s13
                                        ; implicit-def: $vgpr2
.LBB6_3764:                             ;   in Loop: Header=BB6_3506 Depth=4
	s_and_not1_saveexec_b32 s13, s72
	s_cbranch_execz .LBB6_3770
; %bb.3765:                             ;   in Loop: Header=BB6_3506 Depth=4
	s_mov_b32 s72, exec_lo
                                        ; implicit-def: $vgpr23
	v_cmpx_ne_u64_e32 0, v[20:21]
	s_xor_b32 s72, exec_lo, s72
; %bb.3766:                             ;   in Loop: Header=BB6_3506 Depth=4
	v_lshrrev_b32_e32 v1, 24, v2
                                        ; implicit-def: $vgpr2
	s_delay_alu instid0(VALU_DEP_1)
	v_or_b32_e32 v23, 0x7f, v1
; %bb.3767:                             ;   in Loop: Header=BB6_3506 Depth=4
	s_and_not1_saveexec_b32 s72, s72
; %bb.3768:                             ;   in Loop: Header=BB6_3506 Depth=4
	v_cmp_lt_i32_e32 vcc_lo, -1, v2
	v_cndmask_b32_e64 v23, -4, 0x7c, vcc_lo
; %bb.3769:                             ;   in Loop: Header=BB6_3506 Depth=4
	s_or_b32 exec_lo, exec_lo, s72
.LBB6_3770:                             ;   in Loop: Header=BB6_3506 Depth=4
	s_delay_alu instid0(SALU_CYCLE_1)
	s_or_b32 exec_lo, exec_lo, s13
	v_dual_mov_b32 v1, 0 :: v_dual_mov_b32 v2, 0
	s_mov_b32 s72, exec_lo
	v_cmpx_ne_u16_e32 0, v60
	s_cbranch_execz .LBB6_3780
; %bb.3771:                             ;   in Loop: Header=BB6_3506 Depth=4
	v_bfrev_b32_e32 v2, 1
	s_mov_b32 s73, exec_lo
	v_cmpx_ne_u16_e32 0xff80, v60
	s_cbranch_execz .LBB6_3779
; %bb.3772:                             ;   in Loop: Header=BB6_3506 Depth=4
	v_and_b32_e32 v2, 0x7c, v60
	v_and_b32_e32 v3, 3, v60
	s_delay_alu instid0(VALU_DEP_2) | instskip(SKIP_1) | instid1(SALU_CYCLE_1)
	v_cmp_ne_u32_e32 vcc_lo, 0x7c, v2
                                        ; implicit-def: $vgpr2
	s_and_saveexec_b32 s13, vcc_lo
	s_xor_b32 s13, exec_lo, s13
	s_cbranch_execz .LBB6_3776
; %bb.3773:                             ;   in Loop: Header=BB6_3506 Depth=4
	v_and_b32_e32 v2, 0xff, v60
	s_mov_b32 s74, exec_lo
	s_delay_alu instid0(VALU_DEP_1) | instskip(NEXT) | instid1(VALU_DEP_1)
	v_bfe_u32 v2, v2, 2, 5
	v_cmpx_eq_u32_e32 0, v2
	s_cbranch_execz .LBB6_3775
; %bb.3774:                             ;   in Loop: Header=BB6_3506 Depth=4
	v_clz_i32_u32_e32 v2, v3
	s_delay_alu instid0(VALU_DEP_1) | instskip(SKIP_1) | instid1(VALU_DEP_2)
	v_min_u32_e32 v2, 32, v2
	v_mov_b32_e32 v61, v21
	v_subrev_nc_u32_e32 v3, 29, v2
	v_sub_nc_u32_e32 v2, 30, v2
	s_delay_alu instid0(VALU_DEP_2) | instskip(NEXT) | instid1(VALU_DEP_1)
	v_lshlrev_b64_e32 v[14:15], v3, v[60:61]
	v_and_b32_e32 v3, 3, v14
.LBB6_3775:                             ;   in Loop: Header=BB6_3506 Depth=4
	s_or_b32 exec_lo, exec_lo, s74
	v_bfe_i32 v5, v60, 0, 16
                                        ; implicit-def: $vgpr60
	s_delay_alu instid0(VALU_DEP_1) | instskip(NEXT) | instid1(VALU_DEP_1)
	v_and_b32_e32 v5, 0x80000000, v5
	v_lshl_add_u32 v2, v2, 23, v5
	s_delay_alu instid0(VALU_DEP_1) | instskip(NEXT) | instid1(VALU_DEP_1)
	v_lshl_or_b32 v2, v3, 21, v2
                                        ; implicit-def: $vgpr3
	v_add_nc_u32_e32 v2, 0x38000000, v2
.LBB6_3776:                             ;   in Loop: Header=BB6_3506 Depth=4
	s_and_not1_saveexec_b32 s74, s13
; %bb.3777:                             ;   in Loop: Header=BB6_3506 Depth=4
	v_cmp_lt_i16_e64 s13, -1, v60
	v_mov_b32_e32 v2, 0x7f800000
	v_cmp_eq_u32_e32 vcc_lo, 0, v3
	s_delay_alu instid0(VALU_DEP_2) | instskip(NEXT) | instid1(VALU_DEP_1)
	v_cndmask_b32_e64 v2, 0xff800000, v2, s13
	v_cndmask_b32_e32 v2, 0x7f800001, v2, vcc_lo
; %bb.3778:                             ;   in Loop: Header=BB6_3506 Depth=4
	s_or_b32 exec_lo, exec_lo, s74
.LBB6_3779:                             ;   in Loop: Header=BB6_3506 Depth=4
	s_delay_alu instid0(SALU_CYCLE_1)
	s_or_b32 exec_lo, exec_lo, s73
.LBB6_3780:                             ;   in Loop: Header=BB6_3506 Depth=4
	s_delay_alu instid0(SALU_CYCLE_1) | instskip(NEXT) | instid1(SALU_CYCLE_1)
	s_or_b32 exec_lo, exec_lo, s72
	s_mov_b32 s72, exec_lo
	v_cmpx_ne_u16_e32 0, v114
	s_cbranch_execz .LBB6_3790
; %bb.3781:                             ;   in Loop: Header=BB6_3506 Depth=4
	v_bfrev_b32_e32 v1, 1
	s_mov_b32 s73, exec_lo
	v_cmpx_ne_u16_e32 0xff80, v114
	s_cbranch_execz .LBB6_3789
; %bb.3782:                             ;   in Loop: Header=BB6_3506 Depth=4
	v_and_b32_e32 v1, 0x7c, v114
	v_and_b32_e32 v3, 3, v114
	s_delay_alu instid0(VALU_DEP_2) | instskip(SKIP_1) | instid1(SALU_CYCLE_1)
	v_cmp_ne_u32_e32 vcc_lo, 0x7c, v1
                                        ; implicit-def: $vgpr1
	s_and_saveexec_b32 s13, vcc_lo
	s_xor_b32 s13, exec_lo, s13
	s_cbranch_execz .LBB6_3786
; %bb.3783:                             ;   in Loop: Header=BB6_3506 Depth=4
	v_and_b32_e32 v1, 0xff, v114
	s_mov_b32 s74, exec_lo
	s_delay_alu instid0(VALU_DEP_1) | instskip(NEXT) | instid1(VALU_DEP_1)
	v_bfe_u32 v1, v1, 2, 5
	v_cmpx_eq_u32_e32 0, v1
	s_cbranch_execz .LBB6_3785
; %bb.3784:                             ;   in Loop: Header=BB6_3506 Depth=4
	v_clz_i32_u32_e32 v1, v3
	s_delay_alu instid0(VALU_DEP_1) | instskip(SKIP_1) | instid1(VALU_DEP_2)
	v_min_u32_e32 v1, 32, v1
	v_mov_b32_e32 v115, v21
	v_subrev_nc_u32_e32 v3, 29, v1
	v_sub_nc_u32_e32 v1, 30, v1
	s_delay_alu instid0(VALU_DEP_2) | instskip(NEXT) | instid1(VALU_DEP_1)
	v_lshlrev_b64_e32 v[14:15], v3, v[114:115]
	v_and_b32_e32 v3, 3, v14
.LBB6_3785:                             ;   in Loop: Header=BB6_3506 Depth=4
	s_or_b32 exec_lo, exec_lo, s74
	v_bfe_i32 v5, v114, 0, 16
                                        ; implicit-def: $vgpr114
	s_delay_alu instid0(VALU_DEP_1) | instskip(NEXT) | instid1(VALU_DEP_1)
	v_and_b32_e32 v5, 0x80000000, v5
	v_lshl_add_u32 v1, v1, 23, v5
	s_delay_alu instid0(VALU_DEP_1) | instskip(NEXT) | instid1(VALU_DEP_1)
	v_lshl_or_b32 v1, v3, 21, v1
                                        ; implicit-def: $vgpr3
	v_add_nc_u32_e32 v1, 0x38000000, v1
.LBB6_3786:                             ;   in Loop: Header=BB6_3506 Depth=4
	s_and_not1_saveexec_b32 s74, s13
; %bb.3787:                             ;   in Loop: Header=BB6_3506 Depth=4
	v_cmp_lt_i16_e64 s13, -1, v114
	v_mov_b32_e32 v1, 0x7f800000
	v_cmp_eq_u32_e32 vcc_lo, 0, v3
	s_delay_alu instid0(VALU_DEP_2) | instskip(NEXT) | instid1(VALU_DEP_1)
	v_cndmask_b32_e64 v1, 0xff800000, v1, s13
	v_cndmask_b32_e32 v1, 0x7f800001, v1, vcc_lo
; %bb.3788:                             ;   in Loop: Header=BB6_3506 Depth=4
	s_or_b32 exec_lo, exec_lo, s74
.LBB6_3789:                             ;   in Loop: Header=BB6_3506 Depth=4
	s_delay_alu instid0(SALU_CYCLE_1)
	s_or_b32 exec_lo, exec_lo, s73
.LBB6_3790:                             ;   in Loop: Header=BB6_3506 Depth=4
	s_delay_alu instid0(SALU_CYCLE_1) | instskip(NEXT) | instid1(VALU_DEP_1)
	s_or_b32 exec_lo, exec_lo, s72
	v_dual_mul_f32 v2, v2, v1 :: v_dual_mov_b32 v15, v21
                                        ; implicit-def: $vgpr64
	s_mov_b32 s13, exec_lo
	s_delay_alu instid0(VALU_DEP_1) | instskip(SKIP_1) | instid1(VALU_DEP_2)
	v_and_b32_e32 v14, 0x7f800000, v2
	v_and_b32_e32 v20, 0x7fffff, v2
	v_cmpx_ne_u64_e32 0x7f800000, v[14:15]
	s_xor_b32 s72, exec_lo, s13
	s_cbranch_execz .LBB6_3808
; %bb.3791:                             ;   in Loop: Header=BB6_3506 Depth=4
	v_dual_mov_b32 v15, v21 :: v_dual_lshrrev_b32 v1, 24, v2
	v_and_b32_e32 v14, 0x7fffffff, v2
                                        ; implicit-def: $vgpr64
	s_mov_b32 s13, exec_lo
	s_delay_alu instid0(VALU_DEP_2) | instskip(NEXT) | instid1(VALU_DEP_2)
	v_and_b32_e32 v1, 0x80, v1
	v_cmpx_gt_u64_e32 0x47600001, v[14:15]
	s_xor_b32 s73, exec_lo, s13
	s_cbranch_execz .LBB6_3805
; %bb.3792:                             ;   in Loop: Header=BB6_3506 Depth=4
	v_mov_b32_e32 v64, 0
	s_mov_b32 s74, exec_lo
	v_cmpx_ne_u32_e32 0, v2
	s_cbranch_execz .LBB6_3804
; %bb.3793:                             ;   in Loop: Header=BB6_3506 Depth=4
	v_bfe_u32 v5, v2, 23, 8
	v_or_b32_e32 v3, 0x800000, v20
	s_delay_alu instid0(VALU_DEP_2) | instskip(SKIP_2) | instid1(VALU_DEP_2)
	v_cmp_gt_u32_e64 s13, 0x72, v5
	v_sub_nc_u32_e32 v2, 0x71, v5
	v_cmp_eq_u32_e32 vcc_lo, 0, v5
	v_cndmask_b32_e64 v2, 0, v2, s13
	s_delay_alu instid0(VALU_DEP_1) | instskip(SKIP_1) | instid1(VALU_DEP_2)
	v_cndmask_b32_e64 v7, v2, 0x70, vcc_lo
	v_dual_cndmask_b32 v2, v3, v20 :: v_dual_mov_b32 v3, v21
	v_dual_add_nc_u32 v14, 21, v7 :: v_dual_add_nc_u32 v20, 20, v7
	s_delay_alu instid0(VALU_DEP_1) | instskip(NEXT) | instid1(VALU_DEP_2)
	v_lshlrev_b64_e64 v[14:15], v14, -1
	v_lshlrev_b64_e64 v[24:25], v20, 1
	s_delay_alu instid0(VALU_DEP_2) | instskip(SKIP_1) | instid1(VALU_DEP_4)
	v_bfi_b32 v14, v14, 0, v2
	v_lshrrev_b64 v[2:3], v7, v[2:3]
	v_bfi_b32 v15, v15, 0, 0
	s_delay_alu instid0(VALU_DEP_1) | instskip(NEXT) | instid1(VALU_DEP_3)
	v_cmp_eq_u64_e64 s13, v[14:15], v[24:25]
	v_mov_b64_e32 v[14:15], v[2:3]
	s_and_saveexec_b32 s75, s13
; %bb.3794:                             ;   in Loop: Header=BB6_3506 Depth=4
	v_bfe_u32 v14, v2, 21, 1
	v_mov_b32_e32 v15, v21
	s_delay_alu instid0(VALU_DEP_1) | instskip(NEXT) | instid1(VALU_DEP_1)
	v_add_nc_u64_e32 v[14:15], v[2:3], v[14:15]
	v_add_nc_u64_e32 v[14:15], -1, v[14:15]
; %bb.3795:                             ;   in Loop: Header=BB6_3506 Depth=4
	s_or_b32 exec_lo, exec_lo, s75
	v_add_nc_u32_e32 v3, 0xffffff81, v5
	v_lshrrev_b32_e32 v5, 23, v2
	s_mov_b32 s13, exec_lo
	s_delay_alu instid0(VALU_DEP_2) | instskip(NEXT) | instid1(VALU_DEP_1)
	v_cndmask_b32_e64 v3, v3, 0xffffff82, vcc_lo
	v_add3_u32 v15, v7, v3, v5
	v_and_b32_e32 v3, 0x1fffff, v14
                                        ; implicit-def: $vgpr5
	s_delay_alu instid0(VALU_DEP_1) | instskip(NEXT) | instid1(VALU_DEP_1)
	v_dual_add_nc_u32 v7, 14, v15 :: v_dual_add_nc_u32 v20, v3, v2
                                        ; implicit-def: $vgpr2_vgpr3
	v_cmpx_ne_u32_e32 0, v7
	s_xor_b32 s13, exec_lo, s13
; %bb.3796:                             ;   in Loop: Header=BB6_3506 Depth=4
	s_delay_alu instid0(VALU_DEP_2) | instskip(SKIP_1) | instid1(VALU_DEP_1)
	v_cmp_lt_u64_e32 vcc_lo, 0xffffff, v[20:21]
	v_add_nc_u32_e32 v2, 15, v15
	v_cndmask_b32_e32 v5, v7, v2, vcc_lo
	v_cndmask_b32_e64 v2, 0, 1, vcc_lo
	s_delay_alu instid0(VALU_DEP_1)
	v_lshrrev_b64 v[2:3], v2, v[20:21]
; %bb.3797:                             ;   in Loop: Header=BB6_3506 Depth=4
	s_and_not1_saveexec_b32 s13, s13
; %bb.3798:                             ;   in Loop: Header=BB6_3506 Depth=4
	v_mov_b64_e32 v[2:3], v[20:21]
	v_bfe_u32 v5, v20, 23, 1
; %bb.3799:                             ;   in Loop: Header=BB6_3506 Depth=4
	s_or_b32 exec_lo, exec_lo, s13
	s_delay_alu instid0(VALU_DEP_2) | instskip(NEXT) | instid1(VALU_DEP_2)
	v_lshrrev_b64 v[2:3], 21, v[2:3]
	v_cmp_gt_i32_e32 vcc_lo, 32, v5
	v_cmp_ne_u32_e64 s13, 0, v5
                                        ; implicit-def: $vgpr64
	s_delay_alu instid0(VALU_DEP_3) | instskip(NEXT) | instid1(VALU_DEP_1)
	v_dual_cndmask_b32 v3, 0, v3 :: v_dual_cndmask_b32 v2, 3, v2
	v_cmp_ne_u64_e32 vcc_lo, 0, v[2:3]
	s_or_b32 s13, s13, vcc_lo
	s_delay_alu instid0(SALU_CYCLE_1) | instskip(NEXT) | instid1(SALU_CYCLE_1)
	s_and_saveexec_b32 s75, s13
	s_xor_b32 s13, exec_lo, s75
; %bb.3800:                             ;   in Loop: Header=BB6_3506 Depth=4
	v_min_i32_e32 v3, 31, v5
	s_delay_alu instid0(VALU_DEP_1) | instskip(NEXT) | instid1(VALU_DEP_1)
	v_lshl_or_b32 v1, v3, 2, v1
	v_and_or_b32 v64, v2, 3, v1
                                        ; implicit-def: $vgpr1
; %bb.3801:                             ;   in Loop: Header=BB6_3506 Depth=4
	s_and_not1_saveexec_b32 s13, s13
; %bb.3802:                             ;   in Loop: Header=BB6_3506 Depth=4
	v_mov_b32_e32 v64, v1
; %bb.3803:                             ;   in Loop: Header=BB6_3506 Depth=4
	s_or_b32 exec_lo, exec_lo, s13
.LBB6_3804:                             ;   in Loop: Header=BB6_3506 Depth=4
	s_delay_alu instid0(SALU_CYCLE_1)
	s_or_b32 exec_lo, exec_lo, s74
                                        ; implicit-def: $vgpr1
.LBB6_3805:                             ;   in Loop: Header=BB6_3506 Depth=4
	s_and_not1_saveexec_b32 s13, s73
; %bb.3806:                             ;   in Loop: Header=BB6_3506 Depth=4
	v_or_b32_e32 v64, 0x7b, v1
; %bb.3807:                             ;   in Loop: Header=BB6_3506 Depth=4
	s_or_b32 exec_lo, exec_lo, s13
                                        ; implicit-def: $vgpr2
.LBB6_3808:                             ;   in Loop: Header=BB6_3506 Depth=4
	s_and_not1_saveexec_b32 s13, s72
	s_cbranch_execz .LBB6_3814
; %bb.3809:                             ;   in Loop: Header=BB6_3506 Depth=4
	s_mov_b32 s72, exec_lo
                                        ; implicit-def: $vgpr64
	v_cmpx_ne_u64_e32 0, v[20:21]
	s_xor_b32 s72, exec_lo, s72
; %bb.3810:                             ;   in Loop: Header=BB6_3506 Depth=4
	v_lshrrev_b32_e32 v1, 24, v2
                                        ; implicit-def: $vgpr2
	s_delay_alu instid0(VALU_DEP_1)
	v_or_b32_e32 v64, 0x7f, v1
; %bb.3811:                             ;   in Loop: Header=BB6_3506 Depth=4
	s_and_not1_saveexec_b32 s72, s72
; %bb.3812:                             ;   in Loop: Header=BB6_3506 Depth=4
	v_cmp_lt_i32_e32 vcc_lo, -1, v2
	v_cndmask_b32_e64 v64, -4, 0x7c, vcc_lo
; %bb.3813:                             ;   in Loop: Header=BB6_3506 Depth=4
	s_or_b32 exec_lo, exec_lo, s72
.LBB6_3814:                             ;   in Loop: Header=BB6_3506 Depth=4
	s_delay_alu instid0(SALU_CYCLE_1)
	s_or_b32 exec_lo, exec_lo, s13
	v_dual_mov_b32 v1, 0 :: v_dual_mov_b32 v2, 0
	s_mov_b32 s72, exec_lo
	v_cmpx_ne_u16_e32 0, v86
	s_cbranch_execz .LBB6_3824
; %bb.3815:                             ;   in Loop: Header=BB6_3506 Depth=4
	v_bfrev_b32_e32 v2, 1
	s_mov_b32 s73, exec_lo
	v_cmpx_ne_u16_e32 0xff80, v86
	s_cbranch_execz .LBB6_3823
; %bb.3816:                             ;   in Loop: Header=BB6_3506 Depth=4
	v_and_b32_e32 v2, 0x7c, v86
	v_and_b32_e32 v3, 3, v86
	s_delay_alu instid0(VALU_DEP_2) | instskip(SKIP_1) | instid1(SALU_CYCLE_1)
	v_cmp_ne_u32_e32 vcc_lo, 0x7c, v2
                                        ; implicit-def: $vgpr2
	s_and_saveexec_b32 s13, vcc_lo
	s_xor_b32 s13, exec_lo, s13
	s_cbranch_execz .LBB6_3820
; %bb.3817:                             ;   in Loop: Header=BB6_3506 Depth=4
	v_and_b32_e32 v2, 0xff, v86
	s_mov_b32 s74, exec_lo
	s_delay_alu instid0(VALU_DEP_1) | instskip(NEXT) | instid1(VALU_DEP_1)
	v_bfe_u32 v2, v2, 2, 5
	v_cmpx_eq_u32_e32 0, v2
	s_cbranch_execz .LBB6_3819
; %bb.3818:                             ;   in Loop: Header=BB6_3506 Depth=4
	v_clz_i32_u32_e32 v2, v3
	s_delay_alu instid0(VALU_DEP_1) | instskip(SKIP_1) | instid1(VALU_DEP_2)
	v_min_u32_e32 v2, 32, v2
	v_mov_b32_e32 v87, v21
	v_subrev_nc_u32_e32 v3, 29, v2
	v_sub_nc_u32_e32 v2, 30, v2
	s_delay_alu instid0(VALU_DEP_2) | instskip(NEXT) | instid1(VALU_DEP_1)
	v_lshlrev_b64_e32 v[14:15], v3, v[86:87]
	v_and_b32_e32 v3, 3, v14
.LBB6_3819:                             ;   in Loop: Header=BB6_3506 Depth=4
	s_or_b32 exec_lo, exec_lo, s74
	v_bfe_i32 v5, v86, 0, 16
                                        ; implicit-def: $vgpr86
	s_delay_alu instid0(VALU_DEP_1) | instskip(NEXT) | instid1(VALU_DEP_1)
	v_and_b32_e32 v5, 0x80000000, v5
	v_lshl_add_u32 v2, v2, 23, v5
	s_delay_alu instid0(VALU_DEP_1) | instskip(NEXT) | instid1(VALU_DEP_1)
	v_lshl_or_b32 v2, v3, 21, v2
                                        ; implicit-def: $vgpr3
	v_add_nc_u32_e32 v2, 0x38000000, v2
.LBB6_3820:                             ;   in Loop: Header=BB6_3506 Depth=4
	s_and_not1_saveexec_b32 s74, s13
; %bb.3821:                             ;   in Loop: Header=BB6_3506 Depth=4
	v_cmp_lt_i16_e64 s13, -1, v86
	v_mov_b32_e32 v2, 0x7f800000
	v_cmp_eq_u32_e32 vcc_lo, 0, v3
	s_delay_alu instid0(VALU_DEP_2) | instskip(NEXT) | instid1(VALU_DEP_1)
	v_cndmask_b32_e64 v2, 0xff800000, v2, s13
	v_cndmask_b32_e32 v2, 0x7f800001, v2, vcc_lo
; %bb.3822:                             ;   in Loop: Header=BB6_3506 Depth=4
	s_or_b32 exec_lo, exec_lo, s74
.LBB6_3823:                             ;   in Loop: Header=BB6_3506 Depth=4
	s_delay_alu instid0(SALU_CYCLE_1)
	s_or_b32 exec_lo, exec_lo, s73
.LBB6_3824:                             ;   in Loop: Header=BB6_3506 Depth=4
	s_delay_alu instid0(SALU_CYCLE_1) | instskip(NEXT) | instid1(SALU_CYCLE_1)
	s_or_b32 exec_lo, exec_lo, s72
	s_mov_b32 s72, exec_lo
	v_cmpx_ne_u16_e32 0, v102
	s_cbranch_execz .LBB6_3834
; %bb.3825:                             ;   in Loop: Header=BB6_3506 Depth=4
	v_bfrev_b32_e32 v1, 1
	s_mov_b32 s73, exec_lo
	v_cmpx_ne_u16_e32 0xff80, v102
	s_cbranch_execz .LBB6_3833
; %bb.3826:                             ;   in Loop: Header=BB6_3506 Depth=4
	v_and_b32_e32 v1, 0x7c, v102
	v_and_b32_e32 v3, 3, v102
	s_delay_alu instid0(VALU_DEP_2) | instskip(SKIP_1) | instid1(SALU_CYCLE_1)
	v_cmp_ne_u32_e32 vcc_lo, 0x7c, v1
                                        ; implicit-def: $vgpr1
	s_and_saveexec_b32 s13, vcc_lo
	s_xor_b32 s13, exec_lo, s13
	s_cbranch_execz .LBB6_3830
; %bb.3827:                             ;   in Loop: Header=BB6_3506 Depth=4
	v_and_b32_e32 v1, 0xff, v102
	s_mov_b32 s74, exec_lo
	s_delay_alu instid0(VALU_DEP_1) | instskip(NEXT) | instid1(VALU_DEP_1)
	v_bfe_u32 v1, v1, 2, 5
	v_cmpx_eq_u32_e32 0, v1
	s_cbranch_execz .LBB6_3829
; %bb.3828:                             ;   in Loop: Header=BB6_3506 Depth=4
	v_clz_i32_u32_e32 v1, v3
	s_delay_alu instid0(VALU_DEP_1) | instskip(SKIP_1) | instid1(VALU_DEP_2)
	v_min_u32_e32 v1, 32, v1
	v_mov_b32_e32 v103, v21
	v_subrev_nc_u32_e32 v3, 29, v1
	v_sub_nc_u32_e32 v1, 30, v1
	s_delay_alu instid0(VALU_DEP_2) | instskip(NEXT) | instid1(VALU_DEP_1)
	v_lshlrev_b64_e32 v[14:15], v3, v[102:103]
	v_and_b32_e32 v3, 3, v14
.LBB6_3829:                             ;   in Loop: Header=BB6_3506 Depth=4
	s_or_b32 exec_lo, exec_lo, s74
	v_bfe_i32 v5, v102, 0, 16
                                        ; implicit-def: $vgpr102
	s_delay_alu instid0(VALU_DEP_1) | instskip(NEXT) | instid1(VALU_DEP_1)
	v_and_b32_e32 v5, 0x80000000, v5
	v_lshl_add_u32 v1, v1, 23, v5
	s_delay_alu instid0(VALU_DEP_1) | instskip(NEXT) | instid1(VALU_DEP_1)
	v_lshl_or_b32 v1, v3, 21, v1
                                        ; implicit-def: $vgpr3
	v_add_nc_u32_e32 v1, 0x38000000, v1
.LBB6_3830:                             ;   in Loop: Header=BB6_3506 Depth=4
	s_and_not1_saveexec_b32 s74, s13
; %bb.3831:                             ;   in Loop: Header=BB6_3506 Depth=4
	v_cmp_lt_i16_e64 s13, -1, v102
	v_mov_b32_e32 v1, 0x7f800000
	v_cmp_eq_u32_e32 vcc_lo, 0, v3
	s_delay_alu instid0(VALU_DEP_2) | instskip(NEXT) | instid1(VALU_DEP_1)
	v_cndmask_b32_e64 v1, 0xff800000, v1, s13
	v_cndmask_b32_e32 v1, 0x7f800001, v1, vcc_lo
; %bb.3832:                             ;   in Loop: Header=BB6_3506 Depth=4
	s_or_b32 exec_lo, exec_lo, s74
.LBB6_3833:                             ;   in Loop: Header=BB6_3506 Depth=4
	s_delay_alu instid0(SALU_CYCLE_1)
	s_or_b32 exec_lo, exec_lo, s73
.LBB6_3834:                             ;   in Loop: Header=BB6_3506 Depth=4
	s_delay_alu instid0(SALU_CYCLE_1) | instskip(NEXT) | instid1(VALU_DEP_1)
	s_or_b32 exec_lo, exec_lo, s72
	v_dual_mul_f32 v2, v2, v1 :: v_dual_mov_b32 v15, v21
                                        ; implicit-def: $vgpr65
	s_mov_b32 s13, exec_lo
	s_delay_alu instid0(VALU_DEP_1) | instskip(SKIP_1) | instid1(VALU_DEP_2)
	v_and_b32_e32 v14, 0x7f800000, v2
	v_and_b32_e32 v20, 0x7fffff, v2
	v_cmpx_ne_u64_e32 0x7f800000, v[14:15]
	s_xor_b32 s72, exec_lo, s13
	s_cbranch_execz .LBB6_3852
; %bb.3835:                             ;   in Loop: Header=BB6_3506 Depth=4
	v_dual_mov_b32 v15, v21 :: v_dual_lshrrev_b32 v1, 24, v2
	v_and_b32_e32 v14, 0x7fffffff, v2
                                        ; implicit-def: $vgpr65
	s_mov_b32 s13, exec_lo
	s_delay_alu instid0(VALU_DEP_2) | instskip(NEXT) | instid1(VALU_DEP_2)
	v_and_b32_e32 v1, 0x80, v1
	v_cmpx_gt_u64_e32 0x47600001, v[14:15]
	s_xor_b32 s73, exec_lo, s13
	s_cbranch_execz .LBB6_3849
; %bb.3836:                             ;   in Loop: Header=BB6_3506 Depth=4
	v_mov_b32_e32 v65, 0
	s_mov_b32 s74, exec_lo
	v_cmpx_ne_u32_e32 0, v2
	s_cbranch_execz .LBB6_3848
; %bb.3837:                             ;   in Loop: Header=BB6_3506 Depth=4
	v_bfe_u32 v5, v2, 23, 8
	v_or_b32_e32 v3, 0x800000, v20
	s_delay_alu instid0(VALU_DEP_2) | instskip(SKIP_2) | instid1(VALU_DEP_2)
	v_cmp_gt_u32_e64 s13, 0x72, v5
	v_sub_nc_u32_e32 v2, 0x71, v5
	v_cmp_eq_u32_e32 vcc_lo, 0, v5
	v_cndmask_b32_e64 v2, 0, v2, s13
	s_delay_alu instid0(VALU_DEP_1) | instskip(SKIP_1) | instid1(VALU_DEP_2)
	v_cndmask_b32_e64 v7, v2, 0x70, vcc_lo
	v_dual_cndmask_b32 v2, v3, v20 :: v_dual_mov_b32 v3, v21
	v_dual_add_nc_u32 v14, 21, v7 :: v_dual_add_nc_u32 v20, 20, v7
	s_delay_alu instid0(VALU_DEP_1) | instskip(NEXT) | instid1(VALU_DEP_2)
	v_lshlrev_b64_e64 v[14:15], v14, -1
	v_lshlrev_b64_e64 v[24:25], v20, 1
	s_delay_alu instid0(VALU_DEP_2) | instskip(SKIP_1) | instid1(VALU_DEP_4)
	v_bfi_b32 v14, v14, 0, v2
	v_lshrrev_b64 v[2:3], v7, v[2:3]
	v_bfi_b32 v15, v15, 0, 0
	s_delay_alu instid0(VALU_DEP_1) | instskip(NEXT) | instid1(VALU_DEP_3)
	v_cmp_eq_u64_e64 s13, v[14:15], v[24:25]
	v_mov_b64_e32 v[14:15], v[2:3]
	s_and_saveexec_b32 s75, s13
; %bb.3838:                             ;   in Loop: Header=BB6_3506 Depth=4
	v_bfe_u32 v14, v2, 21, 1
	v_mov_b32_e32 v15, v21
	s_delay_alu instid0(VALU_DEP_1) | instskip(NEXT) | instid1(VALU_DEP_1)
	v_add_nc_u64_e32 v[14:15], v[2:3], v[14:15]
	v_add_nc_u64_e32 v[14:15], -1, v[14:15]
; %bb.3839:                             ;   in Loop: Header=BB6_3506 Depth=4
	s_or_b32 exec_lo, exec_lo, s75
	v_add_nc_u32_e32 v3, 0xffffff81, v5
	v_lshrrev_b32_e32 v5, 23, v2
	s_mov_b32 s13, exec_lo
	s_delay_alu instid0(VALU_DEP_2) | instskip(NEXT) | instid1(VALU_DEP_1)
	v_cndmask_b32_e64 v3, v3, 0xffffff82, vcc_lo
	v_add3_u32 v15, v7, v3, v5
	v_and_b32_e32 v3, 0x1fffff, v14
                                        ; implicit-def: $vgpr5
	s_delay_alu instid0(VALU_DEP_1) | instskip(NEXT) | instid1(VALU_DEP_1)
	v_dual_add_nc_u32 v7, 14, v15 :: v_dual_add_nc_u32 v20, v3, v2
                                        ; implicit-def: $vgpr2_vgpr3
	v_cmpx_ne_u32_e32 0, v7
	s_xor_b32 s13, exec_lo, s13
; %bb.3840:                             ;   in Loop: Header=BB6_3506 Depth=4
	s_delay_alu instid0(VALU_DEP_2) | instskip(SKIP_1) | instid1(VALU_DEP_1)
	v_cmp_lt_u64_e32 vcc_lo, 0xffffff, v[20:21]
	v_add_nc_u32_e32 v2, 15, v15
	v_cndmask_b32_e32 v5, v7, v2, vcc_lo
	v_cndmask_b32_e64 v2, 0, 1, vcc_lo
	s_delay_alu instid0(VALU_DEP_1)
	v_lshrrev_b64 v[2:3], v2, v[20:21]
; %bb.3841:                             ;   in Loop: Header=BB6_3506 Depth=4
	s_and_not1_saveexec_b32 s13, s13
; %bb.3842:                             ;   in Loop: Header=BB6_3506 Depth=4
	v_mov_b64_e32 v[2:3], v[20:21]
	v_bfe_u32 v5, v20, 23, 1
; %bb.3843:                             ;   in Loop: Header=BB6_3506 Depth=4
	s_or_b32 exec_lo, exec_lo, s13
	s_delay_alu instid0(VALU_DEP_2) | instskip(NEXT) | instid1(VALU_DEP_2)
	v_lshrrev_b64 v[2:3], 21, v[2:3]
	v_cmp_gt_i32_e32 vcc_lo, 32, v5
	v_cmp_ne_u32_e64 s13, 0, v5
                                        ; implicit-def: $vgpr65
	s_delay_alu instid0(VALU_DEP_3) | instskip(NEXT) | instid1(VALU_DEP_1)
	v_dual_cndmask_b32 v3, 0, v3 :: v_dual_cndmask_b32 v2, 3, v2
	v_cmp_ne_u64_e32 vcc_lo, 0, v[2:3]
	s_or_b32 s13, s13, vcc_lo
	s_delay_alu instid0(SALU_CYCLE_1) | instskip(NEXT) | instid1(SALU_CYCLE_1)
	s_and_saveexec_b32 s75, s13
	s_xor_b32 s13, exec_lo, s75
; %bb.3844:                             ;   in Loop: Header=BB6_3506 Depth=4
	v_min_i32_e32 v3, 31, v5
	s_delay_alu instid0(VALU_DEP_1) | instskip(NEXT) | instid1(VALU_DEP_1)
	v_lshl_or_b32 v1, v3, 2, v1
	v_and_or_b32 v65, v2, 3, v1
                                        ; implicit-def: $vgpr1
; %bb.3845:                             ;   in Loop: Header=BB6_3506 Depth=4
	s_and_not1_saveexec_b32 s13, s13
; %bb.3846:                             ;   in Loop: Header=BB6_3506 Depth=4
	v_mov_b32_e32 v65, v1
; %bb.3847:                             ;   in Loop: Header=BB6_3506 Depth=4
	s_or_b32 exec_lo, exec_lo, s13
.LBB6_3848:                             ;   in Loop: Header=BB6_3506 Depth=4
	s_delay_alu instid0(SALU_CYCLE_1)
	s_or_b32 exec_lo, exec_lo, s74
                                        ; implicit-def: $vgpr1
.LBB6_3849:                             ;   in Loop: Header=BB6_3506 Depth=4
	s_and_not1_saveexec_b32 s13, s73
; %bb.3850:                             ;   in Loop: Header=BB6_3506 Depth=4
	v_or_b32_e32 v65, 0x7b, v1
; %bb.3851:                             ;   in Loop: Header=BB6_3506 Depth=4
	s_or_b32 exec_lo, exec_lo, s13
                                        ; implicit-def: $vgpr2
.LBB6_3852:                             ;   in Loop: Header=BB6_3506 Depth=4
	s_and_not1_saveexec_b32 s13, s72
	s_cbranch_execz .LBB6_3858
; %bb.3853:                             ;   in Loop: Header=BB6_3506 Depth=4
	s_mov_b32 s72, exec_lo
                                        ; implicit-def: $vgpr65
	v_cmpx_ne_u64_e32 0, v[20:21]
	s_xor_b32 s72, exec_lo, s72
; %bb.3854:                             ;   in Loop: Header=BB6_3506 Depth=4
	v_lshrrev_b32_e32 v1, 24, v2
                                        ; implicit-def: $vgpr2
	s_delay_alu instid0(VALU_DEP_1)
	v_or_b32_e32 v65, 0x7f, v1
; %bb.3855:                             ;   in Loop: Header=BB6_3506 Depth=4
	s_and_not1_saveexec_b32 s72, s72
; %bb.3856:                             ;   in Loop: Header=BB6_3506 Depth=4
	v_cmp_lt_i32_e32 vcc_lo, -1, v2
	v_cndmask_b32_e64 v65, -4, 0x7c, vcc_lo
; %bb.3857:                             ;   in Loop: Header=BB6_3506 Depth=4
	s_or_b32 exec_lo, exec_lo, s72
.LBB6_3858:                             ;   in Loop: Header=BB6_3506 Depth=4
	s_delay_alu instid0(SALU_CYCLE_1)
	s_or_b32 exec_lo, exec_lo, s13
	v_dual_mov_b32 v1, 0 :: v_dual_mov_b32 v2, 0
	s_mov_b32 s72, exec_lo
	v_cmpx_ne_u16_e32 0, v100
	s_cbranch_execz .LBB6_3868
; %bb.3859:                             ;   in Loop: Header=BB6_3506 Depth=4
	v_bfrev_b32_e32 v2, 1
	s_mov_b32 s73, exec_lo
	v_cmpx_ne_u16_e32 0xff80, v100
	s_cbranch_execz .LBB6_3867
; %bb.3860:                             ;   in Loop: Header=BB6_3506 Depth=4
	v_and_b32_e32 v2, 0x7c, v100
	v_and_b32_e32 v3, 3, v100
	s_delay_alu instid0(VALU_DEP_2) | instskip(SKIP_1) | instid1(SALU_CYCLE_1)
	v_cmp_ne_u32_e32 vcc_lo, 0x7c, v2
                                        ; implicit-def: $vgpr2
	s_and_saveexec_b32 s13, vcc_lo
	s_xor_b32 s13, exec_lo, s13
	s_cbranch_execz .LBB6_3864
; %bb.3861:                             ;   in Loop: Header=BB6_3506 Depth=4
	v_and_b32_e32 v2, 0xff, v100
	s_mov_b32 s74, exec_lo
	s_delay_alu instid0(VALU_DEP_1) | instskip(NEXT) | instid1(VALU_DEP_1)
	v_bfe_u32 v2, v2, 2, 5
	v_cmpx_eq_u32_e32 0, v2
	s_cbranch_execz .LBB6_3863
; %bb.3862:                             ;   in Loop: Header=BB6_3506 Depth=4
	v_clz_i32_u32_e32 v2, v3
	s_delay_alu instid0(VALU_DEP_1) | instskip(SKIP_1) | instid1(VALU_DEP_2)
	v_min_u32_e32 v2, 32, v2
	v_mov_b32_e32 v101, v21
	v_subrev_nc_u32_e32 v3, 29, v2
	v_sub_nc_u32_e32 v2, 30, v2
	s_delay_alu instid0(VALU_DEP_2) | instskip(NEXT) | instid1(VALU_DEP_1)
	v_lshlrev_b64_e32 v[14:15], v3, v[100:101]
	v_and_b32_e32 v3, 3, v14
.LBB6_3863:                             ;   in Loop: Header=BB6_3506 Depth=4
	s_or_b32 exec_lo, exec_lo, s74
	v_bfe_i32 v5, v100, 0, 16
                                        ; implicit-def: $vgpr100
	s_delay_alu instid0(VALU_DEP_1) | instskip(NEXT) | instid1(VALU_DEP_1)
	v_and_b32_e32 v5, 0x80000000, v5
	v_lshl_add_u32 v2, v2, 23, v5
	s_delay_alu instid0(VALU_DEP_1) | instskip(NEXT) | instid1(VALU_DEP_1)
	v_lshl_or_b32 v2, v3, 21, v2
                                        ; implicit-def: $vgpr3
	v_add_nc_u32_e32 v2, 0x38000000, v2
.LBB6_3864:                             ;   in Loop: Header=BB6_3506 Depth=4
	s_and_not1_saveexec_b32 s74, s13
; %bb.3865:                             ;   in Loop: Header=BB6_3506 Depth=4
	v_cmp_lt_i16_e64 s13, -1, v100
	v_mov_b32_e32 v2, 0x7f800000
	v_cmp_eq_u32_e32 vcc_lo, 0, v3
	s_delay_alu instid0(VALU_DEP_2) | instskip(NEXT) | instid1(VALU_DEP_1)
	v_cndmask_b32_e64 v2, 0xff800000, v2, s13
	v_cndmask_b32_e32 v2, 0x7f800001, v2, vcc_lo
; %bb.3866:                             ;   in Loop: Header=BB6_3506 Depth=4
	s_or_b32 exec_lo, exec_lo, s74
.LBB6_3867:                             ;   in Loop: Header=BB6_3506 Depth=4
	s_delay_alu instid0(SALU_CYCLE_1)
	s_or_b32 exec_lo, exec_lo, s73
.LBB6_3868:                             ;   in Loop: Header=BB6_3506 Depth=4
	s_delay_alu instid0(SALU_CYCLE_1) | instskip(NEXT) | instid1(SALU_CYCLE_1)
	s_or_b32 exec_lo, exec_lo, s72
	s_mov_b32 s72, exec_lo
	v_cmpx_ne_u16_e32 0, v44
	s_cbranch_execz .LBB6_3878
; %bb.3869:                             ;   in Loop: Header=BB6_3506 Depth=4
	v_bfrev_b32_e32 v1, 1
	s_mov_b32 s73, exec_lo
	v_cmpx_ne_u16_e32 0xff80, v44
	s_cbranch_execz .LBB6_3877
; %bb.3870:                             ;   in Loop: Header=BB6_3506 Depth=4
	v_and_b32_e32 v1, 0x7c, v44
	v_and_b32_e32 v3, 3, v44
	s_delay_alu instid0(VALU_DEP_2) | instskip(SKIP_1) | instid1(SALU_CYCLE_1)
	v_cmp_ne_u32_e32 vcc_lo, 0x7c, v1
                                        ; implicit-def: $vgpr1
	s_and_saveexec_b32 s13, vcc_lo
	s_xor_b32 s13, exec_lo, s13
	s_cbranch_execz .LBB6_3874
; %bb.3871:                             ;   in Loop: Header=BB6_3506 Depth=4
	v_and_b32_e32 v1, 0xff, v44
	s_mov_b32 s74, exec_lo
	s_delay_alu instid0(VALU_DEP_1) | instskip(NEXT) | instid1(VALU_DEP_1)
	v_bfe_u32 v1, v1, 2, 5
	v_cmpx_eq_u32_e32 0, v1
	s_cbranch_execz .LBB6_3873
; %bb.3872:                             ;   in Loop: Header=BB6_3506 Depth=4
	v_clz_i32_u32_e32 v1, v3
	s_delay_alu instid0(VALU_DEP_1) | instskip(SKIP_1) | instid1(VALU_DEP_2)
	v_min_u32_e32 v1, 32, v1
	v_mov_b32_e32 v45, v21
	v_subrev_nc_u32_e32 v3, 29, v1
	v_sub_nc_u32_e32 v1, 30, v1
	s_delay_alu instid0(VALU_DEP_2) | instskip(NEXT) | instid1(VALU_DEP_1)
	v_lshlrev_b64_e32 v[14:15], v3, v[44:45]
	v_and_b32_e32 v3, 3, v14
.LBB6_3873:                             ;   in Loop: Header=BB6_3506 Depth=4
	s_or_b32 exec_lo, exec_lo, s74
	v_bfe_i32 v5, v44, 0, 16
                                        ; implicit-def: $vgpr44
	s_delay_alu instid0(VALU_DEP_1) | instskip(NEXT) | instid1(VALU_DEP_1)
	v_and_b32_e32 v5, 0x80000000, v5
	v_lshl_add_u32 v1, v1, 23, v5
	s_delay_alu instid0(VALU_DEP_1) | instskip(NEXT) | instid1(VALU_DEP_1)
	v_lshl_or_b32 v1, v3, 21, v1
                                        ; implicit-def: $vgpr3
	v_add_nc_u32_e32 v1, 0x38000000, v1
.LBB6_3874:                             ;   in Loop: Header=BB6_3506 Depth=4
	s_and_not1_saveexec_b32 s74, s13
; %bb.3875:                             ;   in Loop: Header=BB6_3506 Depth=4
	v_cmp_lt_i16_e64 s13, -1, v44
	v_mov_b32_e32 v1, 0x7f800000
	v_cmp_eq_u32_e32 vcc_lo, 0, v3
	s_delay_alu instid0(VALU_DEP_2) | instskip(NEXT) | instid1(VALU_DEP_1)
	v_cndmask_b32_e64 v1, 0xff800000, v1, s13
	v_cndmask_b32_e32 v1, 0x7f800001, v1, vcc_lo
; %bb.3876:                             ;   in Loop: Header=BB6_3506 Depth=4
	s_or_b32 exec_lo, exec_lo, s74
.LBB6_3877:                             ;   in Loop: Header=BB6_3506 Depth=4
	s_delay_alu instid0(SALU_CYCLE_1)
	s_or_b32 exec_lo, exec_lo, s73
.LBB6_3878:                             ;   in Loop: Header=BB6_3506 Depth=4
	s_delay_alu instid0(SALU_CYCLE_1) | instskip(NEXT) | instid1(VALU_DEP_1)
	s_or_b32 exec_lo, exec_lo, s72
	v_dual_mul_f32 v2, v2, v1 :: v_dual_mov_b32 v15, v21
	s_delay_alu instid0(VALU_DEP_1) | instskip(SKIP_1) | instid1(VALU_DEP_2)
	v_and_b32_e32 v14, 0x7f800000, v2
	v_and_b32_e32 v20, 0x7fffff, v2
	v_cmp_ne_u64_e32 vcc_lo, 0x7f800000, v[14:15]
                                        ; implicit-def: $vgpr14
	s_and_saveexec_b32 s13, vcc_lo
	s_delay_alu instid0(SALU_CYCLE_1)
	s_xor_b32 s72, exec_lo, s13
	s_cbranch_execz .LBB6_3896
; %bb.3879:                             ;   in Loop: Header=BB6_3506 Depth=4
	v_and_b32_e32 v14, 0x7fffffff, v2
	v_dual_mov_b32 v15, v21 :: v_dual_lshrrev_b32 v1, 24, v2
	s_delay_alu instid0(VALU_DEP_1) | instskip(NEXT) | instid1(VALU_DEP_2)
	v_cmp_gt_u64_e32 vcc_lo, 0x47600001, v[14:15]
	v_and_b32_e32 v1, 0x80, v1
                                        ; implicit-def: $vgpr14
	s_and_saveexec_b32 s13, vcc_lo
	s_delay_alu instid0(SALU_CYCLE_1)
	s_xor_b32 s73, exec_lo, s13
	s_cbranch_execz .LBB6_3893
; %bb.3880:                             ;   in Loop: Header=BB6_3506 Depth=4
	v_mov_b32_e32 v14, 0
	s_mov_b32 s74, exec_lo
	v_cmpx_ne_u32_e32 0, v2
	s_cbranch_execz .LBB6_3892
; %bb.3881:                             ;   in Loop: Header=BB6_3506 Depth=4
	v_bfe_u32 v5, v2, 23, 8
	v_or_b32_e32 v3, 0x800000, v20
	s_delay_alu instid0(VALU_DEP_2) | instskip(SKIP_2) | instid1(VALU_DEP_2)
	v_cmp_gt_u32_e64 s13, 0x72, v5
	v_sub_nc_u32_e32 v2, 0x71, v5
	v_cmp_eq_u32_e32 vcc_lo, 0, v5
	v_cndmask_b32_e64 v2, 0, v2, s13
	s_delay_alu instid0(VALU_DEP_1) | instskip(SKIP_1) | instid1(VALU_DEP_2)
	v_cndmask_b32_e64 v7, v2, 0x70, vcc_lo
	v_dual_cndmask_b32 v2, v3, v20 :: v_dual_mov_b32 v3, v21
	v_dual_add_nc_u32 v14, 21, v7 :: v_dual_add_nc_u32 v20, 20, v7
	s_delay_alu instid0(VALU_DEP_1) | instskip(NEXT) | instid1(VALU_DEP_2)
	v_lshlrev_b64_e64 v[14:15], v14, -1
	v_lshlrev_b64_e64 v[24:25], v20, 1
	s_delay_alu instid0(VALU_DEP_2) | instskip(SKIP_1) | instid1(VALU_DEP_4)
	v_bfi_b32 v14, v14, 0, v2
	v_lshrrev_b64 v[2:3], v7, v[2:3]
	v_bfi_b32 v15, v15, 0, 0
	s_delay_alu instid0(VALU_DEP_1) | instskip(NEXT) | instid1(VALU_DEP_3)
	v_cmp_eq_u64_e64 s13, v[14:15], v[24:25]
	v_mov_b64_e32 v[14:15], v[2:3]
	s_and_saveexec_b32 s75, s13
; %bb.3882:                             ;   in Loop: Header=BB6_3506 Depth=4
	v_bfe_u32 v14, v2, 21, 1
	v_mov_b32_e32 v15, v21
	s_delay_alu instid0(VALU_DEP_1) | instskip(NEXT) | instid1(VALU_DEP_1)
	v_add_nc_u64_e32 v[14:15], v[2:3], v[14:15]
	v_add_nc_u64_e32 v[14:15], -1, v[14:15]
; %bb.3883:                             ;   in Loop: Header=BB6_3506 Depth=4
	s_or_b32 exec_lo, exec_lo, s75
	v_add_nc_u32_e32 v3, 0xffffff81, v5
	s_delay_alu instid0(VALU_DEP_2) | instskip(SKIP_2) | instid1(VALU_DEP_3)
	v_and_b32_e32 v15, 0x1fffff, v14
	v_lshrrev_b32_e32 v5, 23, v2
	s_mov_b32 s13, exec_lo
	v_cndmask_b32_e64 v3, v3, 0xffffff82, vcc_lo
	s_delay_alu instid0(VALU_DEP_3) | instskip(NEXT) | instid1(VALU_DEP_2)
	v_add_nc_u32_e32 v20, v15, v2
	v_add3_u32 v14, v7, v3, v5
                                        ; implicit-def: $vgpr2_vgpr3
                                        ; implicit-def: $vgpr5
	s_delay_alu instid0(VALU_DEP_1) | instskip(NEXT) | instid1(VALU_DEP_1)
	v_add_nc_u32_e32 v7, 14, v14
	v_cmpx_ne_u32_e32 0, v7
	s_xor_b32 s13, exec_lo, s13
; %bb.3884:                             ;   in Loop: Header=BB6_3506 Depth=4
	v_cmp_lt_u64_e32 vcc_lo, 0xffffff, v[20:21]
	v_add_nc_u32_e32 v2, 15, v14
	s_delay_alu instid0(VALU_DEP_1) | instskip(SKIP_1) | instid1(VALU_DEP_1)
	v_cndmask_b32_e32 v5, v7, v2, vcc_lo
	v_cndmask_b32_e64 v2, 0, 1, vcc_lo
	v_lshrrev_b64 v[2:3], v2, v[20:21]
; %bb.3885:                             ;   in Loop: Header=BB6_3506 Depth=4
	s_and_not1_saveexec_b32 s13, s13
; %bb.3886:                             ;   in Loop: Header=BB6_3506 Depth=4
	v_mov_b64_e32 v[2:3], v[20:21]
	v_bfe_u32 v5, v20, 23, 1
; %bb.3887:                             ;   in Loop: Header=BB6_3506 Depth=4
	s_or_b32 exec_lo, exec_lo, s13
	s_delay_alu instid0(VALU_DEP_2) | instskip(NEXT) | instid1(VALU_DEP_2)
	v_lshrrev_b64 v[2:3], 21, v[2:3]
	v_cmp_gt_i32_e32 vcc_lo, 32, v5
	v_cmp_ne_u32_e64 s13, 0, v5
                                        ; implicit-def: $vgpr14
	s_delay_alu instid0(VALU_DEP_3) | instskip(NEXT) | instid1(VALU_DEP_1)
	v_dual_cndmask_b32 v3, 0, v3 :: v_dual_cndmask_b32 v2, 3, v2
	v_cmp_ne_u64_e32 vcc_lo, 0, v[2:3]
	s_or_b32 s13, s13, vcc_lo
	s_delay_alu instid0(SALU_CYCLE_1) | instskip(NEXT) | instid1(SALU_CYCLE_1)
	s_and_saveexec_b32 s75, s13
	s_xor_b32 s13, exec_lo, s75
; %bb.3888:                             ;   in Loop: Header=BB6_3506 Depth=4
	v_min_i32_e32 v3, 31, v5
	s_delay_alu instid0(VALU_DEP_1) | instskip(NEXT) | instid1(VALU_DEP_1)
	v_lshl_or_b32 v1, v3, 2, v1
	v_and_or_b32 v14, v2, 3, v1
                                        ; implicit-def: $vgpr1
; %bb.3889:                             ;   in Loop: Header=BB6_3506 Depth=4
	s_and_not1_saveexec_b32 s13, s13
; %bb.3890:                             ;   in Loop: Header=BB6_3506 Depth=4
	v_mov_b32_e32 v14, v1
; %bb.3891:                             ;   in Loop: Header=BB6_3506 Depth=4
	s_or_b32 exec_lo, exec_lo, s13
.LBB6_3892:                             ;   in Loop: Header=BB6_3506 Depth=4
	s_delay_alu instid0(SALU_CYCLE_1)
	s_or_b32 exec_lo, exec_lo, s74
                                        ; implicit-def: $vgpr1
.LBB6_3893:                             ;   in Loop: Header=BB6_3506 Depth=4
	s_and_not1_saveexec_b32 s13, s73
; %bb.3894:                             ;   in Loop: Header=BB6_3506 Depth=4
	v_or_b32_e32 v14, 0x7b, v1
; %bb.3895:                             ;   in Loop: Header=BB6_3506 Depth=4
	s_or_b32 exec_lo, exec_lo, s13
                                        ; implicit-def: $vgpr2
.LBB6_3896:                             ;   in Loop: Header=BB6_3506 Depth=4
	s_and_not1_saveexec_b32 s13, s72
	s_cbranch_execz .LBB6_3902
; %bb.3897:                             ;   in Loop: Header=BB6_3506 Depth=4
	s_mov_b32 s72, exec_lo
                                        ; implicit-def: $vgpr14
	v_cmpx_ne_u64_e32 0, v[20:21]
	s_xor_b32 s72, exec_lo, s72
; %bb.3898:                             ;   in Loop: Header=BB6_3506 Depth=4
	v_lshrrev_b32_e32 v1, 24, v2
                                        ; implicit-def: $vgpr2
	s_delay_alu instid0(VALU_DEP_1)
	v_or_b32_e32 v14, 0x7f, v1
; %bb.3899:                             ;   in Loop: Header=BB6_3506 Depth=4
	s_and_not1_saveexec_b32 s72, s72
; %bb.3900:                             ;   in Loop: Header=BB6_3506 Depth=4
	v_cmp_lt_i32_e32 vcc_lo, -1, v2
	v_cndmask_b32_e64 v14, -4, 0x7c, vcc_lo
; %bb.3901:                             ;   in Loop: Header=BB6_3506 Depth=4
	s_or_b32 exec_lo, exec_lo, s72
.LBB6_3902:                             ;   in Loop: Header=BB6_3506 Depth=4
	s_delay_alu instid0(SALU_CYCLE_1)
	s_or_b32 exec_lo, exec_lo, s13
	v_dual_mov_b32 v1, 0 :: v_dual_mov_b32 v2, 0
	s_mov_b32 s72, exec_lo
	v_cmpx_ne_u16_e32 0, v68
	s_cbranch_execz .LBB6_3912
; %bb.3903:                             ;   in Loop: Header=BB6_3506 Depth=4
	v_bfrev_b32_e32 v2, 1
	s_mov_b32 s73, exec_lo
	v_cmpx_ne_u16_e32 0xff80, v68
	s_cbranch_execz .LBB6_3911
; %bb.3904:                             ;   in Loop: Header=BB6_3506 Depth=4
	v_and_b32_e32 v2, 0x7c, v68
	v_and_b32_e32 v3, 3, v68
	s_delay_alu instid0(VALU_DEP_2) | instskip(SKIP_1) | instid1(SALU_CYCLE_1)
	v_cmp_ne_u32_e32 vcc_lo, 0x7c, v2
                                        ; implicit-def: $vgpr2
	s_and_saveexec_b32 s13, vcc_lo
	s_xor_b32 s13, exec_lo, s13
	s_cbranch_execz .LBB6_3908
; %bb.3905:                             ;   in Loop: Header=BB6_3506 Depth=4
	v_and_b32_e32 v2, 0xff, v68
	s_mov_b32 s74, exec_lo
	s_delay_alu instid0(VALU_DEP_1) | instskip(NEXT) | instid1(VALU_DEP_1)
	v_bfe_u32 v2, v2, 2, 5
	v_cmpx_eq_u32_e32 0, v2
	s_cbranch_execz .LBB6_3907
; %bb.3906:                             ;   in Loop: Header=BB6_3506 Depth=4
	v_clz_i32_u32_e32 v2, v3
	s_delay_alu instid0(VALU_DEP_1) | instskip(SKIP_1) | instid1(VALU_DEP_2)
	v_min_u32_e32 v2, 32, v2
	v_mov_b32_e32 v69, v21
	v_subrev_nc_u32_e32 v3, 29, v2
	v_sub_nc_u32_e32 v2, 30, v2
	s_delay_alu instid0(VALU_DEP_2) | instskip(NEXT) | instid1(VALU_DEP_1)
	v_lshlrev_b64_e32 v[24:25], v3, v[68:69]
	v_and_b32_e32 v3, 3, v24
.LBB6_3907:                             ;   in Loop: Header=BB6_3506 Depth=4
	s_or_b32 exec_lo, exec_lo, s74
	v_bfe_i32 v5, v68, 0, 16
                                        ; implicit-def: $vgpr68
	s_delay_alu instid0(VALU_DEP_1) | instskip(NEXT) | instid1(VALU_DEP_1)
	v_and_b32_e32 v5, 0x80000000, v5
	v_lshl_add_u32 v2, v2, 23, v5
	s_delay_alu instid0(VALU_DEP_1) | instskip(NEXT) | instid1(VALU_DEP_1)
	v_lshl_or_b32 v2, v3, 21, v2
                                        ; implicit-def: $vgpr3
	v_add_nc_u32_e32 v2, 0x38000000, v2
.LBB6_3908:                             ;   in Loop: Header=BB6_3506 Depth=4
	s_and_not1_saveexec_b32 s74, s13
; %bb.3909:                             ;   in Loop: Header=BB6_3506 Depth=4
	v_cmp_lt_i16_e64 s13, -1, v68
	v_mov_b32_e32 v2, 0x7f800000
	v_cmp_eq_u32_e32 vcc_lo, 0, v3
	s_delay_alu instid0(VALU_DEP_2) | instskip(NEXT) | instid1(VALU_DEP_1)
	v_cndmask_b32_e64 v2, 0xff800000, v2, s13
	v_cndmask_b32_e32 v2, 0x7f800001, v2, vcc_lo
; %bb.3910:                             ;   in Loop: Header=BB6_3506 Depth=4
	s_or_b32 exec_lo, exec_lo, s74
.LBB6_3911:                             ;   in Loop: Header=BB6_3506 Depth=4
	s_delay_alu instid0(SALU_CYCLE_1)
	s_or_b32 exec_lo, exec_lo, s73
.LBB6_3912:                             ;   in Loop: Header=BB6_3506 Depth=4
	s_delay_alu instid0(SALU_CYCLE_1) | instskip(NEXT) | instid1(SALU_CYCLE_1)
	s_or_b32 exec_lo, exec_lo, s72
	s_mov_b32 s72, exec_lo
	v_cmpx_ne_u16_e32 0, v6
	s_cbranch_execz .LBB6_3922
; %bb.3913:                             ;   in Loop: Header=BB6_3506 Depth=4
	v_bfrev_b32_e32 v1, 1
	s_mov_b32 s73, exec_lo
	v_cmpx_ne_u16_e32 0xff80, v6
	s_cbranch_execz .LBB6_3921
; %bb.3914:                             ;   in Loop: Header=BB6_3506 Depth=4
	v_and_b32_e32 v1, 0x7c, v6
	v_and_b32_e32 v3, 3, v6
	s_delay_alu instid0(VALU_DEP_2) | instskip(SKIP_1) | instid1(SALU_CYCLE_1)
	v_cmp_ne_u32_e32 vcc_lo, 0x7c, v1
                                        ; implicit-def: $vgpr1
	s_and_saveexec_b32 s13, vcc_lo
	s_xor_b32 s13, exec_lo, s13
	s_cbranch_execz .LBB6_3918
; %bb.3915:                             ;   in Loop: Header=BB6_3506 Depth=4
	v_and_b32_e32 v1, 0xff, v6
	s_mov_b32 s74, exec_lo
	s_delay_alu instid0(VALU_DEP_1) | instskip(NEXT) | instid1(VALU_DEP_1)
	v_bfe_u32 v1, v1, 2, 5
	v_cmpx_eq_u32_e32 0, v1
	s_cbranch_execz .LBB6_3917
; %bb.3916:                             ;   in Loop: Header=BB6_3506 Depth=4
	v_clz_i32_u32_e32 v1, v3
	s_delay_alu instid0(VALU_DEP_1) | instskip(SKIP_1) | instid1(VALU_DEP_2)
	v_min_u32_e32 v1, 32, v1
	v_mov_b32_e32 v7, v21
	v_subrev_nc_u32_e32 v3, 29, v1
	v_sub_nc_u32_e32 v1, 30, v1
	s_delay_alu instid0(VALU_DEP_2) | instskip(NEXT) | instid1(VALU_DEP_1)
	v_lshlrev_b64_e32 v[24:25], v3, v[6:7]
	v_and_b32_e32 v3, 3, v24
.LBB6_3917:                             ;   in Loop: Header=BB6_3506 Depth=4
	s_or_b32 exec_lo, exec_lo, s74
	v_bfe_i32 v5, v6, 0, 16
                                        ; implicit-def: $vgpr6
	s_delay_alu instid0(VALU_DEP_1) | instskip(NEXT) | instid1(VALU_DEP_1)
	v_and_b32_e32 v5, 0x80000000, v5
	v_lshl_add_u32 v1, v1, 23, v5
	s_delay_alu instid0(VALU_DEP_1) | instskip(NEXT) | instid1(VALU_DEP_1)
	v_lshl_or_b32 v1, v3, 21, v1
                                        ; implicit-def: $vgpr3
	v_add_nc_u32_e32 v1, 0x38000000, v1
.LBB6_3918:                             ;   in Loop: Header=BB6_3506 Depth=4
	s_and_not1_saveexec_b32 s74, s13
; %bb.3919:                             ;   in Loop: Header=BB6_3506 Depth=4
	v_cmp_lt_i16_e64 s13, -1, v6
	v_mov_b32_e32 v1, 0x7f800000
	v_cmp_eq_u32_e32 vcc_lo, 0, v3
	s_delay_alu instid0(VALU_DEP_2) | instskip(NEXT) | instid1(VALU_DEP_1)
	v_cndmask_b32_e64 v1, 0xff800000, v1, s13
	v_cndmask_b32_e32 v1, 0x7f800001, v1, vcc_lo
; %bb.3920:                             ;   in Loop: Header=BB6_3506 Depth=4
	s_or_b32 exec_lo, exec_lo, s74
.LBB6_3921:                             ;   in Loop: Header=BB6_3506 Depth=4
	s_delay_alu instid0(SALU_CYCLE_1)
	s_or_b32 exec_lo, exec_lo, s73
.LBB6_3922:                             ;   in Loop: Header=BB6_3506 Depth=4
	s_delay_alu instid0(SALU_CYCLE_1) | instskip(NEXT) | instid1(VALU_DEP_1)
	s_or_b32 exec_lo, exec_lo, s72
	v_dual_mul_f32 v2, v2, v1 :: v_dual_mov_b32 v7, v21
                                        ; implicit-def: $vgpr15
	s_mov_b32 s13, exec_lo
	s_delay_alu instid0(VALU_DEP_1) | instskip(SKIP_1) | instid1(VALU_DEP_2)
	v_and_b32_e32 v6, 0x7f800000, v2
	v_and_b32_e32 v20, 0x7fffff, v2
	v_cmpx_ne_u64_e32 0x7f800000, v[6:7]
	s_xor_b32 s72, exec_lo, s13
	s_cbranch_execz .LBB6_3940
; %bb.3923:                             ;   in Loop: Header=BB6_3506 Depth=4
	v_dual_mov_b32 v7, v21 :: v_dual_lshrrev_b32 v1, 24, v2
	v_and_b32_e32 v6, 0x7fffffff, v2
                                        ; implicit-def: $vgpr15
	s_mov_b32 s13, exec_lo
	s_delay_alu instid0(VALU_DEP_2) | instskip(NEXT) | instid1(VALU_DEP_2)
	v_and_b32_e32 v1, 0x80, v1
	v_cmpx_gt_u64_e32 0x47600001, v[6:7]
	s_xor_b32 s73, exec_lo, s13
	s_cbranch_execz .LBB6_3937
; %bb.3924:                             ;   in Loop: Header=BB6_3506 Depth=4
	v_mov_b32_e32 v15, 0
	s_mov_b32 s74, exec_lo
	v_cmpx_ne_u32_e32 0, v2
	s_cbranch_execz .LBB6_3936
; %bb.3925:                             ;   in Loop: Header=BB6_3506 Depth=4
	v_bfe_u32 v5, v2, 23, 8
	v_or_b32_e32 v3, 0x800000, v20
	s_delay_alu instid0(VALU_DEP_2) | instskip(SKIP_2) | instid1(VALU_DEP_2)
	v_cmp_gt_u32_e64 s13, 0x72, v5
	v_sub_nc_u32_e32 v2, 0x71, v5
	v_cmp_eq_u32_e32 vcc_lo, 0, v5
	v_cndmask_b32_e64 v2, 0, v2, s13
	s_delay_alu instid0(VALU_DEP_1) | instskip(SKIP_1) | instid1(VALU_DEP_2)
	v_cndmask_b32_e64 v15, v2, 0x70, vcc_lo
	v_dual_cndmask_b32 v2, v3, v20 :: v_dual_mov_b32 v3, v21
	v_dual_add_nc_u32 v6, 21, v15 :: v_dual_add_nc_u32 v20, 20, v15
	s_delay_alu instid0(VALU_DEP_1) | instskip(NEXT) | instid1(VALU_DEP_2)
	v_lshlrev_b64_e64 v[6:7], v6, -1
	v_lshlrev_b64_e64 v[24:25], v20, 1
	s_delay_alu instid0(VALU_DEP_2) | instskip(SKIP_1) | instid1(VALU_DEP_4)
	v_bfi_b32 v6, v6, 0, v2
	v_lshrrev_b64 v[2:3], v15, v[2:3]
	v_bfi_b32 v7, v7, 0, 0
	s_delay_alu instid0(VALU_DEP_1) | instskip(NEXT) | instid1(VALU_DEP_3)
	v_cmp_eq_u64_e64 s13, v[6:7], v[24:25]
	v_mov_b64_e32 v[6:7], v[2:3]
	s_and_saveexec_b32 s75, s13
; %bb.3926:                             ;   in Loop: Header=BB6_3506 Depth=4
	v_bfe_u32 v6, v2, 21, 1
	v_mov_b32_e32 v7, v21
	s_delay_alu instid0(VALU_DEP_1) | instskip(NEXT) | instid1(VALU_DEP_1)
	v_add_nc_u64_e32 v[6:7], v[2:3], v[6:7]
	v_add_nc_u64_e32 v[6:7], -1, v[6:7]
; %bb.3927:                             ;   in Loop: Header=BB6_3506 Depth=4
	s_or_b32 exec_lo, exec_lo, s75
	v_add_nc_u32_e32 v3, 0xffffff81, v5
	s_delay_alu instid0(VALU_DEP_2) | instskip(SKIP_2) | instid1(VALU_DEP_3)
	v_and_b32_e32 v6, 0x1fffff, v6
	v_lshrrev_b32_e32 v5, 23, v2
	s_mov_b32 s13, exec_lo
	v_cndmask_b32_e64 v3, v3, 0xffffff82, vcc_lo
	s_delay_alu instid0(VALU_DEP_3) | instskip(NEXT) | instid1(VALU_DEP_2)
	v_add_nc_u32_e32 v20, v6, v2
	v_add3_u32 v7, v15, v3, v5
                                        ; implicit-def: $vgpr2_vgpr3
                                        ; implicit-def: $vgpr5
	s_delay_alu instid0(VALU_DEP_1) | instskip(NEXT) | instid1(VALU_DEP_1)
	v_add_nc_u32_e32 v6, 14, v7
	v_cmpx_ne_u32_e32 0, v6
	s_xor_b32 s13, exec_lo, s13
; %bb.3928:                             ;   in Loop: Header=BB6_3506 Depth=4
	v_cmp_lt_u64_e32 vcc_lo, 0xffffff, v[20:21]
	v_add_nc_u32_e32 v2, 15, v7
	s_delay_alu instid0(VALU_DEP_1) | instskip(SKIP_1) | instid1(VALU_DEP_1)
	v_cndmask_b32_e32 v5, v6, v2, vcc_lo
	v_cndmask_b32_e64 v2, 0, 1, vcc_lo
	v_lshrrev_b64 v[2:3], v2, v[20:21]
; %bb.3929:                             ;   in Loop: Header=BB6_3506 Depth=4
	s_and_not1_saveexec_b32 s13, s13
; %bb.3930:                             ;   in Loop: Header=BB6_3506 Depth=4
	v_mov_b64_e32 v[2:3], v[20:21]
	v_bfe_u32 v5, v20, 23, 1
; %bb.3931:                             ;   in Loop: Header=BB6_3506 Depth=4
	s_or_b32 exec_lo, exec_lo, s13
	s_delay_alu instid0(VALU_DEP_2) | instskip(NEXT) | instid1(VALU_DEP_2)
	v_lshrrev_b64 v[2:3], 21, v[2:3]
	v_cmp_gt_i32_e32 vcc_lo, 32, v5
	v_cmp_ne_u32_e64 s13, 0, v5
                                        ; implicit-def: $vgpr15
	s_delay_alu instid0(VALU_DEP_3) | instskip(NEXT) | instid1(VALU_DEP_1)
	v_dual_cndmask_b32 v3, 0, v3 :: v_dual_cndmask_b32 v2, 3, v2
	v_cmp_ne_u64_e32 vcc_lo, 0, v[2:3]
	s_or_b32 s13, s13, vcc_lo
	s_delay_alu instid0(SALU_CYCLE_1) | instskip(NEXT) | instid1(SALU_CYCLE_1)
	s_and_saveexec_b32 s75, s13
	s_xor_b32 s13, exec_lo, s75
; %bb.3932:                             ;   in Loop: Header=BB6_3506 Depth=4
	v_min_i32_e32 v3, 31, v5
	s_delay_alu instid0(VALU_DEP_1) | instskip(NEXT) | instid1(VALU_DEP_1)
	v_lshl_or_b32 v1, v3, 2, v1
	v_and_or_b32 v15, v2, 3, v1
                                        ; implicit-def: $vgpr1
; %bb.3933:                             ;   in Loop: Header=BB6_3506 Depth=4
	s_and_not1_saveexec_b32 s13, s13
; %bb.3934:                             ;   in Loop: Header=BB6_3506 Depth=4
	v_mov_b32_e32 v15, v1
; %bb.3935:                             ;   in Loop: Header=BB6_3506 Depth=4
	s_or_b32 exec_lo, exec_lo, s13
.LBB6_3936:                             ;   in Loop: Header=BB6_3506 Depth=4
	s_delay_alu instid0(SALU_CYCLE_1)
	s_or_b32 exec_lo, exec_lo, s74
                                        ; implicit-def: $vgpr1
.LBB6_3937:                             ;   in Loop: Header=BB6_3506 Depth=4
	s_and_not1_saveexec_b32 s13, s73
; %bb.3938:                             ;   in Loop: Header=BB6_3506 Depth=4
	v_or_b32_e32 v15, 0x7b, v1
; %bb.3939:                             ;   in Loop: Header=BB6_3506 Depth=4
	s_or_b32 exec_lo, exec_lo, s13
                                        ; implicit-def: $vgpr2
.LBB6_3940:                             ;   in Loop: Header=BB6_3506 Depth=4
	s_and_not1_saveexec_b32 s13, s72
	s_cbranch_execz .LBB6_3946
; %bb.3941:                             ;   in Loop: Header=BB6_3506 Depth=4
	s_mov_b32 s72, exec_lo
                                        ; implicit-def: $vgpr15
	v_cmpx_ne_u64_e32 0, v[20:21]
	s_xor_b32 s72, exec_lo, s72
; %bb.3942:                             ;   in Loop: Header=BB6_3506 Depth=4
	v_lshrrev_b32_e32 v1, 24, v2
                                        ; implicit-def: $vgpr2
	s_delay_alu instid0(VALU_DEP_1)
	v_or_b32_e32 v15, 0x7f, v1
; %bb.3943:                             ;   in Loop: Header=BB6_3506 Depth=4
	s_and_not1_saveexec_b32 s72, s72
; %bb.3944:                             ;   in Loop: Header=BB6_3506 Depth=4
	v_cmp_lt_i32_e32 vcc_lo, -1, v2
	v_cndmask_b32_e64 v15, -4, 0x7c, vcc_lo
; %bb.3945:                             ;   in Loop: Header=BB6_3506 Depth=4
	s_or_b32 exec_lo, exec_lo, s72
.LBB6_3946:                             ;   in Loop: Header=BB6_3506 Depth=4
	s_delay_alu instid0(SALU_CYCLE_1)
	s_or_b32 exec_lo, exec_lo, s13
	v_dual_mov_b32 v1, 0 :: v_dual_mov_b32 v2, 0
	s_mov_b32 s72, exec_lo
	v_cmpx_ne_u16_e32 0, v70
	s_cbranch_execz .LBB6_3956
; %bb.3947:                             ;   in Loop: Header=BB6_3506 Depth=4
	v_bfrev_b32_e32 v2, 1
	s_mov_b32 s73, exec_lo
	v_cmpx_ne_u16_e32 0xff80, v70
	s_cbranch_execz .LBB6_3955
; %bb.3948:                             ;   in Loop: Header=BB6_3506 Depth=4
	v_and_b32_e32 v2, 0x7c, v70
	v_and_b32_e32 v3, 3, v70
	s_delay_alu instid0(VALU_DEP_2) | instskip(SKIP_1) | instid1(SALU_CYCLE_1)
	v_cmp_ne_u32_e32 vcc_lo, 0x7c, v2
                                        ; implicit-def: $vgpr2
	s_and_saveexec_b32 s13, vcc_lo
	s_xor_b32 s13, exec_lo, s13
	s_cbranch_execz .LBB6_3952
; %bb.3949:                             ;   in Loop: Header=BB6_3506 Depth=4
	v_and_b32_e32 v2, 0xff, v70
	s_mov_b32 s74, exec_lo
	s_delay_alu instid0(VALU_DEP_1) | instskip(NEXT) | instid1(VALU_DEP_1)
	v_bfe_u32 v2, v2, 2, 5
	v_cmpx_eq_u32_e32 0, v2
	s_cbranch_execz .LBB6_3951
; %bb.3950:                             ;   in Loop: Header=BB6_3506 Depth=4
	v_clz_i32_u32_e32 v2, v3
	s_delay_alu instid0(VALU_DEP_1) | instskip(SKIP_1) | instid1(VALU_DEP_2)
	v_min_u32_e32 v2, 32, v2
	v_mov_b32_e32 v71, v21
	v_subrev_nc_u32_e32 v3, 29, v2
	v_sub_nc_u32_e32 v2, 30, v2
	s_delay_alu instid0(VALU_DEP_2) | instskip(NEXT) | instid1(VALU_DEP_1)
	v_lshlrev_b64_e32 v[6:7], v3, v[70:71]
	v_and_b32_e32 v3, 3, v6
.LBB6_3951:                             ;   in Loop: Header=BB6_3506 Depth=4
	s_or_b32 exec_lo, exec_lo, s74
	v_bfe_i32 v5, v70, 0, 16
                                        ; implicit-def: $vgpr70
	s_delay_alu instid0(VALU_DEP_1) | instskip(NEXT) | instid1(VALU_DEP_1)
	v_and_b32_e32 v5, 0x80000000, v5
	v_lshl_add_u32 v2, v2, 23, v5
	s_delay_alu instid0(VALU_DEP_1) | instskip(NEXT) | instid1(VALU_DEP_1)
	v_lshl_or_b32 v2, v3, 21, v2
                                        ; implicit-def: $vgpr3
	v_add_nc_u32_e32 v2, 0x38000000, v2
.LBB6_3952:                             ;   in Loop: Header=BB6_3506 Depth=4
	s_and_not1_saveexec_b32 s74, s13
; %bb.3953:                             ;   in Loop: Header=BB6_3506 Depth=4
	v_cmp_lt_i16_e64 s13, -1, v70
	v_mov_b32_e32 v2, 0x7f800000
	v_cmp_eq_u32_e32 vcc_lo, 0, v3
	s_delay_alu instid0(VALU_DEP_2) | instskip(NEXT) | instid1(VALU_DEP_1)
	v_cndmask_b32_e64 v2, 0xff800000, v2, s13
	v_cndmask_b32_e32 v2, 0x7f800001, v2, vcc_lo
; %bb.3954:                             ;   in Loop: Header=BB6_3506 Depth=4
	s_or_b32 exec_lo, exec_lo, s74
.LBB6_3955:                             ;   in Loop: Header=BB6_3506 Depth=4
	s_delay_alu instid0(SALU_CYCLE_1)
	s_or_b32 exec_lo, exec_lo, s73
.LBB6_3956:                             ;   in Loop: Header=BB6_3506 Depth=4
	s_delay_alu instid0(SALU_CYCLE_1) | instskip(NEXT) | instid1(SALU_CYCLE_1)
	s_or_b32 exec_lo, exec_lo, s72
	s_mov_b32 s72, exec_lo
	v_cmpx_ne_u16_e32 0, v116
	s_cbranch_execz .LBB6_3966
; %bb.3957:                             ;   in Loop: Header=BB6_3506 Depth=4
	v_bfrev_b32_e32 v1, 1
	s_mov_b32 s73, exec_lo
	v_cmpx_ne_u16_e32 0xff80, v116
	s_cbranch_execz .LBB6_3965
; %bb.3958:                             ;   in Loop: Header=BB6_3506 Depth=4
	v_and_b32_e32 v1, 0x7c, v116
	v_and_b32_e32 v3, 3, v116
	s_delay_alu instid0(VALU_DEP_2) | instskip(SKIP_1) | instid1(SALU_CYCLE_1)
	v_cmp_ne_u32_e32 vcc_lo, 0x7c, v1
                                        ; implicit-def: $vgpr1
	s_and_saveexec_b32 s13, vcc_lo
	s_xor_b32 s13, exec_lo, s13
	s_cbranch_execz .LBB6_3962
; %bb.3959:                             ;   in Loop: Header=BB6_3506 Depth=4
	v_and_b32_e32 v1, 0xff, v116
	s_mov_b32 s74, exec_lo
	s_delay_alu instid0(VALU_DEP_1) | instskip(NEXT) | instid1(VALU_DEP_1)
	v_bfe_u32 v1, v1, 2, 5
	v_cmpx_eq_u32_e32 0, v1
	s_cbranch_execz .LBB6_3961
; %bb.3960:                             ;   in Loop: Header=BB6_3506 Depth=4
	v_clz_i32_u32_e32 v1, v3
	s_delay_alu instid0(VALU_DEP_1) | instskip(SKIP_1) | instid1(VALU_DEP_2)
	v_min_u32_e32 v1, 32, v1
	v_mov_b32_e32 v117, v21
	v_subrev_nc_u32_e32 v3, 29, v1
	v_sub_nc_u32_e32 v1, 30, v1
	s_delay_alu instid0(VALU_DEP_2) | instskip(NEXT) | instid1(VALU_DEP_1)
	v_lshlrev_b64_e32 v[6:7], v3, v[116:117]
	v_and_b32_e32 v3, 3, v6
.LBB6_3961:                             ;   in Loop: Header=BB6_3506 Depth=4
	s_or_b32 exec_lo, exec_lo, s74
	v_bfe_i32 v5, v116, 0, 16
                                        ; implicit-def: $vgpr116
	s_delay_alu instid0(VALU_DEP_1) | instskip(NEXT) | instid1(VALU_DEP_1)
	v_and_b32_e32 v5, 0x80000000, v5
	v_lshl_add_u32 v1, v1, 23, v5
	s_delay_alu instid0(VALU_DEP_1) | instskip(NEXT) | instid1(VALU_DEP_1)
	v_lshl_or_b32 v1, v3, 21, v1
                                        ; implicit-def: $vgpr3
	v_add_nc_u32_e32 v1, 0x38000000, v1
.LBB6_3962:                             ;   in Loop: Header=BB6_3506 Depth=4
	s_and_not1_saveexec_b32 s74, s13
; %bb.3963:                             ;   in Loop: Header=BB6_3506 Depth=4
	v_cmp_lt_i16_e64 s13, -1, v116
	v_mov_b32_e32 v1, 0x7f800000
	v_cmp_eq_u32_e32 vcc_lo, 0, v3
	s_delay_alu instid0(VALU_DEP_2) | instskip(NEXT) | instid1(VALU_DEP_1)
	v_cndmask_b32_e64 v1, 0xff800000, v1, s13
	v_cndmask_b32_e32 v1, 0x7f800001, v1, vcc_lo
; %bb.3964:                             ;   in Loop: Header=BB6_3506 Depth=4
	s_or_b32 exec_lo, exec_lo, s74
.LBB6_3965:                             ;   in Loop: Header=BB6_3506 Depth=4
	s_delay_alu instid0(SALU_CYCLE_1)
	s_or_b32 exec_lo, exec_lo, s73
.LBB6_3966:                             ;   in Loop: Header=BB6_3506 Depth=4
	s_delay_alu instid0(SALU_CYCLE_1) | instskip(NEXT) | instid1(VALU_DEP_1)
	s_or_b32 exec_lo, exec_lo, s72
	v_dual_mul_f32 v2, v2, v1 :: v_dual_mov_b32 v7, v21
                                        ; implicit-def: $vgpr68
	s_mov_b32 s13, exec_lo
	s_delay_alu instid0(VALU_DEP_1) | instskip(SKIP_1) | instid1(VALU_DEP_2)
	v_and_b32_e32 v6, 0x7f800000, v2
	v_and_b32_e32 v20, 0x7fffff, v2
	v_cmpx_ne_u64_e32 0x7f800000, v[6:7]
	s_xor_b32 s72, exec_lo, s13
	s_cbranch_execz .LBB6_3984
; %bb.3967:                             ;   in Loop: Header=BB6_3506 Depth=4
	v_dual_mov_b32 v7, v21 :: v_dual_lshrrev_b32 v1, 24, v2
	v_and_b32_e32 v6, 0x7fffffff, v2
                                        ; implicit-def: $vgpr68
	s_mov_b32 s13, exec_lo
	s_delay_alu instid0(VALU_DEP_2) | instskip(NEXT) | instid1(VALU_DEP_2)
	v_and_b32_e32 v1, 0x80, v1
	v_cmpx_gt_u64_e32 0x47600001, v[6:7]
	s_xor_b32 s73, exec_lo, s13
	s_cbranch_execz .LBB6_3981
; %bb.3968:                             ;   in Loop: Header=BB6_3506 Depth=4
	v_mov_b32_e32 v68, 0
	s_mov_b32 s74, exec_lo
	v_cmpx_ne_u32_e32 0, v2
	s_cbranch_execz .LBB6_3980
; %bb.3969:                             ;   in Loop: Header=BB6_3506 Depth=4
	v_bfe_u32 v5, v2, 23, 8
	v_or_b32_e32 v3, 0x800000, v20
	s_delay_alu instid0(VALU_DEP_2) | instskip(SKIP_2) | instid1(VALU_DEP_2)
	v_cmp_gt_u32_e64 s13, 0x72, v5
	v_sub_nc_u32_e32 v2, 0x71, v5
	v_cmp_eq_u32_e32 vcc_lo, 0, v5
	v_cndmask_b32_e64 v2, 0, v2, s13
	s_delay_alu instid0(VALU_DEP_1) | instskip(SKIP_1) | instid1(VALU_DEP_2)
	v_cndmask_b32_e64 v25, v2, 0x70, vcc_lo
	v_dual_cndmask_b32 v2, v3, v20 :: v_dual_mov_b32 v3, v21
	v_dual_add_nc_u32 v6, 21, v25 :: v_dual_add_nc_u32 v20, 20, v25
	s_delay_alu instid0(VALU_DEP_1) | instskip(NEXT) | instid1(VALU_DEP_2)
	v_lshlrev_b64_e64 v[6:7], v6, -1
	v_lshlrev_b64_e64 v[68:69], v20, 1
	s_delay_alu instid0(VALU_DEP_2) | instskip(SKIP_1) | instid1(VALU_DEP_4)
	v_bfi_b32 v6, v6, 0, v2
	v_lshrrev_b64 v[2:3], v25, v[2:3]
	v_bfi_b32 v7, v7, 0, 0
	s_delay_alu instid0(VALU_DEP_1) | instskip(NEXT) | instid1(VALU_DEP_3)
	v_cmp_eq_u64_e64 s13, v[6:7], v[68:69]
	v_mov_b64_e32 v[6:7], v[2:3]
	s_and_saveexec_b32 s75, s13
; %bb.3970:                             ;   in Loop: Header=BB6_3506 Depth=4
	v_bfe_u32 v6, v2, 21, 1
	v_mov_b32_e32 v7, v21
	s_delay_alu instid0(VALU_DEP_1) | instskip(NEXT) | instid1(VALU_DEP_1)
	v_add_nc_u64_e32 v[6:7], v[2:3], v[6:7]
	v_add_nc_u64_e32 v[6:7], -1, v[6:7]
; %bb.3971:                             ;   in Loop: Header=BB6_3506 Depth=4
	s_or_b32 exec_lo, exec_lo, s75
	v_add_nc_u32_e32 v3, 0xffffff81, v5
	s_delay_alu instid0(VALU_DEP_2) | instskip(SKIP_2) | instid1(VALU_DEP_3)
	v_and_b32_e32 v6, 0x1fffff, v6
	v_lshrrev_b32_e32 v5, 23, v2
	s_mov_b32 s13, exec_lo
	v_cndmask_b32_e64 v3, v3, 0xffffff82, vcc_lo
	s_delay_alu instid0(VALU_DEP_3) | instskip(NEXT) | instid1(VALU_DEP_2)
	v_add_nc_u32_e32 v20, v6, v2
	v_add3_u32 v7, v25, v3, v5
                                        ; implicit-def: $vgpr2_vgpr3
                                        ; implicit-def: $vgpr5
	s_delay_alu instid0(VALU_DEP_1) | instskip(NEXT) | instid1(VALU_DEP_1)
	v_add_nc_u32_e32 v6, 14, v7
	v_cmpx_ne_u32_e32 0, v6
	s_xor_b32 s13, exec_lo, s13
; %bb.3972:                             ;   in Loop: Header=BB6_3506 Depth=4
	v_cmp_lt_u64_e32 vcc_lo, 0xffffff, v[20:21]
	v_add_nc_u32_e32 v2, 15, v7
	s_delay_alu instid0(VALU_DEP_1) | instskip(SKIP_1) | instid1(VALU_DEP_1)
	v_cndmask_b32_e32 v5, v6, v2, vcc_lo
	v_cndmask_b32_e64 v2, 0, 1, vcc_lo
	v_lshrrev_b64 v[2:3], v2, v[20:21]
; %bb.3973:                             ;   in Loop: Header=BB6_3506 Depth=4
	s_and_not1_saveexec_b32 s13, s13
; %bb.3974:                             ;   in Loop: Header=BB6_3506 Depth=4
	v_mov_b64_e32 v[2:3], v[20:21]
	v_bfe_u32 v5, v20, 23, 1
; %bb.3975:                             ;   in Loop: Header=BB6_3506 Depth=4
	s_or_b32 exec_lo, exec_lo, s13
	s_delay_alu instid0(VALU_DEP_2) | instskip(NEXT) | instid1(VALU_DEP_2)
	v_lshrrev_b64 v[2:3], 21, v[2:3]
	v_cmp_gt_i32_e32 vcc_lo, 32, v5
	v_cmp_ne_u32_e64 s13, 0, v5
                                        ; implicit-def: $vgpr68
	s_delay_alu instid0(VALU_DEP_3) | instskip(NEXT) | instid1(VALU_DEP_1)
	v_dual_cndmask_b32 v3, 0, v3 :: v_dual_cndmask_b32 v2, 3, v2
	v_cmp_ne_u64_e32 vcc_lo, 0, v[2:3]
	s_or_b32 s13, s13, vcc_lo
	s_delay_alu instid0(SALU_CYCLE_1) | instskip(NEXT) | instid1(SALU_CYCLE_1)
	s_and_saveexec_b32 s75, s13
	s_xor_b32 s13, exec_lo, s75
; %bb.3976:                             ;   in Loop: Header=BB6_3506 Depth=4
	v_min_i32_e32 v3, 31, v5
	s_delay_alu instid0(VALU_DEP_1) | instskip(NEXT) | instid1(VALU_DEP_1)
	v_lshl_or_b32 v1, v3, 2, v1
	v_and_or_b32 v68, v2, 3, v1
                                        ; implicit-def: $vgpr1
; %bb.3977:                             ;   in Loop: Header=BB6_3506 Depth=4
	s_and_not1_saveexec_b32 s13, s13
; %bb.3978:                             ;   in Loop: Header=BB6_3506 Depth=4
	v_mov_b32_e32 v68, v1
; %bb.3979:                             ;   in Loop: Header=BB6_3506 Depth=4
	s_or_b32 exec_lo, exec_lo, s13
.LBB6_3980:                             ;   in Loop: Header=BB6_3506 Depth=4
	s_delay_alu instid0(SALU_CYCLE_1)
	s_or_b32 exec_lo, exec_lo, s74
                                        ; implicit-def: $vgpr1
.LBB6_3981:                             ;   in Loop: Header=BB6_3506 Depth=4
	s_and_not1_saveexec_b32 s13, s73
; %bb.3982:                             ;   in Loop: Header=BB6_3506 Depth=4
	v_or_b32_e32 v68, 0x7b, v1
; %bb.3983:                             ;   in Loop: Header=BB6_3506 Depth=4
	s_or_b32 exec_lo, exec_lo, s13
                                        ; implicit-def: $vgpr2
.LBB6_3984:                             ;   in Loop: Header=BB6_3506 Depth=4
	s_and_not1_saveexec_b32 s13, s72
	s_cbranch_execz .LBB6_3990
; %bb.3985:                             ;   in Loop: Header=BB6_3506 Depth=4
	s_mov_b32 s72, exec_lo
                                        ; implicit-def: $vgpr68
	v_cmpx_ne_u64_e32 0, v[20:21]
	s_xor_b32 s72, exec_lo, s72
; %bb.3986:                             ;   in Loop: Header=BB6_3506 Depth=4
	v_lshrrev_b32_e32 v1, 24, v2
                                        ; implicit-def: $vgpr2
	s_delay_alu instid0(VALU_DEP_1)
	v_or_b32_e32 v68, 0x7f, v1
; %bb.3987:                             ;   in Loop: Header=BB6_3506 Depth=4
	s_and_not1_saveexec_b32 s72, s72
; %bb.3988:                             ;   in Loop: Header=BB6_3506 Depth=4
	v_cmp_lt_i32_e32 vcc_lo, -1, v2
	v_cndmask_b32_e64 v68, -4, 0x7c, vcc_lo
; %bb.3989:                             ;   in Loop: Header=BB6_3506 Depth=4
	s_or_b32 exec_lo, exec_lo, s72
.LBB6_3990:                             ;   in Loop: Header=BB6_3506 Depth=4
	s_delay_alu instid0(SALU_CYCLE_1)
	s_or_b32 exec_lo, exec_lo, s13
	v_dual_mov_b32 v1, 0 :: v_dual_mov_b32 v2, 0
	s_mov_b32 s72, exec_lo
	v_cmpx_ne_u16_e32 0, v78
	s_cbranch_execz .LBB6_4000
; %bb.3991:                             ;   in Loop: Header=BB6_3506 Depth=4
	v_bfrev_b32_e32 v2, 1
	s_mov_b32 s73, exec_lo
	v_cmpx_ne_u16_e32 0xff80, v78
	s_cbranch_execz .LBB6_3999
; %bb.3992:                             ;   in Loop: Header=BB6_3506 Depth=4
	v_and_b32_e32 v2, 0x7c, v78
	v_and_b32_e32 v3, 3, v78
	s_delay_alu instid0(VALU_DEP_2) | instskip(SKIP_1) | instid1(SALU_CYCLE_1)
	v_cmp_ne_u32_e32 vcc_lo, 0x7c, v2
                                        ; implicit-def: $vgpr2
	s_and_saveexec_b32 s13, vcc_lo
	s_xor_b32 s13, exec_lo, s13
	s_cbranch_execz .LBB6_3996
; %bb.3993:                             ;   in Loop: Header=BB6_3506 Depth=4
	v_and_b32_e32 v2, 0xff, v78
	s_mov_b32 s74, exec_lo
	s_delay_alu instid0(VALU_DEP_1) | instskip(NEXT) | instid1(VALU_DEP_1)
	v_bfe_u32 v2, v2, 2, 5
	v_cmpx_eq_u32_e32 0, v2
	s_cbranch_execz .LBB6_3995
; %bb.3994:                             ;   in Loop: Header=BB6_3506 Depth=4
	v_clz_i32_u32_e32 v2, v3
	s_delay_alu instid0(VALU_DEP_1) | instskip(SKIP_1) | instid1(VALU_DEP_2)
	v_min_u32_e32 v2, 32, v2
	v_mov_b32_e32 v79, v21
	v_subrev_nc_u32_e32 v3, 29, v2
	v_sub_nc_u32_e32 v2, 30, v2
	s_delay_alu instid0(VALU_DEP_2) | instskip(NEXT) | instid1(VALU_DEP_1)
	v_lshlrev_b64_e32 v[6:7], v3, v[78:79]
	v_and_b32_e32 v3, 3, v6
.LBB6_3995:                             ;   in Loop: Header=BB6_3506 Depth=4
	s_or_b32 exec_lo, exec_lo, s74
	v_bfe_i32 v5, v78, 0, 16
                                        ; implicit-def: $vgpr78
	s_delay_alu instid0(VALU_DEP_1) | instskip(NEXT) | instid1(VALU_DEP_1)
	v_and_b32_e32 v5, 0x80000000, v5
	v_lshl_add_u32 v2, v2, 23, v5
	s_delay_alu instid0(VALU_DEP_1) | instskip(NEXT) | instid1(VALU_DEP_1)
	v_lshl_or_b32 v2, v3, 21, v2
                                        ; implicit-def: $vgpr3
	v_add_nc_u32_e32 v2, 0x38000000, v2
.LBB6_3996:                             ;   in Loop: Header=BB6_3506 Depth=4
	s_and_not1_saveexec_b32 s74, s13
; %bb.3997:                             ;   in Loop: Header=BB6_3506 Depth=4
	v_cmp_lt_i16_e64 s13, -1, v78
	v_mov_b32_e32 v2, 0x7f800000
	v_cmp_eq_u32_e32 vcc_lo, 0, v3
	s_delay_alu instid0(VALU_DEP_2) | instskip(NEXT) | instid1(VALU_DEP_1)
	v_cndmask_b32_e64 v2, 0xff800000, v2, s13
	v_cndmask_b32_e32 v2, 0x7f800001, v2, vcc_lo
; %bb.3998:                             ;   in Loop: Header=BB6_3506 Depth=4
	s_or_b32 exec_lo, exec_lo, s74
.LBB6_3999:                             ;   in Loop: Header=BB6_3506 Depth=4
	s_delay_alu instid0(SALU_CYCLE_1)
	s_or_b32 exec_lo, exec_lo, s73
.LBB6_4000:                             ;   in Loop: Header=BB6_3506 Depth=4
	s_delay_alu instid0(SALU_CYCLE_1) | instskip(NEXT) | instid1(SALU_CYCLE_1)
	s_or_b32 exec_lo, exec_lo, s72
	s_mov_b32 s72, exec_lo
	v_cmpx_ne_u16_e32 0, v40
	s_cbranch_execz .LBB6_4010
; %bb.4001:                             ;   in Loop: Header=BB6_3506 Depth=4
	v_bfrev_b32_e32 v1, 1
	s_mov_b32 s73, exec_lo
	v_cmpx_ne_u16_e32 0xff80, v40
	s_cbranch_execz .LBB6_4009
; %bb.4002:                             ;   in Loop: Header=BB6_3506 Depth=4
	v_and_b32_e32 v1, 0x7c, v40
	v_and_b32_e32 v3, 3, v40
	s_delay_alu instid0(VALU_DEP_2) | instskip(SKIP_1) | instid1(SALU_CYCLE_1)
	v_cmp_ne_u32_e32 vcc_lo, 0x7c, v1
                                        ; implicit-def: $vgpr1
	s_and_saveexec_b32 s13, vcc_lo
	s_xor_b32 s13, exec_lo, s13
	s_cbranch_execz .LBB6_4006
; %bb.4003:                             ;   in Loop: Header=BB6_3506 Depth=4
	v_and_b32_e32 v1, 0xff, v40
	s_mov_b32 s74, exec_lo
	s_delay_alu instid0(VALU_DEP_1) | instskip(NEXT) | instid1(VALU_DEP_1)
	v_bfe_u32 v1, v1, 2, 5
	v_cmpx_eq_u32_e32 0, v1
	s_cbranch_execz .LBB6_4005
; %bb.4004:                             ;   in Loop: Header=BB6_3506 Depth=4
	v_clz_i32_u32_e32 v1, v3
	s_delay_alu instid0(VALU_DEP_1) | instskip(SKIP_1) | instid1(VALU_DEP_2)
	v_min_u32_e32 v1, 32, v1
	v_mov_b32_e32 v41, v21
	v_subrev_nc_u32_e32 v3, 29, v1
	v_sub_nc_u32_e32 v1, 30, v1
	s_delay_alu instid0(VALU_DEP_2) | instskip(NEXT) | instid1(VALU_DEP_1)
	v_lshlrev_b64_e32 v[6:7], v3, v[40:41]
	v_and_b32_e32 v3, 3, v6
.LBB6_4005:                             ;   in Loop: Header=BB6_3506 Depth=4
	s_or_b32 exec_lo, exec_lo, s74
	v_bfe_i32 v5, v40, 0, 16
                                        ; implicit-def: $vgpr40
	s_delay_alu instid0(VALU_DEP_1) | instskip(NEXT) | instid1(VALU_DEP_1)
	v_and_b32_e32 v5, 0x80000000, v5
	v_lshl_add_u32 v1, v1, 23, v5
	s_delay_alu instid0(VALU_DEP_1) | instskip(NEXT) | instid1(VALU_DEP_1)
	v_lshl_or_b32 v1, v3, 21, v1
                                        ; implicit-def: $vgpr3
	v_add_nc_u32_e32 v1, 0x38000000, v1
.LBB6_4006:                             ;   in Loop: Header=BB6_3506 Depth=4
	s_and_not1_saveexec_b32 s74, s13
; %bb.4007:                             ;   in Loop: Header=BB6_3506 Depth=4
	v_cmp_lt_i16_e64 s13, -1, v40
	v_mov_b32_e32 v1, 0x7f800000
	v_cmp_eq_u32_e32 vcc_lo, 0, v3
	s_delay_alu instid0(VALU_DEP_2) | instskip(NEXT) | instid1(VALU_DEP_1)
	v_cndmask_b32_e64 v1, 0xff800000, v1, s13
	v_cndmask_b32_e32 v1, 0x7f800001, v1, vcc_lo
; %bb.4008:                             ;   in Loop: Header=BB6_3506 Depth=4
	s_or_b32 exec_lo, exec_lo, s74
.LBB6_4009:                             ;   in Loop: Header=BB6_3506 Depth=4
	s_delay_alu instid0(SALU_CYCLE_1)
	s_or_b32 exec_lo, exec_lo, s73
.LBB6_4010:                             ;   in Loop: Header=BB6_3506 Depth=4
	s_delay_alu instid0(SALU_CYCLE_1) | instskip(NEXT) | instid1(VALU_DEP_1)
	s_or_b32 exec_lo, exec_lo, s72
	v_dual_mul_f32 v2, v2, v1 :: v_dual_mov_b32 v7, v21
	s_delay_alu instid0(VALU_DEP_1) | instskip(SKIP_1) | instid1(VALU_DEP_2)
	v_and_b32_e32 v6, 0x7f800000, v2
	v_and_b32_e32 v20, 0x7fffff, v2
	v_cmp_ne_u64_e32 vcc_lo, 0x7f800000, v[6:7]
                                        ; implicit-def: $vgpr6
	s_and_saveexec_b32 s13, vcc_lo
	s_delay_alu instid0(SALU_CYCLE_1)
	s_xor_b32 s72, exec_lo, s13
	s_cbranch_execz .LBB6_4028
; %bb.4011:                             ;   in Loop: Header=BB6_3506 Depth=4
	v_and_b32_e32 v6, 0x7fffffff, v2
	v_dual_mov_b32 v7, v21 :: v_dual_lshrrev_b32 v1, 24, v2
	s_delay_alu instid0(VALU_DEP_1) | instskip(NEXT) | instid1(VALU_DEP_2)
	v_cmp_gt_u64_e32 vcc_lo, 0x47600001, v[6:7]
	v_and_b32_e32 v1, 0x80, v1
                                        ; implicit-def: $vgpr6
	s_and_saveexec_b32 s13, vcc_lo
	s_delay_alu instid0(SALU_CYCLE_1)
	s_xor_b32 s73, exec_lo, s13
	s_cbranch_execz .LBB6_4025
; %bb.4012:                             ;   in Loop: Header=BB6_3506 Depth=4
	v_mov_b32_e32 v6, 0
	s_mov_b32 s74, exec_lo
	v_cmpx_ne_u32_e32 0, v2
	s_cbranch_execz .LBB6_4024
; %bb.4013:                             ;   in Loop: Header=BB6_3506 Depth=4
	v_bfe_u32 v5, v2, 23, 8
	v_or_b32_e32 v3, 0x800000, v20
	s_delay_alu instid0(VALU_DEP_2) | instskip(SKIP_2) | instid1(VALU_DEP_2)
	v_cmp_gt_u32_e64 s13, 0x72, v5
	v_sub_nc_u32_e32 v2, 0x71, v5
	v_cmp_eq_u32_e32 vcc_lo, 0, v5
	v_cndmask_b32_e64 v2, 0, v2, s13
	s_delay_alu instid0(VALU_DEP_1) | instskip(SKIP_1) | instid1(VALU_DEP_2)
	v_cndmask_b32_e64 v25, v2, 0x70, vcc_lo
	v_dual_cndmask_b32 v2, v3, v20 :: v_dual_mov_b32 v3, v21
	v_dual_add_nc_u32 v6, 21, v25 :: v_dual_add_nc_u32 v20, 20, v25
	s_delay_alu instid0(VALU_DEP_1) | instskip(NEXT) | instid1(VALU_DEP_2)
	v_lshlrev_b64_e64 v[6:7], v6, -1
	v_lshlrev_b64_e64 v[70:71], v20, 1
	s_delay_alu instid0(VALU_DEP_2) | instskip(SKIP_1) | instid1(VALU_DEP_4)
	v_bfi_b32 v6, v6, 0, v2
	v_lshrrev_b64 v[2:3], v25, v[2:3]
	v_bfi_b32 v7, v7, 0, 0
	s_delay_alu instid0(VALU_DEP_1) | instskip(NEXT) | instid1(VALU_DEP_3)
	v_cmp_eq_u64_e64 s13, v[6:7], v[70:71]
	v_mov_b64_e32 v[6:7], v[2:3]
	s_and_saveexec_b32 s75, s13
; %bb.4014:                             ;   in Loop: Header=BB6_3506 Depth=4
	v_bfe_u32 v6, v2, 21, 1
	v_mov_b32_e32 v7, v21
	s_delay_alu instid0(VALU_DEP_1) | instskip(NEXT) | instid1(VALU_DEP_1)
	v_add_nc_u64_e32 v[6:7], v[2:3], v[6:7]
	v_add_nc_u64_e32 v[6:7], -1, v[6:7]
; %bb.4015:                             ;   in Loop: Header=BB6_3506 Depth=4
	s_or_b32 exec_lo, exec_lo, s75
	v_add_nc_u32_e32 v3, 0xffffff81, v5
	s_delay_alu instid0(VALU_DEP_2) | instskip(SKIP_2) | instid1(VALU_DEP_3)
	v_and_b32_e32 v6, 0x1fffff, v6
	v_lshrrev_b32_e32 v5, 23, v2
	s_mov_b32 s13, exec_lo
	v_cndmask_b32_e64 v3, v3, 0xffffff82, vcc_lo
	s_delay_alu instid0(VALU_DEP_3) | instskip(NEXT) | instid1(VALU_DEP_2)
	v_add_nc_u32_e32 v20, v6, v2
	v_add3_u32 v7, v25, v3, v5
                                        ; implicit-def: $vgpr2_vgpr3
                                        ; implicit-def: $vgpr5
	s_delay_alu instid0(VALU_DEP_1) | instskip(NEXT) | instid1(VALU_DEP_1)
	v_add_nc_u32_e32 v6, 14, v7
	v_cmpx_ne_u32_e32 0, v6
	s_xor_b32 s13, exec_lo, s13
; %bb.4016:                             ;   in Loop: Header=BB6_3506 Depth=4
	v_cmp_lt_u64_e32 vcc_lo, 0xffffff, v[20:21]
	v_add_nc_u32_e32 v2, 15, v7
	s_delay_alu instid0(VALU_DEP_1) | instskip(SKIP_1) | instid1(VALU_DEP_1)
	v_cndmask_b32_e32 v5, v6, v2, vcc_lo
	v_cndmask_b32_e64 v2, 0, 1, vcc_lo
	v_lshrrev_b64 v[2:3], v2, v[20:21]
; %bb.4017:                             ;   in Loop: Header=BB6_3506 Depth=4
	s_and_not1_saveexec_b32 s13, s13
; %bb.4018:                             ;   in Loop: Header=BB6_3506 Depth=4
	v_mov_b64_e32 v[2:3], v[20:21]
	v_bfe_u32 v5, v20, 23, 1
; %bb.4019:                             ;   in Loop: Header=BB6_3506 Depth=4
	s_or_b32 exec_lo, exec_lo, s13
	s_delay_alu instid0(VALU_DEP_2) | instskip(NEXT) | instid1(VALU_DEP_2)
	v_lshrrev_b64 v[2:3], 21, v[2:3]
	v_cmp_gt_i32_e32 vcc_lo, 32, v5
	v_cmp_ne_u32_e64 s13, 0, v5
                                        ; implicit-def: $vgpr6
	s_delay_alu instid0(VALU_DEP_3) | instskip(NEXT) | instid1(VALU_DEP_1)
	v_dual_cndmask_b32 v3, 0, v3 :: v_dual_cndmask_b32 v2, 3, v2
	v_cmp_ne_u64_e32 vcc_lo, 0, v[2:3]
	s_or_b32 s13, s13, vcc_lo
	s_delay_alu instid0(SALU_CYCLE_1) | instskip(NEXT) | instid1(SALU_CYCLE_1)
	s_and_saveexec_b32 s75, s13
	s_xor_b32 s13, exec_lo, s75
; %bb.4020:                             ;   in Loop: Header=BB6_3506 Depth=4
	v_min_i32_e32 v3, 31, v5
	s_delay_alu instid0(VALU_DEP_1) | instskip(NEXT) | instid1(VALU_DEP_1)
	v_lshl_or_b32 v1, v3, 2, v1
	v_and_or_b32 v6, v2, 3, v1
                                        ; implicit-def: $vgpr1
; %bb.4021:                             ;   in Loop: Header=BB6_3506 Depth=4
	s_and_not1_saveexec_b32 s13, s13
; %bb.4022:                             ;   in Loop: Header=BB6_3506 Depth=4
	v_mov_b32_e32 v6, v1
; %bb.4023:                             ;   in Loop: Header=BB6_3506 Depth=4
	s_or_b32 exec_lo, exec_lo, s13
.LBB6_4024:                             ;   in Loop: Header=BB6_3506 Depth=4
	s_delay_alu instid0(SALU_CYCLE_1)
	s_or_b32 exec_lo, exec_lo, s74
                                        ; implicit-def: $vgpr1
.LBB6_4025:                             ;   in Loop: Header=BB6_3506 Depth=4
	s_and_not1_saveexec_b32 s13, s73
; %bb.4026:                             ;   in Loop: Header=BB6_3506 Depth=4
	v_or_b32_e32 v6, 0x7b, v1
; %bb.4027:                             ;   in Loop: Header=BB6_3506 Depth=4
	s_or_b32 exec_lo, exec_lo, s13
                                        ; implicit-def: $vgpr2
.LBB6_4028:                             ;   in Loop: Header=BB6_3506 Depth=4
	s_and_not1_saveexec_b32 s13, s72
	s_cbranch_execz .LBB6_4034
; %bb.4029:                             ;   in Loop: Header=BB6_3506 Depth=4
	s_mov_b32 s72, exec_lo
                                        ; implicit-def: $vgpr6
	v_cmpx_ne_u64_e32 0, v[20:21]
	s_xor_b32 s72, exec_lo, s72
; %bb.4030:                             ;   in Loop: Header=BB6_3506 Depth=4
	v_lshrrev_b32_e32 v1, 24, v2
                                        ; implicit-def: $vgpr2
	s_delay_alu instid0(VALU_DEP_1)
	v_or_b32_e32 v6, 0x7f, v1
; %bb.4031:                             ;   in Loop: Header=BB6_3506 Depth=4
	s_and_not1_saveexec_b32 s72, s72
; %bb.4032:                             ;   in Loop: Header=BB6_3506 Depth=4
	v_cmp_lt_i32_e32 vcc_lo, -1, v2
	v_cndmask_b32_e64 v6, -4, 0x7c, vcc_lo
; %bb.4033:                             ;   in Loop: Header=BB6_3506 Depth=4
	s_or_b32 exec_lo, exec_lo, s72
.LBB6_4034:                             ;   in Loop: Header=BB6_3506 Depth=4
	s_delay_alu instid0(SALU_CYCLE_1)
	s_or_b32 exec_lo, exec_lo, s13
	v_dual_mov_b32 v2, 0 :: v_dual_mov_b32 v1, 0
	s_mov_b32 s72, exec_lo
	v_cmpx_ne_u16_e32 0, v0
	s_cbranch_execz .LBB6_4044
; %bb.4035:                             ;   in Loop: Header=BB6_3506 Depth=4
	v_bfrev_b32_e32 v1, 1
	s_mov_b32 s73, exec_lo
	v_cmpx_ne_u16_e32 0xff80, v0
	s_cbranch_execz .LBB6_4043
; %bb.4036:                             ;   in Loop: Header=BB6_3506 Depth=4
	v_and_b32_e32 v1, 0x7c, v0
	v_and_b32_e32 v3, 3, v0
	s_delay_alu instid0(VALU_DEP_2) | instskip(SKIP_1) | instid1(SALU_CYCLE_1)
	v_cmp_ne_u32_e32 vcc_lo, 0x7c, v1
                                        ; implicit-def: $vgpr1
	s_and_saveexec_b32 s13, vcc_lo
	s_xor_b32 s13, exec_lo, s13
	s_cbranch_execz .LBB6_4040
; %bb.4037:                             ;   in Loop: Header=BB6_3506 Depth=4
	v_and_b32_e32 v1, 0xff, v0
	s_mov_b32 s74, exec_lo
	s_delay_alu instid0(VALU_DEP_1) | instskip(NEXT) | instid1(VALU_DEP_1)
	v_bfe_u32 v1, v1, 2, 5
	v_cmpx_eq_u32_e32 0, v1
; %bb.4038:                             ;   in Loop: Header=BB6_3506 Depth=4
	v_clz_i32_u32_e32 v1, v3
	s_delay_alu instid0(VALU_DEP_1) | instskip(SKIP_1) | instid1(VALU_DEP_2)
	v_min_u32_e32 v3, 32, v1
	v_mov_b32_e32 v1, v21
	v_subrev_nc_u32_e32 v5, 29, v3
	s_delay_alu instid0(VALU_DEP_1) | instskip(NEXT) | instid1(VALU_DEP_1)
	v_lshlrev_b64_e32 v[24:25], v5, v[0:1]
	v_dual_sub_nc_u32 v1, 30, v3 :: v_dual_bitop2_b32 v3, 3, v24 bitop3:0x40
; %bb.4039:                             ;   in Loop: Header=BB6_3506 Depth=4
	s_or_b32 exec_lo, exec_lo, s74
	v_bfe_i32 v0, v0, 0, 16
	s_delay_alu instid0(VALU_DEP_1) | instskip(NEXT) | instid1(VALU_DEP_1)
	v_and_b32_e32 v0, 0x80000000, v0
	v_lshl_add_u32 v0, v1, 23, v0
	s_delay_alu instid0(VALU_DEP_1) | instskip(NEXT) | instid1(VALU_DEP_1)
	v_lshl_or_b32 v0, v3, 21, v0
                                        ; implicit-def: $vgpr3
	v_add_nc_u32_e32 v1, 0x38000000, v0
                                        ; implicit-def: $vgpr0
.LBB6_4040:                             ;   in Loop: Header=BB6_3506 Depth=4
	s_and_not1_saveexec_b32 s74, s13
; %bb.4041:                             ;   in Loop: Header=BB6_3506 Depth=4
	v_cmp_lt_i16_e64 s13, -1, v0
	v_mov_b32_e32 v0, 0x7f800000
	v_cmp_eq_u32_e32 vcc_lo, 0, v3
	s_delay_alu instid0(VALU_DEP_2) | instskip(NEXT) | instid1(VALU_DEP_1)
	v_cndmask_b32_e64 v0, 0xff800000, v0, s13
	v_cndmask_b32_e32 v1, 0x7f800001, v0, vcc_lo
; %bb.4042:                             ;   in Loop: Header=BB6_3506 Depth=4
	s_or_b32 exec_lo, exec_lo, s74
.LBB6_4043:                             ;   in Loop: Header=BB6_3506 Depth=4
	s_delay_alu instid0(SALU_CYCLE_1)
	s_or_b32 exec_lo, exec_lo, s73
.LBB6_4044:                             ;   in Loop: Header=BB6_3506 Depth=4
	s_delay_alu instid0(SALU_CYCLE_1) | instskip(NEXT) | instid1(SALU_CYCLE_1)
	s_or_b32 exec_lo, exec_lo, s72
	s_mov_b32 s72, exec_lo
	v_cmpx_ne_u16_e32 0, v66
	s_cbranch_execz .LBB6_4054
; %bb.4045:                             ;   in Loop: Header=BB6_3506 Depth=4
	v_bfrev_b32_e32 v2, 1
	s_mov_b32 s73, exec_lo
	v_cmpx_ne_u16_e32 0xff80, v66
	s_cbranch_execz .LBB6_4053
; %bb.4046:                             ;   in Loop: Header=BB6_3506 Depth=4
	v_and_b32_e32 v2, 0x7c, v66
	v_and_b32_e32 v0, 3, v66
	s_delay_alu instid0(VALU_DEP_2) | instskip(SKIP_1) | instid1(SALU_CYCLE_1)
	v_cmp_ne_u32_e32 vcc_lo, 0x7c, v2
                                        ; implicit-def: $vgpr2
	s_and_saveexec_b32 s13, vcc_lo
	s_xor_b32 s13, exec_lo, s13
	s_cbranch_execz .LBB6_4050
; %bb.4047:                             ;   in Loop: Header=BB6_3506 Depth=4
	v_and_b32_e32 v2, 0xff, v66
	s_mov_b32 s74, exec_lo
	s_delay_alu instid0(VALU_DEP_1) | instskip(NEXT) | instid1(VALU_DEP_1)
	v_bfe_u32 v2, v2, 2, 5
	v_cmpx_eq_u32_e32 0, v2
	s_cbranch_execz .LBB6_4049
; %bb.4048:                             ;   in Loop: Header=BB6_3506 Depth=4
	v_clz_i32_u32_e32 v0, v0
	s_delay_alu instid0(VALU_DEP_1) | instskip(SKIP_1) | instid1(VALU_DEP_2)
	v_min_u32_e32 v0, 32, v0
	v_mov_b32_e32 v67, v21
	v_subrev_nc_u32_e32 v2, 29, v0
	s_delay_alu instid0(VALU_DEP_1) | instskip(SKIP_1) | instid1(VALU_DEP_2)
	v_lshlrev_b64_e32 v[24:25], v2, v[66:67]
	v_sub_nc_u32_e32 v2, 30, v0
	v_and_b32_e32 v0, 3, v24
.LBB6_4049:                             ;   in Loop: Header=BB6_3506 Depth=4
	s_or_b32 exec_lo, exec_lo, s74
	v_bfe_i32 v3, v66, 0, 16
                                        ; implicit-def: $vgpr66
	s_delay_alu instid0(VALU_DEP_1) | instskip(NEXT) | instid1(VALU_DEP_1)
	v_and_b32_e32 v3, 0x80000000, v3
	v_lshl_add_u32 v2, v2, 23, v3
	s_delay_alu instid0(VALU_DEP_1) | instskip(NEXT) | instid1(VALU_DEP_1)
	v_lshl_or_b32 v0, v0, 21, v2
	v_add_nc_u32_e32 v2, 0x38000000, v0
                                        ; implicit-def: $vgpr0
.LBB6_4050:                             ;   in Loop: Header=BB6_3506 Depth=4
	s_and_not1_saveexec_b32 s74, s13
; %bb.4051:                             ;   in Loop: Header=BB6_3506 Depth=4
	v_cmp_eq_u32_e32 vcc_lo, 0, v0
	v_cmp_lt_i16_e64 s13, -1, v66
	v_mov_b32_e32 v0, 0x7f800000
	s_delay_alu instid0(VALU_DEP_1) | instskip(NEXT) | instid1(VALU_DEP_1)
	v_cndmask_b32_e64 v0, 0xff800000, v0, s13
	v_cndmask_b32_e32 v2, 0x7f800001, v0, vcc_lo
; %bb.4052:                             ;   in Loop: Header=BB6_3506 Depth=4
	s_or_b32 exec_lo, exec_lo, s74
.LBB6_4053:                             ;   in Loop: Header=BB6_3506 Depth=4
	s_delay_alu instid0(SALU_CYCLE_1)
	s_or_b32 exec_lo, exec_lo, s73
.LBB6_4054:                             ;   in Loop: Header=BB6_3506 Depth=4
	s_delay_alu instid0(SALU_CYCLE_1) | instskip(NEXT) | instid1(VALU_DEP_1)
	s_or_b32 exec_lo, exec_lo, s72
	v_mul_f32_e32 v0, v1, v2
	v_mov_b32_e32 v3, v21
                                        ; implicit-def: $vgpr7
	s_mov_b32 s13, exec_lo
	s_delay_alu instid0(VALU_DEP_2) | instskip(SKIP_1) | instid1(VALU_DEP_2)
	v_and_b32_e32 v2, 0x7f800000, v0
	v_and_b32_e32 v20, 0x7fffff, v0
	v_cmpx_ne_u64_e32 0x7f800000, v[2:3]
	s_xor_b32 s72, exec_lo, s13
	s_cbranch_execz .LBB6_4072
; %bb.4055:                             ;   in Loop: Header=BB6_3506 Depth=4
	v_dual_mov_b32 v3, v21 :: v_dual_lshrrev_b32 v1, 24, v0
	v_and_b32_e32 v2, 0x7fffffff, v0
                                        ; implicit-def: $vgpr7
	s_mov_b32 s13, exec_lo
	s_delay_alu instid0(VALU_DEP_2) | instskip(NEXT) | instid1(VALU_DEP_2)
	v_and_b32_e32 v5, 0x80, v1
	v_cmpx_gt_u64_e32 0x47600001, v[2:3]
	s_xor_b32 s73, exec_lo, s13
	s_cbranch_execz .LBB6_4069
; %bb.4056:                             ;   in Loop: Header=BB6_3506 Depth=4
	v_mov_b32_e32 v7, 0
	s_mov_b32 s74, exec_lo
	v_cmpx_ne_u32_e32 0, v0
	s_cbranch_execz .LBB6_4068
; %bb.4057:                             ;   in Loop: Header=BB6_3506 Depth=4
	v_bfe_u32 v7, v0, 23, 8
	v_or_b32_e32 v1, 0x800000, v20
	s_delay_alu instid0(VALU_DEP_2) | instskip(SKIP_2) | instid1(VALU_DEP_2)
	v_cmp_gt_u32_e64 s13, 0x72, v7
	v_sub_nc_u32_e32 v0, 0x71, v7
	v_cmp_eq_u32_e32 vcc_lo, 0, v7
	v_cndmask_b32_e64 v0, 0, v0, s13
	s_delay_alu instid0(VALU_DEP_1) | instskip(SKIP_1) | instid1(VALU_DEP_2)
	v_cndmask_b32_e64 v25, v0, 0x70, vcc_lo
	v_cndmask_b32_e32 v0, v1, v20, vcc_lo
	v_dual_mov_b32 v1, v21 :: v_dual_add_nc_u32 v2, 21, v25
	v_add_nc_u32_e32 v20, 20, v25
	s_delay_alu instid0(VALU_DEP_2) | instskip(NEXT) | instid1(VALU_DEP_2)
	v_lshlrev_b64_e64 v[2:3], v2, -1
	v_lshlrev_b64_e64 v[66:67], v20, 1
	s_delay_alu instid0(VALU_DEP_2) | instskip(SKIP_1) | instid1(VALU_DEP_4)
	v_bfi_b32 v2, v2, 0, v0
	v_lshrrev_b64 v[0:1], v25, v[0:1]
	v_bfi_b32 v3, v3, 0, 0
	s_delay_alu instid0(VALU_DEP_1) | instskip(NEXT) | instid1(VALU_DEP_3)
	v_cmp_eq_u64_e64 s13, v[2:3], v[66:67]
	v_mov_b64_e32 v[2:3], v[0:1]
	s_and_saveexec_b32 s75, s13
; %bb.4058:                             ;   in Loop: Header=BB6_3506 Depth=4
	v_bfe_u32 v2, v0, 21, 1
	v_mov_b32_e32 v3, v21
	s_delay_alu instid0(VALU_DEP_1) | instskip(NEXT) | instid1(VALU_DEP_1)
	v_add_nc_u64_e32 v[2:3], v[0:1], v[2:3]
	v_add_nc_u64_e32 v[2:3], -1, v[2:3]
; %bb.4059:                             ;   in Loop: Header=BB6_3506 Depth=4
	s_or_b32 exec_lo, exec_lo, s75
	v_add_nc_u32_e32 v1, 0xffffff81, v7
	s_delay_alu instid0(VALU_DEP_2) | instskip(SKIP_2) | instid1(VALU_DEP_3)
	v_and_b32_e32 v2, 0x1fffff, v2
	v_lshrrev_b32_e32 v3, 23, v0
	s_mov_b32 s13, exec_lo
	v_cndmask_b32_e64 v1, v1, 0xffffff82, vcc_lo
	s_delay_alu instid0(VALU_DEP_3) | instskip(NEXT) | instid1(VALU_DEP_2)
	v_add_nc_u32_e32 v20, v2, v0
                                        ; implicit-def: $vgpr2
	v_add3_u32 v7, v25, v1, v3
                                        ; implicit-def: $vgpr0_vgpr1
	s_delay_alu instid0(VALU_DEP_1) | instskip(NEXT) | instid1(VALU_DEP_1)
	v_add_nc_u32_e32 v3, 14, v7
	v_cmpx_ne_u32_e32 0, v3
	s_xor_b32 s13, exec_lo, s13
; %bb.4060:                             ;   in Loop: Header=BB6_3506 Depth=4
	v_cmp_lt_u64_e32 vcc_lo, 0xffffff, v[20:21]
	v_add_nc_u32_e32 v0, 15, v7
	s_delay_alu instid0(VALU_DEP_1) | instskip(SKIP_1) | instid1(VALU_DEP_1)
	v_cndmask_b32_e32 v2, v3, v0, vcc_lo
	v_cndmask_b32_e64 v0, 0, 1, vcc_lo
	v_lshrrev_b64 v[0:1], v0, v[20:21]
; %bb.4061:                             ;   in Loop: Header=BB6_3506 Depth=4
	s_and_not1_saveexec_b32 s13, s13
; %bb.4062:                             ;   in Loop: Header=BB6_3506 Depth=4
	v_mov_b64_e32 v[0:1], v[20:21]
	v_bfe_u32 v2, v20, 23, 1
; %bb.4063:                             ;   in Loop: Header=BB6_3506 Depth=4
	s_or_b32 exec_lo, exec_lo, s13
	s_delay_alu instid0(VALU_DEP_2) | instskip(NEXT) | instid1(VALU_DEP_2)
	v_lshrrev_b64 v[0:1], 21, v[0:1]
	v_cmp_gt_i32_e32 vcc_lo, 32, v2
	v_cmp_ne_u32_e64 s13, 0, v2
                                        ; implicit-def: $vgpr7
	s_delay_alu instid0(VALU_DEP_3) | instskip(NEXT) | instid1(VALU_DEP_1)
	v_dual_cndmask_b32 v1, 0, v1 :: v_dual_cndmask_b32 v0, 3, v0
	v_cmp_ne_u64_e32 vcc_lo, 0, v[0:1]
	s_or_b32 s13, s13, vcc_lo
	s_delay_alu instid0(SALU_CYCLE_1) | instskip(NEXT) | instid1(SALU_CYCLE_1)
	s_and_saveexec_b32 s75, s13
	s_xor_b32 s13, exec_lo, s75
; %bb.4064:                             ;   in Loop: Header=BB6_3506 Depth=4
	v_min_i32_e32 v1, 31, v2
	s_delay_alu instid0(VALU_DEP_1) | instskip(NEXT) | instid1(VALU_DEP_1)
	v_lshl_or_b32 v1, v1, 2, v5
                                        ; implicit-def: $vgpr5
	v_and_or_b32 v7, v0, 3, v1
; %bb.4065:                             ;   in Loop: Header=BB6_3506 Depth=4
	s_and_not1_saveexec_b32 s13, s13
; %bb.4066:                             ;   in Loop: Header=BB6_3506 Depth=4
	v_mov_b32_e32 v7, v5
; %bb.4067:                             ;   in Loop: Header=BB6_3506 Depth=4
	s_or_b32 exec_lo, exec_lo, s13
.LBB6_4068:                             ;   in Loop: Header=BB6_3506 Depth=4
	s_delay_alu instid0(SALU_CYCLE_1)
	s_or_b32 exec_lo, exec_lo, s74
                                        ; implicit-def: $vgpr5
.LBB6_4069:                             ;   in Loop: Header=BB6_3506 Depth=4
	s_and_not1_saveexec_b32 s13, s73
; %bb.4070:                             ;   in Loop: Header=BB6_3506 Depth=4
	v_or_b32_e32 v7, 0x7b, v5
; %bb.4071:                             ;   in Loop: Header=BB6_3506 Depth=4
	s_or_b32 exec_lo, exec_lo, s13
                                        ; implicit-def: $vgpr0
.LBB6_4072:                             ;   in Loop: Header=BB6_3506 Depth=4
	s_and_not1_saveexec_b32 s13, s72
	s_cbranch_execz .LBB6_4078
; %bb.4073:                             ;   in Loop: Header=BB6_3506 Depth=4
	s_mov_b32 s72, exec_lo
                                        ; implicit-def: $vgpr7
	v_cmpx_ne_u64_e32 0, v[20:21]
	s_xor_b32 s72, exec_lo, s72
; %bb.4074:                             ;   in Loop: Header=BB6_3506 Depth=4
	v_lshrrev_b32_e32 v0, 24, v0
	s_delay_alu instid0(VALU_DEP_1)
	v_or_b32_e32 v7, 0x7f, v0
                                        ; implicit-def: $vgpr0
; %bb.4075:                             ;   in Loop: Header=BB6_3506 Depth=4
	s_and_not1_saveexec_b32 s72, s72
; %bb.4076:                             ;   in Loop: Header=BB6_3506 Depth=4
	v_cmp_lt_i32_e32 vcc_lo, -1, v0
	v_cndmask_b32_e64 v7, -4, 0x7c, vcc_lo
; %bb.4077:                             ;   in Loop: Header=BB6_3506 Depth=4
	s_or_b32 exec_lo, exec_lo, s72
.LBB6_4078:                             ;   in Loop: Header=BB6_3506 Depth=4
	s_delay_alu instid0(SALU_CYCLE_1)
	s_or_b32 exec_lo, exec_lo, s13
	v_dual_mov_b32 v0, 0 :: v_dual_mov_b32 v1, 0
	s_mov_b32 s72, exec_lo
	v_cmpx_ne_u16_e32 0, v42
	s_cbranch_execz .LBB6_4088
; %bb.4079:                             ;   in Loop: Header=BB6_3506 Depth=4
	v_bfrev_b32_e32 v1, 1
	s_mov_b32 s73, exec_lo
	v_cmpx_ne_u16_e32 0xff80, v42
	s_cbranch_execz .LBB6_4087
; %bb.4080:                             ;   in Loop: Header=BB6_3506 Depth=4
	v_and_b32_e32 v1, 0x7c, v42
	v_and_b32_e32 v2, 3, v42
	s_delay_alu instid0(VALU_DEP_2) | instskip(SKIP_1) | instid1(SALU_CYCLE_1)
	v_cmp_ne_u32_e32 vcc_lo, 0x7c, v1
                                        ; implicit-def: $vgpr1
	s_and_saveexec_b32 s13, vcc_lo
	s_xor_b32 s13, exec_lo, s13
	s_cbranch_execz .LBB6_4084
; %bb.4081:                             ;   in Loop: Header=BB6_3506 Depth=4
	v_and_b32_e32 v1, 0xff, v42
	s_mov_b32 s74, exec_lo
	s_delay_alu instid0(VALU_DEP_1) | instskip(NEXT) | instid1(VALU_DEP_1)
	v_bfe_u32 v1, v1, 2, 5
	v_cmpx_eq_u32_e32 0, v1
	s_cbranch_execz .LBB6_4083
; %bb.4082:                             ;   in Loop: Header=BB6_3506 Depth=4
	v_clz_i32_u32_e32 v1, v2
	s_delay_alu instid0(VALU_DEP_1) | instskip(SKIP_1) | instid1(VALU_DEP_2)
	v_min_u32_e32 v1, 32, v1
	v_mov_b32_e32 v43, v21
	v_subrev_nc_u32_e32 v2, 29, v1
	v_sub_nc_u32_e32 v1, 30, v1
	s_delay_alu instid0(VALU_DEP_2) | instskip(NEXT) | instid1(VALU_DEP_1)
	v_lshlrev_b64_e32 v[2:3], v2, v[42:43]
	v_and_b32_e32 v2, 3, v2
.LBB6_4083:                             ;   in Loop: Header=BB6_3506 Depth=4
	s_or_b32 exec_lo, exec_lo, s74
	v_bfe_i32 v3, v42, 0, 16
                                        ; implicit-def: $vgpr42
	s_delay_alu instid0(VALU_DEP_1) | instskip(NEXT) | instid1(VALU_DEP_1)
	v_and_b32_e32 v3, 0x80000000, v3
	v_lshl_add_u32 v1, v1, 23, v3
	s_delay_alu instid0(VALU_DEP_1) | instskip(NEXT) | instid1(VALU_DEP_1)
	v_lshl_or_b32 v1, v2, 21, v1
                                        ; implicit-def: $vgpr2
	v_add_nc_u32_e32 v1, 0x38000000, v1
.LBB6_4084:                             ;   in Loop: Header=BB6_3506 Depth=4
	s_and_not1_saveexec_b32 s74, s13
; %bb.4085:                             ;   in Loop: Header=BB6_3506 Depth=4
	v_cmp_lt_i16_e64 s13, -1, v42
	v_mov_b32_e32 v1, 0x7f800000
	v_cmp_eq_u32_e32 vcc_lo, 0, v2
	s_delay_alu instid0(VALU_DEP_2) | instskip(NEXT) | instid1(VALU_DEP_1)
	v_cndmask_b32_e64 v1, 0xff800000, v1, s13
	v_cndmask_b32_e32 v1, 0x7f800001, v1, vcc_lo
; %bb.4086:                             ;   in Loop: Header=BB6_3506 Depth=4
	s_or_b32 exec_lo, exec_lo, s74
.LBB6_4087:                             ;   in Loop: Header=BB6_3506 Depth=4
	s_delay_alu instid0(SALU_CYCLE_1)
	s_or_b32 exec_lo, exec_lo, s73
.LBB6_4088:                             ;   in Loop: Header=BB6_3506 Depth=4
	s_delay_alu instid0(SALU_CYCLE_1) | instskip(NEXT) | instid1(SALU_CYCLE_1)
	s_or_b32 exec_lo, exec_lo, s72
	s_mov_b32 s72, exec_lo
	v_cmpx_ne_u16_e32 0, v46
	s_cbranch_execz .LBB6_4098
; %bb.4089:                             ;   in Loop: Header=BB6_3506 Depth=4
	v_bfrev_b32_e32 v0, 1
	s_mov_b32 s73, exec_lo
	v_cmpx_ne_u16_e32 0xff80, v46
	s_cbranch_execz .LBB6_4097
; %bb.4090:                             ;   in Loop: Header=BB6_3506 Depth=4
	v_and_b32_e32 v0, 0x7c, v46
	v_and_b32_e32 v2, 3, v46
	s_delay_alu instid0(VALU_DEP_2) | instskip(SKIP_1) | instid1(SALU_CYCLE_1)
	v_cmp_ne_u32_e32 vcc_lo, 0x7c, v0
                                        ; implicit-def: $vgpr0
	s_and_saveexec_b32 s13, vcc_lo
	s_xor_b32 s13, exec_lo, s13
	s_cbranch_execz .LBB6_4094
; %bb.4091:                             ;   in Loop: Header=BB6_3506 Depth=4
	v_and_b32_e32 v0, 0xff, v46
	s_mov_b32 s74, exec_lo
	s_delay_alu instid0(VALU_DEP_1) | instskip(NEXT) | instid1(VALU_DEP_1)
	v_bfe_u32 v0, v0, 2, 5
	v_cmpx_eq_u32_e32 0, v0
	s_cbranch_execz .LBB6_4093
; %bb.4092:                             ;   in Loop: Header=BB6_3506 Depth=4
	v_clz_i32_u32_e32 v0, v2
	s_delay_alu instid0(VALU_DEP_1) | instskip(SKIP_1) | instid1(VALU_DEP_2)
	v_min_u32_e32 v0, 32, v0
	v_mov_b32_e32 v47, v21
	v_subrev_nc_u32_e32 v2, 29, v0
	v_sub_nc_u32_e32 v0, 30, v0
	s_delay_alu instid0(VALU_DEP_2) | instskip(NEXT) | instid1(VALU_DEP_1)
	v_lshlrev_b64_e32 v[2:3], v2, v[46:47]
	v_and_b32_e32 v2, 3, v2
.LBB6_4093:                             ;   in Loop: Header=BB6_3506 Depth=4
	s_or_b32 exec_lo, exec_lo, s74
	v_bfe_i32 v3, v46, 0, 16
                                        ; implicit-def: $vgpr46
	s_delay_alu instid0(VALU_DEP_1) | instskip(NEXT) | instid1(VALU_DEP_1)
	v_and_b32_e32 v3, 0x80000000, v3
	v_lshl_add_u32 v0, v0, 23, v3
	s_delay_alu instid0(VALU_DEP_1) | instskip(NEXT) | instid1(VALU_DEP_1)
	v_lshl_or_b32 v0, v2, 21, v0
                                        ; implicit-def: $vgpr2
	v_add_nc_u32_e32 v0, 0x38000000, v0
.LBB6_4094:                             ;   in Loop: Header=BB6_3506 Depth=4
	s_and_not1_saveexec_b32 s74, s13
; %bb.4095:                             ;   in Loop: Header=BB6_3506 Depth=4
	v_cmp_lt_i16_e64 s13, -1, v46
	v_mov_b32_e32 v0, 0x7f800000
	v_cmp_eq_u32_e32 vcc_lo, 0, v2
	s_delay_alu instid0(VALU_DEP_2) | instskip(NEXT) | instid1(VALU_DEP_1)
	v_cndmask_b32_e64 v0, 0xff800000, v0, s13
	v_cndmask_b32_e32 v0, 0x7f800001, v0, vcc_lo
; %bb.4096:                             ;   in Loop: Header=BB6_3506 Depth=4
	s_or_b32 exec_lo, exec_lo, s74
.LBB6_4097:                             ;   in Loop: Header=BB6_3506 Depth=4
	s_delay_alu instid0(SALU_CYCLE_1)
	s_or_b32 exec_lo, exec_lo, s73
.LBB6_4098:                             ;   in Loop: Header=BB6_3506 Depth=4
	s_delay_alu instid0(SALU_CYCLE_1) | instskip(NEXT) | instid1(VALU_DEP_1)
	s_or_b32 exec_lo, exec_lo, s72
	v_mul_f32_e32 v0, v1, v0
	v_mov_b32_e32 v3, v21
                                        ; implicit-def: $vgpr66
	s_mov_b32 s13, exec_lo
	s_delay_alu instid0(VALU_DEP_2) | instskip(SKIP_1) | instid1(VALU_DEP_2)
	v_and_b32_e32 v2, 0x7f800000, v0
	v_and_b32_e32 v20, 0x7fffff, v0
	v_cmpx_ne_u64_e32 0x7f800000, v[2:3]
	s_xor_b32 s72, exec_lo, s13
	s_cbranch_execz .LBB6_4116
; %bb.4099:                             ;   in Loop: Header=BB6_3506 Depth=4
	v_dual_mov_b32 v3, v21 :: v_dual_lshrrev_b32 v1, 24, v0
	v_and_b32_e32 v2, 0x7fffffff, v0
                                        ; implicit-def: $vgpr66
	s_mov_b32 s13, exec_lo
	s_delay_alu instid0(VALU_DEP_2) | instskip(NEXT) | instid1(VALU_DEP_2)
	v_and_b32_e32 v5, 0x80, v1
	v_cmpx_gt_u64_e32 0x47600001, v[2:3]
	s_xor_b32 s73, exec_lo, s13
	s_cbranch_execz .LBB6_4113
; %bb.4100:                             ;   in Loop: Header=BB6_3506 Depth=4
	v_mov_b32_e32 v66, 0
	s_mov_b32 s74, exec_lo
	v_cmpx_ne_u32_e32 0, v0
	s_cbranch_execz .LBB6_4112
; %bb.4101:                             ;   in Loop: Header=BB6_3506 Depth=4
	v_bfe_u32 v25, v0, 23, 8
	v_or_b32_e32 v1, 0x800000, v20
	s_delay_alu instid0(VALU_DEP_2) | instskip(SKIP_2) | instid1(VALU_DEP_2)
	v_cmp_gt_u32_e64 s13, 0x72, v25
	v_sub_nc_u32_e32 v0, 0x71, v25
	v_cmp_eq_u32_e32 vcc_lo, 0, v25
	v_cndmask_b32_e64 v0, 0, v0, s13
	s_delay_alu instid0(VALU_DEP_1) | instskip(SKIP_1) | instid1(VALU_DEP_2)
	v_cndmask_b32_e64 v27, v0, 0x70, vcc_lo
	v_cndmask_b32_e32 v0, v1, v20, vcc_lo
	v_dual_mov_b32 v1, v21 :: v_dual_add_nc_u32 v2, 21, v27
	v_add_nc_u32_e32 v20, 20, v27
	s_delay_alu instid0(VALU_DEP_2) | instskip(NEXT) | instid1(VALU_DEP_2)
	v_lshlrev_b64_e64 v[2:3], v2, -1
	v_lshlrev_b64_e64 v[66:67], v20, 1
	s_delay_alu instid0(VALU_DEP_2) | instskip(SKIP_1) | instid1(VALU_DEP_4)
	v_bfi_b32 v2, v2, 0, v0
	v_lshrrev_b64 v[0:1], v27, v[0:1]
	v_bfi_b32 v3, v3, 0, 0
	s_delay_alu instid0(VALU_DEP_1) | instskip(NEXT) | instid1(VALU_DEP_3)
	v_cmp_eq_u64_e64 s13, v[2:3], v[66:67]
	v_mov_b64_e32 v[2:3], v[0:1]
	s_and_saveexec_b32 s75, s13
; %bb.4102:                             ;   in Loop: Header=BB6_3506 Depth=4
	v_bfe_u32 v2, v0, 21, 1
	v_mov_b32_e32 v3, v21
	s_delay_alu instid0(VALU_DEP_1) | instskip(NEXT) | instid1(VALU_DEP_1)
	v_add_nc_u64_e32 v[2:3], v[0:1], v[2:3]
	v_add_nc_u64_e32 v[2:3], -1, v[2:3]
; %bb.4103:                             ;   in Loop: Header=BB6_3506 Depth=4
	s_or_b32 exec_lo, exec_lo, s75
	v_add_nc_u32_e32 v1, 0xffffff81, v25
	s_delay_alu instid0(VALU_DEP_2) | instskip(SKIP_2) | instid1(VALU_DEP_3)
	v_and_b32_e32 v2, 0x1fffff, v2
	v_lshrrev_b32_e32 v3, 23, v0
	s_mov_b32 s13, exec_lo
	v_cndmask_b32_e64 v1, v1, 0xffffff82, vcc_lo
	s_delay_alu instid0(VALU_DEP_3) | instskip(NEXT) | instid1(VALU_DEP_2)
	v_add_nc_u32_e32 v20, v2, v0
                                        ; implicit-def: $vgpr2
	v_add3_u32 v25, v27, v1, v3
                                        ; implicit-def: $vgpr0_vgpr1
	s_delay_alu instid0(VALU_DEP_1) | instskip(NEXT) | instid1(VALU_DEP_1)
	v_add_nc_u32_e32 v3, 14, v25
	v_cmpx_ne_u32_e32 0, v3
	s_xor_b32 s13, exec_lo, s13
; %bb.4104:                             ;   in Loop: Header=BB6_3506 Depth=4
	v_cmp_lt_u64_e32 vcc_lo, 0xffffff, v[20:21]
	v_add_nc_u32_e32 v0, 15, v25
	s_delay_alu instid0(VALU_DEP_1) | instskip(SKIP_1) | instid1(VALU_DEP_1)
	v_cndmask_b32_e32 v2, v3, v0, vcc_lo
	v_cndmask_b32_e64 v0, 0, 1, vcc_lo
	v_lshrrev_b64 v[0:1], v0, v[20:21]
; %bb.4105:                             ;   in Loop: Header=BB6_3506 Depth=4
	s_and_not1_saveexec_b32 s13, s13
; %bb.4106:                             ;   in Loop: Header=BB6_3506 Depth=4
	v_mov_b64_e32 v[0:1], v[20:21]
	v_bfe_u32 v2, v20, 23, 1
; %bb.4107:                             ;   in Loop: Header=BB6_3506 Depth=4
	s_or_b32 exec_lo, exec_lo, s13
	s_delay_alu instid0(VALU_DEP_2) | instskip(NEXT) | instid1(VALU_DEP_2)
	v_lshrrev_b64 v[0:1], 21, v[0:1]
	v_cmp_gt_i32_e32 vcc_lo, 32, v2
	v_cmp_ne_u32_e64 s13, 0, v2
                                        ; implicit-def: $vgpr66
	s_delay_alu instid0(VALU_DEP_3) | instskip(NEXT) | instid1(VALU_DEP_1)
	v_dual_cndmask_b32 v1, 0, v1 :: v_dual_cndmask_b32 v0, 3, v0
	v_cmp_ne_u64_e32 vcc_lo, 0, v[0:1]
	s_or_b32 s13, s13, vcc_lo
	s_delay_alu instid0(SALU_CYCLE_1) | instskip(NEXT) | instid1(SALU_CYCLE_1)
	s_and_saveexec_b32 s75, s13
	s_xor_b32 s13, exec_lo, s75
; %bb.4108:                             ;   in Loop: Header=BB6_3506 Depth=4
	v_min_i32_e32 v1, 31, v2
	s_delay_alu instid0(VALU_DEP_1) | instskip(NEXT) | instid1(VALU_DEP_1)
	v_lshl_or_b32 v1, v1, 2, v5
                                        ; implicit-def: $vgpr5
	v_and_or_b32 v66, v0, 3, v1
; %bb.4109:                             ;   in Loop: Header=BB6_3506 Depth=4
	s_and_not1_saveexec_b32 s13, s13
; %bb.4110:                             ;   in Loop: Header=BB6_3506 Depth=4
	v_mov_b32_e32 v66, v5
; %bb.4111:                             ;   in Loop: Header=BB6_3506 Depth=4
	s_or_b32 exec_lo, exec_lo, s13
.LBB6_4112:                             ;   in Loop: Header=BB6_3506 Depth=4
	s_delay_alu instid0(SALU_CYCLE_1)
	s_or_b32 exec_lo, exec_lo, s74
                                        ; implicit-def: $vgpr5
.LBB6_4113:                             ;   in Loop: Header=BB6_3506 Depth=4
	s_and_not1_saveexec_b32 s13, s73
; %bb.4114:                             ;   in Loop: Header=BB6_3506 Depth=4
	v_or_b32_e32 v66, 0x7b, v5
; %bb.4115:                             ;   in Loop: Header=BB6_3506 Depth=4
	s_or_b32 exec_lo, exec_lo, s13
                                        ; implicit-def: $vgpr0
.LBB6_4116:                             ;   in Loop: Header=BB6_3506 Depth=4
	s_and_not1_saveexec_b32 s13, s72
	s_cbranch_execz .LBB6_4122
; %bb.4117:                             ;   in Loop: Header=BB6_3506 Depth=4
	s_mov_b32 s72, exec_lo
                                        ; implicit-def: $vgpr66
	v_cmpx_ne_u64_e32 0, v[20:21]
	s_xor_b32 s72, exec_lo, s72
; %bb.4118:                             ;   in Loop: Header=BB6_3506 Depth=4
	v_lshrrev_b32_e32 v0, 24, v0
	s_delay_alu instid0(VALU_DEP_1)
	v_or_b32_e32 v66, 0x7f, v0
                                        ; implicit-def: $vgpr0
; %bb.4119:                             ;   in Loop: Header=BB6_3506 Depth=4
	s_and_not1_saveexec_b32 s72, s72
; %bb.4120:                             ;   in Loop: Header=BB6_3506 Depth=4
	v_cmp_lt_i32_e32 vcc_lo, -1, v0
	v_cndmask_b32_e64 v66, -4, 0x7c, vcc_lo
; %bb.4121:                             ;   in Loop: Header=BB6_3506 Depth=4
	s_or_b32 exec_lo, exec_lo, s72
.LBB6_4122:                             ;   in Loop: Header=BB6_3506 Depth=4
	s_delay_alu instid0(SALU_CYCLE_1)
	s_or_b32 exec_lo, exec_lo, s13
	v_dual_mov_b32 v0, 0 :: v_dual_mov_b32 v1, 0
	s_mov_b32 s72, exec_lo
	v_cmpx_ne_u16_e32 0, v56
	s_cbranch_execz .LBB6_4132
; %bb.4123:                             ;   in Loop: Header=BB6_3506 Depth=4
	v_bfrev_b32_e32 v1, 1
	s_mov_b32 s73, exec_lo
	v_cmpx_ne_u16_e32 0xff80, v56
	s_cbranch_execz .LBB6_4131
; %bb.4124:                             ;   in Loop: Header=BB6_3506 Depth=4
	v_and_b32_e32 v1, 0x7c, v56
	v_and_b32_e32 v2, 3, v56
	s_delay_alu instid0(VALU_DEP_2) | instskip(SKIP_1) | instid1(SALU_CYCLE_1)
	v_cmp_ne_u32_e32 vcc_lo, 0x7c, v1
                                        ; implicit-def: $vgpr1
	s_and_saveexec_b32 s13, vcc_lo
	s_xor_b32 s13, exec_lo, s13
	s_cbranch_execz .LBB6_4128
; %bb.4125:                             ;   in Loop: Header=BB6_3506 Depth=4
	v_and_b32_e32 v1, 0xff, v56
	s_mov_b32 s74, exec_lo
	s_delay_alu instid0(VALU_DEP_1) | instskip(NEXT) | instid1(VALU_DEP_1)
	v_bfe_u32 v1, v1, 2, 5
	v_cmpx_eq_u32_e32 0, v1
	s_cbranch_execz .LBB6_4127
; %bb.4126:                             ;   in Loop: Header=BB6_3506 Depth=4
	v_clz_i32_u32_e32 v1, v2
	s_delay_alu instid0(VALU_DEP_1) | instskip(SKIP_1) | instid1(VALU_DEP_2)
	v_min_u32_e32 v1, 32, v1
	v_mov_b32_e32 v57, v21
	v_subrev_nc_u32_e32 v2, 29, v1
	v_sub_nc_u32_e32 v1, 30, v1
	s_delay_alu instid0(VALU_DEP_2) | instskip(NEXT) | instid1(VALU_DEP_1)
	v_lshlrev_b64_e32 v[2:3], v2, v[56:57]
	v_and_b32_e32 v2, 3, v2
.LBB6_4127:                             ;   in Loop: Header=BB6_3506 Depth=4
	s_or_b32 exec_lo, exec_lo, s74
	v_bfe_i32 v3, v56, 0, 16
                                        ; implicit-def: $vgpr56
	s_delay_alu instid0(VALU_DEP_1) | instskip(NEXT) | instid1(VALU_DEP_1)
	v_and_b32_e32 v3, 0x80000000, v3
	v_lshl_add_u32 v1, v1, 23, v3
	s_delay_alu instid0(VALU_DEP_1) | instskip(NEXT) | instid1(VALU_DEP_1)
	v_lshl_or_b32 v1, v2, 21, v1
                                        ; implicit-def: $vgpr2
	v_add_nc_u32_e32 v1, 0x38000000, v1
.LBB6_4128:                             ;   in Loop: Header=BB6_3506 Depth=4
	s_and_not1_saveexec_b32 s74, s13
; %bb.4129:                             ;   in Loop: Header=BB6_3506 Depth=4
	v_cmp_lt_i16_e64 s13, -1, v56
	v_mov_b32_e32 v1, 0x7f800000
	v_cmp_eq_u32_e32 vcc_lo, 0, v2
	s_delay_alu instid0(VALU_DEP_2) | instskip(NEXT) | instid1(VALU_DEP_1)
	v_cndmask_b32_e64 v1, 0xff800000, v1, s13
	v_cndmask_b32_e32 v1, 0x7f800001, v1, vcc_lo
; %bb.4130:                             ;   in Loop: Header=BB6_3506 Depth=4
	s_or_b32 exec_lo, exec_lo, s74
.LBB6_4131:                             ;   in Loop: Header=BB6_3506 Depth=4
	s_delay_alu instid0(SALU_CYCLE_1)
	s_or_b32 exec_lo, exec_lo, s73
.LBB6_4132:                             ;   in Loop: Header=BB6_3506 Depth=4
	s_delay_alu instid0(SALU_CYCLE_1) | instskip(NEXT) | instid1(SALU_CYCLE_1)
	s_or_b32 exec_lo, exec_lo, s72
	s_mov_b32 s72, exec_lo
	v_cmpx_ne_u16_e32 0, v72
	s_cbranch_execz .LBB6_4142
; %bb.4133:                             ;   in Loop: Header=BB6_3506 Depth=4
	v_bfrev_b32_e32 v0, 1
	s_mov_b32 s73, exec_lo
	v_cmpx_ne_u16_e32 0xff80, v72
	s_cbranch_execz .LBB6_4141
; %bb.4134:                             ;   in Loop: Header=BB6_3506 Depth=4
	v_and_b32_e32 v0, 0x7c, v72
	v_and_b32_e32 v2, 3, v72
	s_delay_alu instid0(VALU_DEP_2) | instskip(SKIP_1) | instid1(SALU_CYCLE_1)
	v_cmp_ne_u32_e32 vcc_lo, 0x7c, v0
                                        ; implicit-def: $vgpr0
	s_and_saveexec_b32 s13, vcc_lo
	s_xor_b32 s13, exec_lo, s13
	s_cbranch_execz .LBB6_4138
; %bb.4135:                             ;   in Loop: Header=BB6_3506 Depth=4
	v_and_b32_e32 v0, 0xff, v72
	s_mov_b32 s74, exec_lo
	s_delay_alu instid0(VALU_DEP_1) | instskip(NEXT) | instid1(VALU_DEP_1)
	v_bfe_u32 v0, v0, 2, 5
	v_cmpx_eq_u32_e32 0, v0
	s_cbranch_execz .LBB6_4137
; %bb.4136:                             ;   in Loop: Header=BB6_3506 Depth=4
	v_clz_i32_u32_e32 v0, v2
	s_delay_alu instid0(VALU_DEP_1) | instskip(SKIP_1) | instid1(VALU_DEP_2)
	v_min_u32_e32 v0, 32, v0
	v_mov_b32_e32 v73, v21
	v_subrev_nc_u32_e32 v2, 29, v0
	v_sub_nc_u32_e32 v0, 30, v0
	s_delay_alu instid0(VALU_DEP_2) | instskip(NEXT) | instid1(VALU_DEP_1)
	v_lshlrev_b64_e32 v[2:3], v2, v[72:73]
	v_and_b32_e32 v2, 3, v2
.LBB6_4137:                             ;   in Loop: Header=BB6_3506 Depth=4
	s_or_b32 exec_lo, exec_lo, s74
	v_bfe_i32 v3, v72, 0, 16
                                        ; implicit-def: $vgpr72
	s_delay_alu instid0(VALU_DEP_1) | instskip(NEXT) | instid1(VALU_DEP_1)
	v_and_b32_e32 v3, 0x80000000, v3
	v_lshl_add_u32 v0, v0, 23, v3
	s_delay_alu instid0(VALU_DEP_1) | instskip(NEXT) | instid1(VALU_DEP_1)
	v_lshl_or_b32 v0, v2, 21, v0
                                        ; implicit-def: $vgpr2
	v_add_nc_u32_e32 v0, 0x38000000, v0
.LBB6_4138:                             ;   in Loop: Header=BB6_3506 Depth=4
	s_and_not1_saveexec_b32 s74, s13
; %bb.4139:                             ;   in Loop: Header=BB6_3506 Depth=4
	v_cmp_lt_i16_e64 s13, -1, v72
	v_mov_b32_e32 v0, 0x7f800000
	v_cmp_eq_u32_e32 vcc_lo, 0, v2
	s_delay_alu instid0(VALU_DEP_2) | instskip(NEXT) | instid1(VALU_DEP_1)
	v_cndmask_b32_e64 v0, 0xff800000, v0, s13
	v_cndmask_b32_e32 v0, 0x7f800001, v0, vcc_lo
; %bb.4140:                             ;   in Loop: Header=BB6_3506 Depth=4
	s_or_b32 exec_lo, exec_lo, s74
.LBB6_4141:                             ;   in Loop: Header=BB6_3506 Depth=4
	s_delay_alu instid0(SALU_CYCLE_1)
	s_or_b32 exec_lo, exec_lo, s73
.LBB6_4142:                             ;   in Loop: Header=BB6_3506 Depth=4
	s_delay_alu instid0(SALU_CYCLE_1) | instskip(NEXT) | instid1(VALU_DEP_1)
	s_or_b32 exec_lo, exec_lo, s72
	v_mul_f32_e32 v0, v1, v0
	v_mov_b32_e32 v3, v21
                                        ; implicit-def: $vgpr67
	s_mov_b32 s13, exec_lo
	s_delay_alu instid0(VALU_DEP_2) | instskip(SKIP_1) | instid1(VALU_DEP_2)
	v_and_b32_e32 v2, 0x7f800000, v0
	v_and_b32_e32 v20, 0x7fffff, v0
	v_cmpx_ne_u64_e32 0x7f800000, v[2:3]
	s_xor_b32 s72, exec_lo, s13
	s_cbranch_execz .LBB6_4160
; %bb.4143:                             ;   in Loop: Header=BB6_3506 Depth=4
	v_dual_mov_b32 v3, v21 :: v_dual_lshrrev_b32 v1, 24, v0
	v_and_b32_e32 v2, 0x7fffffff, v0
                                        ; implicit-def: $vgpr67
	s_mov_b32 s13, exec_lo
	s_delay_alu instid0(VALU_DEP_2) | instskip(NEXT) | instid1(VALU_DEP_2)
	v_and_b32_e32 v5, 0x80, v1
	v_cmpx_gt_u64_e32 0x47600001, v[2:3]
	s_xor_b32 s73, exec_lo, s13
	s_cbranch_execz .LBB6_4157
; %bb.4144:                             ;   in Loop: Header=BB6_3506 Depth=4
	v_mov_b32_e32 v67, 0
	s_mov_b32 s74, exec_lo
	v_cmpx_ne_u32_e32 0, v0
	s_cbranch_execz .LBB6_4156
; %bb.4145:                             ;   in Loop: Header=BB6_3506 Depth=4
	v_bfe_u32 v25, v0, 23, 8
	v_or_b32_e32 v1, 0x800000, v20
	s_delay_alu instid0(VALU_DEP_2) | instskip(SKIP_2) | instid1(VALU_DEP_2)
	v_cmp_gt_u32_e64 s13, 0x72, v25
	v_sub_nc_u32_e32 v0, 0x71, v25
	v_cmp_eq_u32_e32 vcc_lo, 0, v25
	v_cndmask_b32_e64 v0, 0, v0, s13
	s_delay_alu instid0(VALU_DEP_1) | instskip(SKIP_1) | instid1(VALU_DEP_2)
	v_cndmask_b32_e64 v27, v0, 0x70, vcc_lo
	v_cndmask_b32_e32 v0, v1, v20, vcc_lo
	v_dual_mov_b32 v1, v21 :: v_dual_add_nc_u32 v2, 21, v27
	v_add_nc_u32_e32 v20, 20, v27
	s_delay_alu instid0(VALU_DEP_2) | instskip(NEXT) | instid1(VALU_DEP_2)
	v_lshlrev_b64_e64 v[2:3], v2, -1
	v_lshlrev_b64_e64 v[70:71], v20, 1
	s_delay_alu instid0(VALU_DEP_2) | instskip(SKIP_1) | instid1(VALU_DEP_4)
	v_bfi_b32 v2, v2, 0, v0
	v_lshrrev_b64 v[0:1], v27, v[0:1]
	v_bfi_b32 v3, v3, 0, 0
	s_delay_alu instid0(VALU_DEP_1) | instskip(NEXT) | instid1(VALU_DEP_3)
	v_cmp_eq_u64_e64 s13, v[2:3], v[70:71]
	v_mov_b64_e32 v[2:3], v[0:1]
	s_and_saveexec_b32 s75, s13
; %bb.4146:                             ;   in Loop: Header=BB6_3506 Depth=4
	v_bfe_u32 v2, v0, 21, 1
	v_mov_b32_e32 v3, v21
	s_delay_alu instid0(VALU_DEP_1) | instskip(NEXT) | instid1(VALU_DEP_1)
	v_add_nc_u64_e32 v[2:3], v[0:1], v[2:3]
	v_add_nc_u64_e32 v[2:3], -1, v[2:3]
; %bb.4147:                             ;   in Loop: Header=BB6_3506 Depth=4
	s_or_b32 exec_lo, exec_lo, s75
	v_add_nc_u32_e32 v1, 0xffffff81, v25
	s_delay_alu instid0(VALU_DEP_2) | instskip(SKIP_2) | instid1(VALU_DEP_3)
	v_and_b32_e32 v2, 0x1fffff, v2
	v_lshrrev_b32_e32 v3, 23, v0
	s_mov_b32 s13, exec_lo
	v_cndmask_b32_e64 v1, v1, 0xffffff82, vcc_lo
	s_delay_alu instid0(VALU_DEP_3) | instskip(NEXT) | instid1(VALU_DEP_2)
	v_add_nc_u32_e32 v20, v2, v0
                                        ; implicit-def: $vgpr2
	v_add3_u32 v25, v27, v1, v3
                                        ; implicit-def: $vgpr0_vgpr1
	s_delay_alu instid0(VALU_DEP_1) | instskip(NEXT) | instid1(VALU_DEP_1)
	v_add_nc_u32_e32 v3, 14, v25
	v_cmpx_ne_u32_e32 0, v3
	s_xor_b32 s13, exec_lo, s13
; %bb.4148:                             ;   in Loop: Header=BB6_3506 Depth=4
	v_cmp_lt_u64_e32 vcc_lo, 0xffffff, v[20:21]
	v_add_nc_u32_e32 v0, 15, v25
	s_delay_alu instid0(VALU_DEP_1) | instskip(SKIP_1) | instid1(VALU_DEP_1)
	v_cndmask_b32_e32 v2, v3, v0, vcc_lo
	v_cndmask_b32_e64 v0, 0, 1, vcc_lo
	v_lshrrev_b64 v[0:1], v0, v[20:21]
; %bb.4149:                             ;   in Loop: Header=BB6_3506 Depth=4
	s_and_not1_saveexec_b32 s13, s13
; %bb.4150:                             ;   in Loop: Header=BB6_3506 Depth=4
	v_mov_b64_e32 v[0:1], v[20:21]
	v_bfe_u32 v2, v20, 23, 1
; %bb.4151:                             ;   in Loop: Header=BB6_3506 Depth=4
	s_or_b32 exec_lo, exec_lo, s13
	s_delay_alu instid0(VALU_DEP_2) | instskip(NEXT) | instid1(VALU_DEP_2)
	v_lshrrev_b64 v[0:1], 21, v[0:1]
	v_cmp_gt_i32_e32 vcc_lo, 32, v2
	v_cmp_ne_u32_e64 s13, 0, v2
                                        ; implicit-def: $vgpr67
	s_delay_alu instid0(VALU_DEP_3) | instskip(NEXT) | instid1(VALU_DEP_1)
	v_dual_cndmask_b32 v1, 0, v1 :: v_dual_cndmask_b32 v0, 3, v0
	v_cmp_ne_u64_e32 vcc_lo, 0, v[0:1]
	s_or_b32 s13, s13, vcc_lo
	s_delay_alu instid0(SALU_CYCLE_1) | instskip(NEXT) | instid1(SALU_CYCLE_1)
	s_and_saveexec_b32 s75, s13
	s_xor_b32 s13, exec_lo, s75
; %bb.4152:                             ;   in Loop: Header=BB6_3506 Depth=4
	v_min_i32_e32 v1, 31, v2
	s_delay_alu instid0(VALU_DEP_1) | instskip(NEXT) | instid1(VALU_DEP_1)
	v_lshl_or_b32 v1, v1, 2, v5
                                        ; implicit-def: $vgpr5
	v_and_or_b32 v67, v0, 3, v1
; %bb.4153:                             ;   in Loop: Header=BB6_3506 Depth=4
	s_and_not1_saveexec_b32 s13, s13
; %bb.4154:                             ;   in Loop: Header=BB6_3506 Depth=4
	v_mov_b32_e32 v67, v5
; %bb.4155:                             ;   in Loop: Header=BB6_3506 Depth=4
	s_or_b32 exec_lo, exec_lo, s13
.LBB6_4156:                             ;   in Loop: Header=BB6_3506 Depth=4
	s_delay_alu instid0(SALU_CYCLE_1)
	s_or_b32 exec_lo, exec_lo, s74
                                        ; implicit-def: $vgpr5
.LBB6_4157:                             ;   in Loop: Header=BB6_3506 Depth=4
	s_and_not1_saveexec_b32 s13, s73
; %bb.4158:                             ;   in Loop: Header=BB6_3506 Depth=4
	v_or_b32_e32 v67, 0x7b, v5
; %bb.4159:                             ;   in Loop: Header=BB6_3506 Depth=4
	s_or_b32 exec_lo, exec_lo, s13
                                        ; implicit-def: $vgpr0
.LBB6_4160:                             ;   in Loop: Header=BB6_3506 Depth=4
	s_and_not1_saveexec_b32 s13, s72
	s_cbranch_execz .LBB6_4166
; %bb.4161:                             ;   in Loop: Header=BB6_3506 Depth=4
	s_mov_b32 s72, exec_lo
                                        ; implicit-def: $vgpr67
	v_cmpx_ne_u64_e32 0, v[20:21]
	s_xor_b32 s72, exec_lo, s72
; %bb.4162:                             ;   in Loop: Header=BB6_3506 Depth=4
	v_lshrrev_b32_e32 v0, 24, v0
	s_delay_alu instid0(VALU_DEP_1)
	v_or_b32_e32 v67, 0x7f, v0
                                        ; implicit-def: $vgpr0
; %bb.4163:                             ;   in Loop: Header=BB6_3506 Depth=4
	s_and_not1_saveexec_b32 s72, s72
; %bb.4164:                             ;   in Loop: Header=BB6_3506 Depth=4
	v_cmp_lt_i32_e32 vcc_lo, -1, v0
	v_cndmask_b32_e64 v67, -4, 0x7c, vcc_lo
; %bb.4165:                             ;   in Loop: Header=BB6_3506 Depth=4
	s_or_b32 exec_lo, exec_lo, s72
.LBB6_4166:                             ;   in Loop: Header=BB6_3506 Depth=4
	s_delay_alu instid0(SALU_CYCLE_1)
	s_or_b32 exec_lo, exec_lo, s13
	v_dual_mov_b32 v0, 0 :: v_dual_mov_b32 v1, 0
	s_mov_b32 s72, exec_lo
	v_cmpx_ne_u16_e32 0, v58
	s_cbranch_execz .LBB6_4176
; %bb.4167:                             ;   in Loop: Header=BB6_3506 Depth=4
	v_bfrev_b32_e32 v1, 1
	s_mov_b32 s73, exec_lo
	v_cmpx_ne_u16_e32 0xff80, v58
	s_cbranch_execz .LBB6_4175
; %bb.4168:                             ;   in Loop: Header=BB6_3506 Depth=4
	v_and_b32_e32 v1, 0x7c, v58
	v_and_b32_e32 v2, 3, v58
	s_delay_alu instid0(VALU_DEP_2) | instskip(SKIP_1) | instid1(SALU_CYCLE_1)
	v_cmp_ne_u32_e32 vcc_lo, 0x7c, v1
                                        ; implicit-def: $vgpr1
	s_and_saveexec_b32 s13, vcc_lo
	s_xor_b32 s13, exec_lo, s13
	s_cbranch_execz .LBB6_4172
; %bb.4169:                             ;   in Loop: Header=BB6_3506 Depth=4
	v_and_b32_e32 v1, 0xff, v58
	s_mov_b32 s74, exec_lo
	s_delay_alu instid0(VALU_DEP_1) | instskip(NEXT) | instid1(VALU_DEP_1)
	v_bfe_u32 v1, v1, 2, 5
	v_cmpx_eq_u32_e32 0, v1
	s_cbranch_execz .LBB6_4171
; %bb.4170:                             ;   in Loop: Header=BB6_3506 Depth=4
	v_clz_i32_u32_e32 v1, v2
	s_delay_alu instid0(VALU_DEP_1) | instskip(SKIP_1) | instid1(VALU_DEP_2)
	v_min_u32_e32 v1, 32, v1
	v_mov_b32_e32 v59, v21
	v_subrev_nc_u32_e32 v2, 29, v1
	v_sub_nc_u32_e32 v1, 30, v1
	s_delay_alu instid0(VALU_DEP_2) | instskip(NEXT) | instid1(VALU_DEP_1)
	v_lshlrev_b64_e32 v[2:3], v2, v[58:59]
	v_and_b32_e32 v2, 3, v2
.LBB6_4171:                             ;   in Loop: Header=BB6_3506 Depth=4
	s_or_b32 exec_lo, exec_lo, s74
	v_bfe_i32 v3, v58, 0, 16
                                        ; implicit-def: $vgpr58
	s_delay_alu instid0(VALU_DEP_1) | instskip(NEXT) | instid1(VALU_DEP_1)
	v_and_b32_e32 v3, 0x80000000, v3
	v_lshl_add_u32 v1, v1, 23, v3
	s_delay_alu instid0(VALU_DEP_1) | instskip(NEXT) | instid1(VALU_DEP_1)
	v_lshl_or_b32 v1, v2, 21, v1
                                        ; implicit-def: $vgpr2
	v_add_nc_u32_e32 v1, 0x38000000, v1
.LBB6_4172:                             ;   in Loop: Header=BB6_3506 Depth=4
	s_and_not1_saveexec_b32 s74, s13
; %bb.4173:                             ;   in Loop: Header=BB6_3506 Depth=4
	v_cmp_lt_i16_e64 s13, -1, v58
	v_mov_b32_e32 v1, 0x7f800000
	v_cmp_eq_u32_e32 vcc_lo, 0, v2
	s_delay_alu instid0(VALU_DEP_2) | instskip(NEXT) | instid1(VALU_DEP_1)
	v_cndmask_b32_e64 v1, 0xff800000, v1, s13
	v_cndmask_b32_e32 v1, 0x7f800001, v1, vcc_lo
; %bb.4174:                             ;   in Loop: Header=BB6_3506 Depth=4
	s_or_b32 exec_lo, exec_lo, s74
.LBB6_4175:                             ;   in Loop: Header=BB6_3506 Depth=4
	s_delay_alu instid0(SALU_CYCLE_1)
	s_or_b32 exec_lo, exec_lo, s73
.LBB6_4176:                             ;   in Loop: Header=BB6_3506 Depth=4
	s_delay_alu instid0(SALU_CYCLE_1) | instskip(NEXT) | instid1(SALU_CYCLE_1)
	s_or_b32 exec_lo, exec_lo, s72
	s_mov_b32 s72, exec_lo
	v_cmpx_ne_u16_e32 0, v96
	s_cbranch_execz .LBB6_4186
; %bb.4177:                             ;   in Loop: Header=BB6_3506 Depth=4
	v_bfrev_b32_e32 v0, 1
	s_mov_b32 s73, exec_lo
	v_cmpx_ne_u16_e32 0xff80, v96
	s_cbranch_execz .LBB6_4185
; %bb.4178:                             ;   in Loop: Header=BB6_3506 Depth=4
	v_and_b32_e32 v0, 0x7c, v96
	v_and_b32_e32 v2, 3, v96
	s_delay_alu instid0(VALU_DEP_2) | instskip(SKIP_1) | instid1(SALU_CYCLE_1)
	v_cmp_ne_u32_e32 vcc_lo, 0x7c, v0
                                        ; implicit-def: $vgpr0
	s_and_saveexec_b32 s13, vcc_lo
	s_xor_b32 s13, exec_lo, s13
	s_cbranch_execz .LBB6_4182
; %bb.4179:                             ;   in Loop: Header=BB6_3506 Depth=4
	v_and_b32_e32 v0, 0xff, v96
	s_mov_b32 s74, exec_lo
	s_delay_alu instid0(VALU_DEP_1) | instskip(NEXT) | instid1(VALU_DEP_1)
	v_bfe_u32 v0, v0, 2, 5
	v_cmpx_eq_u32_e32 0, v0
	s_cbranch_execz .LBB6_4181
; %bb.4180:                             ;   in Loop: Header=BB6_3506 Depth=4
	v_clz_i32_u32_e32 v0, v2
	s_delay_alu instid0(VALU_DEP_1) | instskip(SKIP_1) | instid1(VALU_DEP_2)
	v_min_u32_e32 v0, 32, v0
	v_mov_b32_e32 v97, v21
	v_subrev_nc_u32_e32 v2, 29, v0
	v_sub_nc_u32_e32 v0, 30, v0
	s_delay_alu instid0(VALU_DEP_2) | instskip(NEXT) | instid1(VALU_DEP_1)
	v_lshlrev_b64_e32 v[2:3], v2, v[96:97]
	v_and_b32_e32 v2, 3, v2
.LBB6_4181:                             ;   in Loop: Header=BB6_3506 Depth=4
	s_or_b32 exec_lo, exec_lo, s74
	v_bfe_i32 v3, v96, 0, 16
                                        ; implicit-def: $vgpr96
	s_delay_alu instid0(VALU_DEP_1) | instskip(NEXT) | instid1(VALU_DEP_1)
	v_and_b32_e32 v3, 0x80000000, v3
	v_lshl_add_u32 v0, v0, 23, v3
	s_delay_alu instid0(VALU_DEP_1) | instskip(NEXT) | instid1(VALU_DEP_1)
	v_lshl_or_b32 v0, v2, 21, v0
                                        ; implicit-def: $vgpr2
	v_add_nc_u32_e32 v0, 0x38000000, v0
.LBB6_4182:                             ;   in Loop: Header=BB6_3506 Depth=4
	s_and_not1_saveexec_b32 s74, s13
; %bb.4183:                             ;   in Loop: Header=BB6_3506 Depth=4
	v_cmp_lt_i16_e64 s13, -1, v96
	v_mov_b32_e32 v0, 0x7f800000
	v_cmp_eq_u32_e32 vcc_lo, 0, v2
	s_delay_alu instid0(VALU_DEP_2) | instskip(NEXT) | instid1(VALU_DEP_1)
	v_cndmask_b32_e64 v0, 0xff800000, v0, s13
	v_cndmask_b32_e32 v0, 0x7f800001, v0, vcc_lo
; %bb.4184:                             ;   in Loop: Header=BB6_3506 Depth=4
	s_or_b32 exec_lo, exec_lo, s74
.LBB6_4185:                             ;   in Loop: Header=BB6_3506 Depth=4
	s_delay_alu instid0(SALU_CYCLE_1)
	s_or_b32 exec_lo, exec_lo, s73
.LBB6_4186:                             ;   in Loop: Header=BB6_3506 Depth=4
	s_delay_alu instid0(SALU_CYCLE_1) | instskip(NEXT) | instid1(VALU_DEP_1)
	s_or_b32 exec_lo, exec_lo, s72
	v_mul_f32_e32 v0, v1, v0
	v_mov_b32_e32 v3, v21
                                        ; implicit-def: $vgpr69
	s_mov_b32 s13, exec_lo
	s_delay_alu instid0(VALU_DEP_2) | instskip(SKIP_1) | instid1(VALU_DEP_2)
	v_and_b32_e32 v2, 0x7f800000, v0
	v_and_b32_e32 v20, 0x7fffff, v0
	v_cmpx_ne_u64_e32 0x7f800000, v[2:3]
	s_xor_b32 s72, exec_lo, s13
	s_cbranch_execz .LBB6_4204
; %bb.4187:                             ;   in Loop: Header=BB6_3506 Depth=4
	v_dual_mov_b32 v3, v21 :: v_dual_lshrrev_b32 v1, 24, v0
	v_and_b32_e32 v2, 0x7fffffff, v0
                                        ; implicit-def: $vgpr69
	s_mov_b32 s13, exec_lo
	s_delay_alu instid0(VALU_DEP_2) | instskip(NEXT) | instid1(VALU_DEP_2)
	v_and_b32_e32 v5, 0x80, v1
	v_cmpx_gt_u64_e32 0x47600001, v[2:3]
	s_xor_b32 s73, exec_lo, s13
	s_cbranch_execz .LBB6_4201
; %bb.4188:                             ;   in Loop: Header=BB6_3506 Depth=4
	v_mov_b32_e32 v69, 0
	s_mov_b32 s74, exec_lo
	v_cmpx_ne_u32_e32 0, v0
	s_cbranch_execz .LBB6_4200
; %bb.4189:                             ;   in Loop: Header=BB6_3506 Depth=4
	v_bfe_u32 v25, v0, 23, 8
	v_or_b32_e32 v1, 0x800000, v20
	s_delay_alu instid0(VALU_DEP_2) | instskip(SKIP_2) | instid1(VALU_DEP_2)
	v_cmp_gt_u32_e64 s13, 0x72, v25
	v_sub_nc_u32_e32 v0, 0x71, v25
	v_cmp_eq_u32_e32 vcc_lo, 0, v25
	v_cndmask_b32_e64 v0, 0, v0, s13
	s_delay_alu instid0(VALU_DEP_1) | instskip(SKIP_1) | instid1(VALU_DEP_2)
	v_cndmask_b32_e64 v27, v0, 0x70, vcc_lo
	v_cndmask_b32_e32 v0, v1, v20, vcc_lo
	v_dual_mov_b32 v1, v21 :: v_dual_add_nc_u32 v2, 21, v27
	v_add_nc_u32_e32 v20, 20, v27
	s_delay_alu instid0(VALU_DEP_2) | instskip(NEXT) | instid1(VALU_DEP_2)
	v_lshlrev_b64_e64 v[2:3], v2, -1
	v_lshlrev_b64_e64 v[70:71], v20, 1
	s_delay_alu instid0(VALU_DEP_2) | instskip(SKIP_1) | instid1(VALU_DEP_4)
	v_bfi_b32 v2, v2, 0, v0
	v_lshrrev_b64 v[0:1], v27, v[0:1]
	v_bfi_b32 v3, v3, 0, 0
	s_delay_alu instid0(VALU_DEP_1) | instskip(NEXT) | instid1(VALU_DEP_3)
	v_cmp_eq_u64_e64 s13, v[2:3], v[70:71]
	v_mov_b64_e32 v[2:3], v[0:1]
	s_and_saveexec_b32 s75, s13
; %bb.4190:                             ;   in Loop: Header=BB6_3506 Depth=4
	v_bfe_u32 v2, v0, 21, 1
	v_mov_b32_e32 v3, v21
	s_delay_alu instid0(VALU_DEP_1) | instskip(NEXT) | instid1(VALU_DEP_1)
	v_add_nc_u64_e32 v[2:3], v[0:1], v[2:3]
	v_add_nc_u64_e32 v[2:3], -1, v[2:3]
; %bb.4191:                             ;   in Loop: Header=BB6_3506 Depth=4
	s_or_b32 exec_lo, exec_lo, s75
	v_add_nc_u32_e32 v1, 0xffffff81, v25
	s_delay_alu instid0(VALU_DEP_2) | instskip(SKIP_2) | instid1(VALU_DEP_3)
	v_and_b32_e32 v2, 0x1fffff, v2
	v_lshrrev_b32_e32 v3, 23, v0
	s_mov_b32 s13, exec_lo
	v_cndmask_b32_e64 v1, v1, 0xffffff82, vcc_lo
	s_delay_alu instid0(VALU_DEP_3) | instskip(NEXT) | instid1(VALU_DEP_2)
	v_add_nc_u32_e32 v20, v2, v0
                                        ; implicit-def: $vgpr2
	v_add3_u32 v25, v27, v1, v3
                                        ; implicit-def: $vgpr0_vgpr1
	s_delay_alu instid0(VALU_DEP_1) | instskip(NEXT) | instid1(VALU_DEP_1)
	v_add_nc_u32_e32 v3, 14, v25
	v_cmpx_ne_u32_e32 0, v3
	s_xor_b32 s13, exec_lo, s13
; %bb.4192:                             ;   in Loop: Header=BB6_3506 Depth=4
	v_cmp_lt_u64_e32 vcc_lo, 0xffffff, v[20:21]
	v_add_nc_u32_e32 v0, 15, v25
	s_delay_alu instid0(VALU_DEP_1) | instskip(SKIP_1) | instid1(VALU_DEP_1)
	v_cndmask_b32_e32 v2, v3, v0, vcc_lo
	v_cndmask_b32_e64 v0, 0, 1, vcc_lo
	v_lshrrev_b64 v[0:1], v0, v[20:21]
; %bb.4193:                             ;   in Loop: Header=BB6_3506 Depth=4
	s_and_not1_saveexec_b32 s13, s13
; %bb.4194:                             ;   in Loop: Header=BB6_3506 Depth=4
	v_mov_b64_e32 v[0:1], v[20:21]
	v_bfe_u32 v2, v20, 23, 1
; %bb.4195:                             ;   in Loop: Header=BB6_3506 Depth=4
	s_or_b32 exec_lo, exec_lo, s13
	s_delay_alu instid0(VALU_DEP_2) | instskip(NEXT) | instid1(VALU_DEP_2)
	v_lshrrev_b64 v[0:1], 21, v[0:1]
	v_cmp_gt_i32_e32 vcc_lo, 32, v2
	v_cmp_ne_u32_e64 s13, 0, v2
                                        ; implicit-def: $vgpr69
	s_delay_alu instid0(VALU_DEP_3) | instskip(NEXT) | instid1(VALU_DEP_1)
	v_dual_cndmask_b32 v1, 0, v1 :: v_dual_cndmask_b32 v0, 3, v0
	v_cmp_ne_u64_e32 vcc_lo, 0, v[0:1]
	s_or_b32 s13, s13, vcc_lo
	s_delay_alu instid0(SALU_CYCLE_1) | instskip(NEXT) | instid1(SALU_CYCLE_1)
	s_and_saveexec_b32 s75, s13
	s_xor_b32 s13, exec_lo, s75
; %bb.4196:                             ;   in Loop: Header=BB6_3506 Depth=4
	v_min_i32_e32 v1, 31, v2
	s_delay_alu instid0(VALU_DEP_1) | instskip(NEXT) | instid1(VALU_DEP_1)
	v_lshl_or_b32 v1, v1, 2, v5
                                        ; implicit-def: $vgpr5
	v_and_or_b32 v69, v0, 3, v1
; %bb.4197:                             ;   in Loop: Header=BB6_3506 Depth=4
	s_and_not1_saveexec_b32 s13, s13
; %bb.4198:                             ;   in Loop: Header=BB6_3506 Depth=4
	v_mov_b32_e32 v69, v5
; %bb.4199:                             ;   in Loop: Header=BB6_3506 Depth=4
	s_or_b32 exec_lo, exec_lo, s13
.LBB6_4200:                             ;   in Loop: Header=BB6_3506 Depth=4
	s_delay_alu instid0(SALU_CYCLE_1)
	s_or_b32 exec_lo, exec_lo, s74
                                        ; implicit-def: $vgpr5
.LBB6_4201:                             ;   in Loop: Header=BB6_3506 Depth=4
	s_and_not1_saveexec_b32 s13, s73
; %bb.4202:                             ;   in Loop: Header=BB6_3506 Depth=4
	v_or_b32_e32 v69, 0x7b, v5
; %bb.4203:                             ;   in Loop: Header=BB6_3506 Depth=4
	s_or_b32 exec_lo, exec_lo, s13
                                        ; implicit-def: $vgpr0
.LBB6_4204:                             ;   in Loop: Header=BB6_3506 Depth=4
	s_and_not1_saveexec_b32 s13, s72
	s_cbranch_execz .LBB6_4210
; %bb.4205:                             ;   in Loop: Header=BB6_3506 Depth=4
	s_mov_b32 s72, exec_lo
                                        ; implicit-def: $vgpr69
	v_cmpx_ne_u64_e32 0, v[20:21]
	s_xor_b32 s72, exec_lo, s72
; %bb.4206:                             ;   in Loop: Header=BB6_3506 Depth=4
	v_lshrrev_b32_e32 v0, 24, v0
	s_delay_alu instid0(VALU_DEP_1)
	v_or_b32_e32 v69, 0x7f, v0
                                        ; implicit-def: $vgpr0
; %bb.4207:                             ;   in Loop: Header=BB6_3506 Depth=4
	s_and_not1_saveexec_b32 s72, s72
; %bb.4208:                             ;   in Loop: Header=BB6_3506 Depth=4
	v_cmp_lt_i32_e32 vcc_lo, -1, v0
	v_cndmask_b32_e64 v69, -4, 0x7c, vcc_lo
; %bb.4209:                             ;   in Loop: Header=BB6_3506 Depth=4
	s_or_b32 exec_lo, exec_lo, s72
.LBB6_4210:                             ;   in Loop: Header=BB6_3506 Depth=4
	s_delay_alu instid0(SALU_CYCLE_1)
	s_or_b32 exec_lo, exec_lo, s13
	v_dual_mov_b32 v0, 0 :: v_dual_mov_b32 v1, 0
	s_mov_b32 s72, exec_lo
	v_cmpx_ne_u16_e32 0, v124
	s_cbranch_execz .LBB6_4220
; %bb.4211:                             ;   in Loop: Header=BB6_3506 Depth=4
	v_bfrev_b32_e32 v1, 1
	s_mov_b32 s73, exec_lo
	v_cmpx_ne_u16_e32 0xff80, v124
	s_cbranch_execz .LBB6_4219
; %bb.4212:                             ;   in Loop: Header=BB6_3506 Depth=4
	v_and_b32_e32 v1, 0x7c, v124
	v_and_b32_e32 v2, 3, v124
	s_delay_alu instid0(VALU_DEP_2) | instskip(SKIP_1) | instid1(SALU_CYCLE_1)
	v_cmp_ne_u32_e32 vcc_lo, 0x7c, v1
                                        ; implicit-def: $vgpr1
	s_and_saveexec_b32 s13, vcc_lo
	s_xor_b32 s13, exec_lo, s13
	s_cbranch_execz .LBB6_4216
; %bb.4213:                             ;   in Loop: Header=BB6_3506 Depth=4
	v_and_b32_e32 v1, 0xff, v124
	s_mov_b32 s74, exec_lo
	s_delay_alu instid0(VALU_DEP_1) | instskip(NEXT) | instid1(VALU_DEP_1)
	v_bfe_u32 v1, v1, 2, 5
	v_cmpx_eq_u32_e32 0, v1
	s_cbranch_execz .LBB6_4215
; %bb.4214:                             ;   in Loop: Header=BB6_3506 Depth=4
	v_clz_i32_u32_e32 v1, v2
	s_delay_alu instid0(VALU_DEP_1) | instskip(SKIP_1) | instid1(VALU_DEP_2)
	v_min_u32_e32 v1, 32, v1
	v_mov_b32_e32 v125, v21
	v_subrev_nc_u32_e32 v2, 29, v1
	v_sub_nc_u32_e32 v1, 30, v1
	s_delay_alu instid0(VALU_DEP_2) | instskip(NEXT) | instid1(VALU_DEP_1)
	v_lshlrev_b64_e32 v[2:3], v2, v[124:125]
	v_and_b32_e32 v2, 3, v2
.LBB6_4215:                             ;   in Loop: Header=BB6_3506 Depth=4
	s_or_b32 exec_lo, exec_lo, s74
	v_bfe_i32 v3, v124, 0, 16
                                        ; implicit-def: $vgpr124
	s_delay_alu instid0(VALU_DEP_1) | instskip(NEXT) | instid1(VALU_DEP_1)
	v_and_b32_e32 v3, 0x80000000, v3
	v_lshl_add_u32 v1, v1, 23, v3
	s_delay_alu instid0(VALU_DEP_1) | instskip(NEXT) | instid1(VALU_DEP_1)
	v_lshl_or_b32 v1, v2, 21, v1
                                        ; implicit-def: $vgpr2
	v_add_nc_u32_e32 v1, 0x38000000, v1
.LBB6_4216:                             ;   in Loop: Header=BB6_3506 Depth=4
	s_and_not1_saveexec_b32 s74, s13
; %bb.4217:                             ;   in Loop: Header=BB6_3506 Depth=4
	v_cmp_lt_i16_e64 s13, -1, v124
	v_mov_b32_e32 v1, 0x7f800000
	v_cmp_eq_u32_e32 vcc_lo, 0, v2
	s_delay_alu instid0(VALU_DEP_2) | instskip(NEXT) | instid1(VALU_DEP_1)
	v_cndmask_b32_e64 v1, 0xff800000, v1, s13
	v_cndmask_b32_e32 v1, 0x7f800001, v1, vcc_lo
; %bb.4218:                             ;   in Loop: Header=BB6_3506 Depth=4
	s_or_b32 exec_lo, exec_lo, s74
.LBB6_4219:                             ;   in Loop: Header=BB6_3506 Depth=4
	s_delay_alu instid0(SALU_CYCLE_1)
	s_or_b32 exec_lo, exec_lo, s73
.LBB6_4220:                             ;   in Loop: Header=BB6_3506 Depth=4
	s_delay_alu instid0(SALU_CYCLE_1) | instskip(NEXT) | instid1(SALU_CYCLE_1)
	s_or_b32 exec_lo, exec_lo, s72
	s_mov_b32 s72, exec_lo
	v_cmpx_ne_u16_e32 0, v62
	s_cbranch_execz .LBB6_4230
; %bb.4221:                             ;   in Loop: Header=BB6_3506 Depth=4
	v_bfrev_b32_e32 v0, 1
	s_mov_b32 s73, exec_lo
	v_cmpx_ne_u16_e32 0xff80, v62
	s_cbranch_execz .LBB6_4229
; %bb.4222:                             ;   in Loop: Header=BB6_3506 Depth=4
	v_and_b32_e32 v0, 0x7c, v62
	v_and_b32_e32 v2, 3, v62
	s_delay_alu instid0(VALU_DEP_2) | instskip(SKIP_1) | instid1(SALU_CYCLE_1)
	v_cmp_ne_u32_e32 vcc_lo, 0x7c, v0
                                        ; implicit-def: $vgpr0
	s_and_saveexec_b32 s13, vcc_lo
	s_xor_b32 s13, exec_lo, s13
	s_cbranch_execz .LBB6_4226
; %bb.4223:                             ;   in Loop: Header=BB6_3506 Depth=4
	v_and_b32_e32 v0, 0xff, v62
	s_mov_b32 s74, exec_lo
	s_delay_alu instid0(VALU_DEP_1) | instskip(NEXT) | instid1(VALU_DEP_1)
	v_bfe_u32 v0, v0, 2, 5
	v_cmpx_eq_u32_e32 0, v0
	s_cbranch_execz .LBB6_4225
; %bb.4224:                             ;   in Loop: Header=BB6_3506 Depth=4
	v_clz_i32_u32_e32 v0, v2
	s_delay_alu instid0(VALU_DEP_1) | instskip(SKIP_1) | instid1(VALU_DEP_2)
	v_min_u32_e32 v0, 32, v0
	v_mov_b32_e32 v63, v21
	v_subrev_nc_u32_e32 v2, 29, v0
	v_sub_nc_u32_e32 v0, 30, v0
	s_delay_alu instid0(VALU_DEP_2) | instskip(NEXT) | instid1(VALU_DEP_1)
	v_lshlrev_b64_e32 v[2:3], v2, v[62:63]
	v_and_b32_e32 v2, 3, v2
.LBB6_4225:                             ;   in Loop: Header=BB6_3506 Depth=4
	s_or_b32 exec_lo, exec_lo, s74
	v_bfe_i32 v3, v62, 0, 16
                                        ; implicit-def: $vgpr62
	s_delay_alu instid0(VALU_DEP_1) | instskip(NEXT) | instid1(VALU_DEP_1)
	v_and_b32_e32 v3, 0x80000000, v3
	v_lshl_add_u32 v0, v0, 23, v3
	s_delay_alu instid0(VALU_DEP_1) | instskip(NEXT) | instid1(VALU_DEP_1)
	v_lshl_or_b32 v0, v2, 21, v0
                                        ; implicit-def: $vgpr2
	v_add_nc_u32_e32 v0, 0x38000000, v0
.LBB6_4226:                             ;   in Loop: Header=BB6_3506 Depth=4
	s_and_not1_saveexec_b32 s74, s13
; %bb.4227:                             ;   in Loop: Header=BB6_3506 Depth=4
	v_cmp_lt_i16_e64 s13, -1, v62
	v_mov_b32_e32 v0, 0x7f800000
	v_cmp_eq_u32_e32 vcc_lo, 0, v2
	s_delay_alu instid0(VALU_DEP_2) | instskip(NEXT) | instid1(VALU_DEP_1)
	v_cndmask_b32_e64 v0, 0xff800000, v0, s13
	v_cndmask_b32_e32 v0, 0x7f800001, v0, vcc_lo
; %bb.4228:                             ;   in Loop: Header=BB6_3506 Depth=4
	s_or_b32 exec_lo, exec_lo, s74
.LBB6_4229:                             ;   in Loop: Header=BB6_3506 Depth=4
	s_delay_alu instid0(SALU_CYCLE_1)
	s_or_b32 exec_lo, exec_lo, s73
.LBB6_4230:                             ;   in Loop: Header=BB6_3506 Depth=4
	s_delay_alu instid0(SALU_CYCLE_1) | instskip(NEXT) | instid1(VALU_DEP_1)
	s_or_b32 exec_lo, exec_lo, s72
	v_mul_f32_e32 v0, v1, v0
	v_mov_b32_e32 v3, v21
                                        ; implicit-def: $vgpr70
	s_mov_b32 s13, exec_lo
	s_delay_alu instid0(VALU_DEP_2) | instskip(SKIP_1) | instid1(VALU_DEP_2)
	v_and_b32_e32 v2, 0x7f800000, v0
	v_and_b32_e32 v20, 0x7fffff, v0
	v_cmpx_ne_u64_e32 0x7f800000, v[2:3]
	s_xor_b32 s72, exec_lo, s13
	s_cbranch_execz .LBB6_4248
; %bb.4231:                             ;   in Loop: Header=BB6_3506 Depth=4
	v_dual_mov_b32 v3, v21 :: v_dual_lshrrev_b32 v1, 24, v0
	v_and_b32_e32 v2, 0x7fffffff, v0
                                        ; implicit-def: $vgpr70
	s_mov_b32 s13, exec_lo
	s_delay_alu instid0(VALU_DEP_2) | instskip(NEXT) | instid1(VALU_DEP_2)
	v_and_b32_e32 v5, 0x80, v1
	v_cmpx_gt_u64_e32 0x47600001, v[2:3]
	s_xor_b32 s73, exec_lo, s13
	s_cbranch_execz .LBB6_4245
; %bb.4232:                             ;   in Loop: Header=BB6_3506 Depth=4
	v_mov_b32_e32 v70, 0
	s_mov_b32 s74, exec_lo
	v_cmpx_ne_u32_e32 0, v0
	s_cbranch_execz .LBB6_4244
; %bb.4233:                             ;   in Loop: Header=BB6_3506 Depth=4
	v_bfe_u32 v25, v0, 23, 8
	v_or_b32_e32 v1, 0x800000, v20
	s_delay_alu instid0(VALU_DEP_2) | instskip(SKIP_2) | instid1(VALU_DEP_2)
	v_cmp_gt_u32_e64 s13, 0x72, v25
	v_sub_nc_u32_e32 v0, 0x71, v25
	v_cmp_eq_u32_e32 vcc_lo, 0, v25
	v_cndmask_b32_e64 v0, 0, v0, s13
	s_delay_alu instid0(VALU_DEP_1) | instskip(SKIP_1) | instid1(VALU_DEP_2)
	v_cndmask_b32_e64 v27, v0, 0x70, vcc_lo
	v_cndmask_b32_e32 v0, v1, v20, vcc_lo
	v_dual_mov_b32 v1, v21 :: v_dual_add_nc_u32 v2, 21, v27
	v_add_nc_u32_e32 v20, 20, v27
	s_delay_alu instid0(VALU_DEP_2) | instskip(NEXT) | instid1(VALU_DEP_2)
	v_lshlrev_b64_e64 v[2:3], v2, -1
	v_lshlrev_b64_e64 v[70:71], v20, 1
	s_delay_alu instid0(VALU_DEP_2) | instskip(SKIP_1) | instid1(VALU_DEP_4)
	v_bfi_b32 v2, v2, 0, v0
	v_lshrrev_b64 v[0:1], v27, v[0:1]
	v_bfi_b32 v3, v3, 0, 0
	s_delay_alu instid0(VALU_DEP_1) | instskip(NEXT) | instid1(VALU_DEP_3)
	v_cmp_eq_u64_e64 s13, v[2:3], v[70:71]
	v_mov_b64_e32 v[2:3], v[0:1]
	s_and_saveexec_b32 s75, s13
; %bb.4234:                             ;   in Loop: Header=BB6_3506 Depth=4
	v_bfe_u32 v2, v0, 21, 1
	v_mov_b32_e32 v3, v21
	s_delay_alu instid0(VALU_DEP_1) | instskip(NEXT) | instid1(VALU_DEP_1)
	v_add_nc_u64_e32 v[2:3], v[0:1], v[2:3]
	v_add_nc_u64_e32 v[2:3], -1, v[2:3]
; %bb.4235:                             ;   in Loop: Header=BB6_3506 Depth=4
	s_or_b32 exec_lo, exec_lo, s75
	v_add_nc_u32_e32 v1, 0xffffff81, v25
	s_delay_alu instid0(VALU_DEP_2) | instskip(SKIP_2) | instid1(VALU_DEP_3)
	v_and_b32_e32 v2, 0x1fffff, v2
	v_lshrrev_b32_e32 v3, 23, v0
	s_mov_b32 s13, exec_lo
	v_cndmask_b32_e64 v1, v1, 0xffffff82, vcc_lo
	s_delay_alu instid0(VALU_DEP_3) | instskip(NEXT) | instid1(VALU_DEP_2)
	v_add_nc_u32_e32 v20, v2, v0
                                        ; implicit-def: $vgpr2
	v_add3_u32 v25, v27, v1, v3
                                        ; implicit-def: $vgpr0_vgpr1
	s_delay_alu instid0(VALU_DEP_1) | instskip(NEXT) | instid1(VALU_DEP_1)
	v_add_nc_u32_e32 v3, 14, v25
	v_cmpx_ne_u32_e32 0, v3
	s_xor_b32 s13, exec_lo, s13
; %bb.4236:                             ;   in Loop: Header=BB6_3506 Depth=4
	v_cmp_lt_u64_e32 vcc_lo, 0xffffff, v[20:21]
	v_add_nc_u32_e32 v0, 15, v25
	s_delay_alu instid0(VALU_DEP_1) | instskip(SKIP_1) | instid1(VALU_DEP_1)
	v_cndmask_b32_e32 v2, v3, v0, vcc_lo
	v_cndmask_b32_e64 v0, 0, 1, vcc_lo
	v_lshrrev_b64 v[0:1], v0, v[20:21]
; %bb.4237:                             ;   in Loop: Header=BB6_3506 Depth=4
	s_and_not1_saveexec_b32 s13, s13
; %bb.4238:                             ;   in Loop: Header=BB6_3506 Depth=4
	v_mov_b64_e32 v[0:1], v[20:21]
	v_bfe_u32 v2, v20, 23, 1
; %bb.4239:                             ;   in Loop: Header=BB6_3506 Depth=4
	s_or_b32 exec_lo, exec_lo, s13
	s_delay_alu instid0(VALU_DEP_2) | instskip(NEXT) | instid1(VALU_DEP_2)
	v_lshrrev_b64 v[0:1], 21, v[0:1]
	v_cmp_gt_i32_e32 vcc_lo, 32, v2
	v_cmp_ne_u32_e64 s13, 0, v2
                                        ; implicit-def: $vgpr70
	s_delay_alu instid0(VALU_DEP_3) | instskip(NEXT) | instid1(VALU_DEP_1)
	v_dual_cndmask_b32 v1, 0, v1 :: v_dual_cndmask_b32 v0, 3, v0
	v_cmp_ne_u64_e32 vcc_lo, 0, v[0:1]
	s_or_b32 s13, s13, vcc_lo
	s_delay_alu instid0(SALU_CYCLE_1) | instskip(NEXT) | instid1(SALU_CYCLE_1)
	s_and_saveexec_b32 s75, s13
	s_xor_b32 s13, exec_lo, s75
; %bb.4240:                             ;   in Loop: Header=BB6_3506 Depth=4
	v_min_i32_e32 v1, 31, v2
	s_delay_alu instid0(VALU_DEP_1) | instskip(NEXT) | instid1(VALU_DEP_1)
	v_lshl_or_b32 v1, v1, 2, v5
                                        ; implicit-def: $vgpr5
	v_and_or_b32 v70, v0, 3, v1
; %bb.4241:                             ;   in Loop: Header=BB6_3506 Depth=4
	s_and_not1_saveexec_b32 s13, s13
; %bb.4242:                             ;   in Loop: Header=BB6_3506 Depth=4
	v_mov_b32_e32 v70, v5
; %bb.4243:                             ;   in Loop: Header=BB6_3506 Depth=4
	s_or_b32 exec_lo, exec_lo, s13
.LBB6_4244:                             ;   in Loop: Header=BB6_3506 Depth=4
	s_delay_alu instid0(SALU_CYCLE_1)
	s_or_b32 exec_lo, exec_lo, s74
                                        ; implicit-def: $vgpr5
.LBB6_4245:                             ;   in Loop: Header=BB6_3506 Depth=4
	s_and_not1_saveexec_b32 s13, s73
; %bb.4246:                             ;   in Loop: Header=BB6_3506 Depth=4
	v_or_b32_e32 v70, 0x7b, v5
; %bb.4247:                             ;   in Loop: Header=BB6_3506 Depth=4
	s_or_b32 exec_lo, exec_lo, s13
                                        ; implicit-def: $vgpr0
.LBB6_4248:                             ;   in Loop: Header=BB6_3506 Depth=4
	s_and_not1_saveexec_b32 s13, s72
	s_cbranch_execz .LBB6_4254
; %bb.4249:                             ;   in Loop: Header=BB6_3506 Depth=4
	s_mov_b32 s72, exec_lo
                                        ; implicit-def: $vgpr70
	v_cmpx_ne_u64_e32 0, v[20:21]
	s_xor_b32 s72, exec_lo, s72
; %bb.4250:                             ;   in Loop: Header=BB6_3506 Depth=4
	v_lshrrev_b32_e32 v0, 24, v0
	s_delay_alu instid0(VALU_DEP_1)
	v_or_b32_e32 v70, 0x7f, v0
                                        ; implicit-def: $vgpr0
; %bb.4251:                             ;   in Loop: Header=BB6_3506 Depth=4
	s_and_not1_saveexec_b32 s72, s72
; %bb.4252:                             ;   in Loop: Header=BB6_3506 Depth=4
	v_cmp_lt_i32_e32 vcc_lo, -1, v0
	v_cndmask_b32_e64 v70, -4, 0x7c, vcc_lo
; %bb.4253:                             ;   in Loop: Header=BB6_3506 Depth=4
	s_or_b32 exec_lo, exec_lo, s72
.LBB6_4254:                             ;   in Loop: Header=BB6_3506 Depth=4
	s_delay_alu instid0(SALU_CYCLE_1)
	s_or_b32 exec_lo, exec_lo, s13
	v_dual_mov_b32 v0, 0 :: v_dual_mov_b32 v1, 0
	s_mov_b32 s72, exec_lo
	v_cmpx_ne_u16_e32 0, v98
	s_cbranch_execz .LBB6_4264
; %bb.4255:                             ;   in Loop: Header=BB6_3506 Depth=4
	v_bfrev_b32_e32 v1, 1
	s_mov_b32 s73, exec_lo
	v_cmpx_ne_u16_e32 0xff80, v98
	s_cbranch_execz .LBB6_4263
; %bb.4256:                             ;   in Loop: Header=BB6_3506 Depth=4
	v_and_b32_e32 v1, 0x7c, v98
	v_and_b32_e32 v2, 3, v98
	s_delay_alu instid0(VALU_DEP_2) | instskip(SKIP_1) | instid1(SALU_CYCLE_1)
	v_cmp_ne_u32_e32 vcc_lo, 0x7c, v1
                                        ; implicit-def: $vgpr1
	s_and_saveexec_b32 s13, vcc_lo
	s_xor_b32 s13, exec_lo, s13
	s_cbranch_execz .LBB6_4260
; %bb.4257:                             ;   in Loop: Header=BB6_3506 Depth=4
	v_and_b32_e32 v1, 0xff, v98
	s_mov_b32 s74, exec_lo
	s_delay_alu instid0(VALU_DEP_1) | instskip(NEXT) | instid1(VALU_DEP_1)
	v_bfe_u32 v1, v1, 2, 5
	v_cmpx_eq_u32_e32 0, v1
	s_cbranch_execz .LBB6_4259
; %bb.4258:                             ;   in Loop: Header=BB6_3506 Depth=4
	v_clz_i32_u32_e32 v1, v2
	s_delay_alu instid0(VALU_DEP_1) | instskip(SKIP_1) | instid1(VALU_DEP_2)
	v_min_u32_e32 v1, 32, v1
	v_mov_b32_e32 v99, v21
	v_subrev_nc_u32_e32 v2, 29, v1
	v_sub_nc_u32_e32 v1, 30, v1
	s_delay_alu instid0(VALU_DEP_2) | instskip(NEXT) | instid1(VALU_DEP_1)
	v_lshlrev_b64_e32 v[2:3], v2, v[98:99]
	v_and_b32_e32 v2, 3, v2
.LBB6_4259:                             ;   in Loop: Header=BB6_3506 Depth=4
	s_or_b32 exec_lo, exec_lo, s74
	v_bfe_i32 v3, v98, 0, 16
                                        ; implicit-def: $vgpr98
	s_delay_alu instid0(VALU_DEP_1) | instskip(NEXT) | instid1(VALU_DEP_1)
	v_and_b32_e32 v3, 0x80000000, v3
	v_lshl_add_u32 v1, v1, 23, v3
	s_delay_alu instid0(VALU_DEP_1) | instskip(NEXT) | instid1(VALU_DEP_1)
	v_lshl_or_b32 v1, v2, 21, v1
                                        ; implicit-def: $vgpr2
	v_add_nc_u32_e32 v1, 0x38000000, v1
.LBB6_4260:                             ;   in Loop: Header=BB6_3506 Depth=4
	s_and_not1_saveexec_b32 s74, s13
; %bb.4261:                             ;   in Loop: Header=BB6_3506 Depth=4
	v_cmp_lt_i16_e64 s13, -1, v98
	v_mov_b32_e32 v1, 0x7f800000
	v_cmp_eq_u32_e32 vcc_lo, 0, v2
	s_delay_alu instid0(VALU_DEP_2) | instskip(NEXT) | instid1(VALU_DEP_1)
	v_cndmask_b32_e64 v1, 0xff800000, v1, s13
	v_cndmask_b32_e32 v1, 0x7f800001, v1, vcc_lo
; %bb.4262:                             ;   in Loop: Header=BB6_3506 Depth=4
	s_or_b32 exec_lo, exec_lo, s74
.LBB6_4263:                             ;   in Loop: Header=BB6_3506 Depth=4
	s_delay_alu instid0(SALU_CYCLE_1)
	s_or_b32 exec_lo, exec_lo, s73
.LBB6_4264:                             ;   in Loop: Header=BB6_3506 Depth=4
	s_delay_alu instid0(SALU_CYCLE_1) | instskip(NEXT) | instid1(SALU_CYCLE_1)
	s_or_b32 exec_lo, exec_lo, s72
	s_mov_b32 s72, exec_lo
	v_cmpx_ne_u16_e32 0, v4
	s_cbranch_execz .LBB6_4274
; %bb.4265:                             ;   in Loop: Header=BB6_3506 Depth=4
	v_bfrev_b32_e32 v0, 1
	s_mov_b32 s73, exec_lo
	v_cmpx_ne_u16_e32 0xff80, v4
	s_cbranch_execz .LBB6_4273
; %bb.4266:                             ;   in Loop: Header=BB6_3506 Depth=4
	v_and_b32_e32 v0, 0x7c, v4
	v_and_b32_e32 v2, 3, v4
	s_delay_alu instid0(VALU_DEP_2) | instskip(SKIP_1) | instid1(SALU_CYCLE_1)
	v_cmp_ne_u32_e32 vcc_lo, 0x7c, v0
                                        ; implicit-def: $vgpr0
	s_and_saveexec_b32 s13, vcc_lo
	s_xor_b32 s13, exec_lo, s13
	s_cbranch_execz .LBB6_4270
; %bb.4267:                             ;   in Loop: Header=BB6_3506 Depth=4
	v_and_b32_e32 v0, 0xff, v4
	s_mov_b32 s74, exec_lo
	s_delay_alu instid0(VALU_DEP_1) | instskip(NEXT) | instid1(VALU_DEP_1)
	v_bfe_u32 v0, v0, 2, 5
	v_cmpx_eq_u32_e32 0, v0
	s_cbranch_execz .LBB6_4269
; %bb.4268:                             ;   in Loop: Header=BB6_3506 Depth=4
	v_clz_i32_u32_e32 v0, v2
	s_delay_alu instid0(VALU_DEP_1) | instskip(SKIP_1) | instid1(VALU_DEP_2)
	v_min_u32_e32 v0, 32, v0
	v_mov_b32_e32 v5, v21
	v_subrev_nc_u32_e32 v2, 29, v0
	v_sub_nc_u32_e32 v0, 30, v0
	s_delay_alu instid0(VALU_DEP_2) | instskip(NEXT) | instid1(VALU_DEP_1)
	v_lshlrev_b64_e32 v[2:3], v2, v[4:5]
	v_and_b32_e32 v2, 3, v2
.LBB6_4269:                             ;   in Loop: Header=BB6_3506 Depth=4
	s_or_b32 exec_lo, exec_lo, s74
	v_bfe_i32 v3, v4, 0, 16
                                        ; implicit-def: $vgpr4
	s_delay_alu instid0(VALU_DEP_1) | instskip(NEXT) | instid1(VALU_DEP_1)
	v_and_b32_e32 v3, 0x80000000, v3
	v_lshl_add_u32 v0, v0, 23, v3
	s_delay_alu instid0(VALU_DEP_1) | instskip(NEXT) | instid1(VALU_DEP_1)
	v_lshl_or_b32 v0, v2, 21, v0
                                        ; implicit-def: $vgpr2
	v_add_nc_u32_e32 v0, 0x38000000, v0
.LBB6_4270:                             ;   in Loop: Header=BB6_3506 Depth=4
	s_and_not1_saveexec_b32 s74, s13
; %bb.4271:                             ;   in Loop: Header=BB6_3506 Depth=4
	v_cmp_lt_i16_e64 s13, -1, v4
	v_mov_b32_e32 v0, 0x7f800000
	v_cmp_eq_u32_e32 vcc_lo, 0, v2
	s_delay_alu instid0(VALU_DEP_2) | instskip(NEXT) | instid1(VALU_DEP_1)
	v_cndmask_b32_e64 v0, 0xff800000, v0, s13
	v_cndmask_b32_e32 v0, 0x7f800001, v0, vcc_lo
; %bb.4272:                             ;   in Loop: Header=BB6_3506 Depth=4
	s_or_b32 exec_lo, exec_lo, s74
.LBB6_4273:                             ;   in Loop: Header=BB6_3506 Depth=4
	s_delay_alu instid0(SALU_CYCLE_1)
	s_or_b32 exec_lo, exec_lo, s73
.LBB6_4274:                             ;   in Loop: Header=BB6_3506 Depth=4
	s_delay_alu instid0(SALU_CYCLE_1) | instskip(NEXT) | instid1(VALU_DEP_1)
	s_or_b32 exec_lo, exec_lo, s72
	v_mul_f32_e32 v0, v1, v0
	v_mov_b32_e32 v3, v21
                                        ; implicit-def: $vgpr4
	s_mov_b32 s13, exec_lo
	s_delay_alu instid0(VALU_DEP_2) | instskip(SKIP_1) | instid1(VALU_DEP_2)
	v_and_b32_e32 v2, 0x7f800000, v0
	v_and_b32_e32 v20, 0x7fffff, v0
	v_cmpx_ne_u64_e32 0x7f800000, v[2:3]
	s_xor_b32 s72, exec_lo, s13
	s_cbranch_execz .LBB6_4292
; %bb.4275:                             ;   in Loop: Header=BB6_3506 Depth=4
	v_dual_mov_b32 v3, v21 :: v_dual_lshrrev_b32 v1, 24, v0
	v_and_b32_e32 v2, 0x7fffffff, v0
                                        ; implicit-def: $vgpr4
	s_mov_b32 s13, exec_lo
	s_delay_alu instid0(VALU_DEP_2) | instskip(NEXT) | instid1(VALU_DEP_2)
	v_and_b32_e32 v5, 0x80, v1
	v_cmpx_gt_u64_e32 0x47600001, v[2:3]
	s_xor_b32 s73, exec_lo, s13
	s_cbranch_execz .LBB6_4289
; %bb.4276:                             ;   in Loop: Header=BB6_3506 Depth=4
	v_mov_b32_e32 v4, 0
	s_mov_b32 s74, exec_lo
	v_cmpx_ne_u32_e32 0, v0
	s_cbranch_execz .LBB6_4288
; %bb.4277:                             ;   in Loop: Header=BB6_3506 Depth=4
	v_bfe_u32 v4, v0, 23, 8
	v_or_b32_e32 v1, 0x800000, v20
	s_delay_alu instid0(VALU_DEP_2) | instskip(SKIP_2) | instid1(VALU_DEP_2)
	v_cmp_gt_u32_e64 s13, 0x72, v4
	v_sub_nc_u32_e32 v0, 0x71, v4
	v_cmp_eq_u32_e32 vcc_lo, 0, v4
	v_cndmask_b32_e64 v0, 0, v0, s13
	s_delay_alu instid0(VALU_DEP_1) | instskip(SKIP_1) | instid1(VALU_DEP_2)
	v_cndmask_b32_e64 v25, v0, 0x70, vcc_lo
	v_cndmask_b32_e32 v0, v1, v20, vcc_lo
	v_dual_mov_b32 v1, v21 :: v_dual_add_nc_u32 v2, 21, v25
	v_add_nc_u32_e32 v20, 20, v25
	s_delay_alu instid0(VALU_DEP_2) | instskip(NEXT) | instid1(VALU_DEP_2)
	v_lshlrev_b64_e64 v[2:3], v2, -1
	v_lshlrev_b64_e64 v[80:81], v20, 1
	s_delay_alu instid0(VALU_DEP_2) | instskip(SKIP_1) | instid1(VALU_DEP_4)
	v_bfi_b32 v2, v2, 0, v0
	v_lshrrev_b64 v[0:1], v25, v[0:1]
	v_bfi_b32 v3, v3, 0, 0
	s_delay_alu instid0(VALU_DEP_1) | instskip(NEXT) | instid1(VALU_DEP_3)
	v_cmp_eq_u64_e64 s13, v[2:3], v[80:81]
	v_mov_b64_e32 v[2:3], v[0:1]
	s_and_saveexec_b32 s75, s13
; %bb.4278:                             ;   in Loop: Header=BB6_3506 Depth=4
	v_bfe_u32 v2, v0, 21, 1
	v_mov_b32_e32 v3, v21
	s_delay_alu instid0(VALU_DEP_1) | instskip(NEXT) | instid1(VALU_DEP_1)
	v_add_nc_u64_e32 v[2:3], v[0:1], v[2:3]
	v_add_nc_u64_e32 v[2:3], -1, v[2:3]
; %bb.4279:                             ;   in Loop: Header=BB6_3506 Depth=4
	s_or_b32 exec_lo, exec_lo, s75
	v_add_nc_u32_e32 v1, 0xffffff81, v4
	s_delay_alu instid0(VALU_DEP_2) | instskip(SKIP_2) | instid1(VALU_DEP_3)
	v_and_b32_e32 v2, 0x1fffff, v2
	v_lshrrev_b32_e32 v3, 23, v0
	s_mov_b32 s13, exec_lo
	v_cndmask_b32_e64 v1, v1, 0xffffff82, vcc_lo
	s_delay_alu instid0(VALU_DEP_3) | instskip(NEXT) | instid1(VALU_DEP_2)
	v_add_nc_u32_e32 v20, v2, v0
                                        ; implicit-def: $vgpr2
	v_add3_u32 v4, v25, v1, v3
                                        ; implicit-def: $vgpr0_vgpr1
	s_delay_alu instid0(VALU_DEP_1) | instskip(NEXT) | instid1(VALU_DEP_1)
	v_add_nc_u32_e32 v3, 14, v4
	v_cmpx_ne_u32_e32 0, v3
	s_xor_b32 s13, exec_lo, s13
; %bb.4280:                             ;   in Loop: Header=BB6_3506 Depth=4
	v_cmp_lt_u64_e32 vcc_lo, 0xffffff, v[20:21]
	v_add_nc_u32_e32 v0, 15, v4
	s_delay_alu instid0(VALU_DEP_1) | instskip(SKIP_1) | instid1(VALU_DEP_1)
	v_cndmask_b32_e32 v2, v3, v0, vcc_lo
	v_cndmask_b32_e64 v0, 0, 1, vcc_lo
	v_lshrrev_b64 v[0:1], v0, v[20:21]
; %bb.4281:                             ;   in Loop: Header=BB6_3506 Depth=4
	s_and_not1_saveexec_b32 s13, s13
; %bb.4282:                             ;   in Loop: Header=BB6_3506 Depth=4
	v_mov_b64_e32 v[0:1], v[20:21]
	v_bfe_u32 v2, v20, 23, 1
; %bb.4283:                             ;   in Loop: Header=BB6_3506 Depth=4
	s_or_b32 exec_lo, exec_lo, s13
	s_delay_alu instid0(VALU_DEP_2) | instskip(NEXT) | instid1(VALU_DEP_2)
	v_lshrrev_b64 v[0:1], 21, v[0:1]
	v_cmp_gt_i32_e32 vcc_lo, 32, v2
	v_cmp_ne_u32_e64 s13, 0, v2
                                        ; implicit-def: $vgpr4
	s_delay_alu instid0(VALU_DEP_3) | instskip(NEXT) | instid1(VALU_DEP_1)
	v_dual_cndmask_b32 v1, 0, v1 :: v_dual_cndmask_b32 v0, 3, v0
	v_cmp_ne_u64_e32 vcc_lo, 0, v[0:1]
	s_or_b32 s13, s13, vcc_lo
	s_delay_alu instid0(SALU_CYCLE_1) | instskip(NEXT) | instid1(SALU_CYCLE_1)
	s_and_saveexec_b32 s75, s13
	s_xor_b32 s13, exec_lo, s75
; %bb.4284:                             ;   in Loop: Header=BB6_3506 Depth=4
	v_min_i32_e32 v1, 31, v2
	s_delay_alu instid0(VALU_DEP_1) | instskip(NEXT) | instid1(VALU_DEP_1)
	v_lshl_or_b32 v1, v1, 2, v5
                                        ; implicit-def: $vgpr5
	v_and_or_b32 v4, v0, 3, v1
; %bb.4285:                             ;   in Loop: Header=BB6_3506 Depth=4
	s_and_not1_saveexec_b32 s13, s13
; %bb.4286:                             ;   in Loop: Header=BB6_3506 Depth=4
	v_mov_b32_e32 v4, v5
; %bb.4287:                             ;   in Loop: Header=BB6_3506 Depth=4
	s_or_b32 exec_lo, exec_lo, s13
.LBB6_4288:                             ;   in Loop: Header=BB6_3506 Depth=4
	s_delay_alu instid0(SALU_CYCLE_1)
	s_or_b32 exec_lo, exec_lo, s74
                                        ; implicit-def: $vgpr5
.LBB6_4289:                             ;   in Loop: Header=BB6_3506 Depth=4
	s_and_not1_saveexec_b32 s13, s73
; %bb.4290:                             ;   in Loop: Header=BB6_3506 Depth=4
	v_or_b32_e32 v4, 0x7b, v5
; %bb.4291:                             ;   in Loop: Header=BB6_3506 Depth=4
	s_or_b32 exec_lo, exec_lo, s13
                                        ; implicit-def: $vgpr0
.LBB6_4292:                             ;   in Loop: Header=BB6_3506 Depth=4
	s_and_not1_saveexec_b32 s13, s72
	s_cbranch_execz .LBB6_4298
; %bb.4293:                             ;   in Loop: Header=BB6_3506 Depth=4
	s_mov_b32 s72, exec_lo
                                        ; implicit-def: $vgpr4
	v_cmpx_ne_u64_e32 0, v[20:21]
	s_xor_b32 s72, exec_lo, s72
; %bb.4294:                             ;   in Loop: Header=BB6_3506 Depth=4
	v_lshrrev_b32_e32 v0, 24, v0
	s_delay_alu instid0(VALU_DEP_1)
	v_or_b32_e32 v4, 0x7f, v0
                                        ; implicit-def: $vgpr0
; %bb.4295:                             ;   in Loop: Header=BB6_3506 Depth=4
	s_and_not1_saveexec_b32 s72, s72
; %bb.4296:                             ;   in Loop: Header=BB6_3506 Depth=4
	v_cmp_lt_i32_e32 vcc_lo, -1, v0
	v_cndmask_b32_e64 v4, -4, 0x7c, vcc_lo
; %bb.4297:                             ;   in Loop: Header=BB6_3506 Depth=4
	s_or_b32 exec_lo, exec_lo, s72
.LBB6_4298:                             ;   in Loop: Header=BB6_3506 Depth=4
	s_delay_alu instid0(SALU_CYCLE_1)
	s_or_b32 exec_lo, exec_lo, s13
	v_dual_mov_b32 v0, 0 :: v_dual_mov_b32 v1, 0
	s_mov_b32 s72, exec_lo
	v_cmpx_ne_u16_e32 0, v118
	s_cbranch_execz .LBB6_4308
; %bb.4299:                             ;   in Loop: Header=BB6_3506 Depth=4
	v_bfrev_b32_e32 v1, 1
	s_mov_b32 s73, exec_lo
	v_cmpx_ne_u16_e32 0xff80, v118
	s_cbranch_execz .LBB6_4307
; %bb.4300:                             ;   in Loop: Header=BB6_3506 Depth=4
	v_and_b32_e32 v1, 0x7c, v118
	v_and_b32_e32 v2, 3, v118
	s_delay_alu instid0(VALU_DEP_2) | instskip(SKIP_1) | instid1(SALU_CYCLE_1)
	v_cmp_ne_u32_e32 vcc_lo, 0x7c, v1
                                        ; implicit-def: $vgpr1
	s_and_saveexec_b32 s13, vcc_lo
	s_xor_b32 s13, exec_lo, s13
	s_cbranch_execz .LBB6_4304
; %bb.4301:                             ;   in Loop: Header=BB6_3506 Depth=4
	v_and_b32_e32 v1, 0xff, v118
	s_mov_b32 s74, exec_lo
	s_delay_alu instid0(VALU_DEP_1) | instskip(NEXT) | instid1(VALU_DEP_1)
	v_bfe_u32 v1, v1, 2, 5
	v_cmpx_eq_u32_e32 0, v1
	s_cbranch_execz .LBB6_4303
; %bb.4302:                             ;   in Loop: Header=BB6_3506 Depth=4
	v_clz_i32_u32_e32 v1, v2
	s_delay_alu instid0(VALU_DEP_1) | instskip(SKIP_1) | instid1(VALU_DEP_2)
	v_min_u32_e32 v1, 32, v1
	v_mov_b32_e32 v119, v21
	v_subrev_nc_u32_e32 v2, 29, v1
	v_sub_nc_u32_e32 v1, 30, v1
	s_delay_alu instid0(VALU_DEP_2) | instskip(NEXT) | instid1(VALU_DEP_1)
	v_lshlrev_b64_e32 v[2:3], v2, v[118:119]
	v_and_b32_e32 v2, 3, v2
.LBB6_4303:                             ;   in Loop: Header=BB6_3506 Depth=4
	s_or_b32 exec_lo, exec_lo, s74
	v_bfe_i32 v3, v118, 0, 16
                                        ; implicit-def: $vgpr118
	s_delay_alu instid0(VALU_DEP_1) | instskip(NEXT) | instid1(VALU_DEP_1)
	v_and_b32_e32 v3, 0x80000000, v3
	v_lshl_add_u32 v1, v1, 23, v3
	s_delay_alu instid0(VALU_DEP_1) | instskip(NEXT) | instid1(VALU_DEP_1)
	v_lshl_or_b32 v1, v2, 21, v1
                                        ; implicit-def: $vgpr2
	v_add_nc_u32_e32 v1, 0x38000000, v1
.LBB6_4304:                             ;   in Loop: Header=BB6_3506 Depth=4
	s_and_not1_saveexec_b32 s74, s13
; %bb.4305:                             ;   in Loop: Header=BB6_3506 Depth=4
	v_cmp_lt_i16_e64 s13, -1, v118
	v_mov_b32_e32 v1, 0x7f800000
	v_cmp_eq_u32_e32 vcc_lo, 0, v2
	s_delay_alu instid0(VALU_DEP_2) | instskip(NEXT) | instid1(VALU_DEP_1)
	v_cndmask_b32_e64 v1, 0xff800000, v1, s13
	v_cndmask_b32_e32 v1, 0x7f800001, v1, vcc_lo
; %bb.4306:                             ;   in Loop: Header=BB6_3506 Depth=4
	s_or_b32 exec_lo, exec_lo, s74
.LBB6_4307:                             ;   in Loop: Header=BB6_3506 Depth=4
	s_delay_alu instid0(SALU_CYCLE_1)
	s_or_b32 exec_lo, exec_lo, s73
.LBB6_4308:                             ;   in Loop: Header=BB6_3506 Depth=4
	s_delay_alu instid0(SALU_CYCLE_1) | instskip(NEXT) | instid1(SALU_CYCLE_1)
	s_or_b32 exec_lo, exec_lo, s72
	s_mov_b32 s72, exec_lo
	v_cmpx_ne_u16_e32 0, v28
	s_cbranch_execz .LBB6_4318
; %bb.4309:                             ;   in Loop: Header=BB6_3506 Depth=4
	v_bfrev_b32_e32 v0, 1
	s_mov_b32 s73, exec_lo
	v_cmpx_ne_u16_e32 0xff80, v28
	s_cbranch_execz .LBB6_4317
; %bb.4310:                             ;   in Loop: Header=BB6_3506 Depth=4
	v_and_b32_e32 v0, 0x7c, v28
	v_and_b32_e32 v2, 3, v28
	s_delay_alu instid0(VALU_DEP_2) | instskip(SKIP_1) | instid1(SALU_CYCLE_1)
	v_cmp_ne_u32_e32 vcc_lo, 0x7c, v0
                                        ; implicit-def: $vgpr0
	s_and_saveexec_b32 s13, vcc_lo
	s_xor_b32 s13, exec_lo, s13
	s_cbranch_execz .LBB6_4314
; %bb.4311:                             ;   in Loop: Header=BB6_3506 Depth=4
	v_and_b32_e32 v0, 0xff, v28
	s_mov_b32 s74, exec_lo
	s_delay_alu instid0(VALU_DEP_1) | instskip(NEXT) | instid1(VALU_DEP_1)
	v_bfe_u32 v0, v0, 2, 5
	v_cmpx_eq_u32_e32 0, v0
	s_cbranch_execz .LBB6_4313
; %bb.4312:                             ;   in Loop: Header=BB6_3506 Depth=4
	v_clz_i32_u32_e32 v0, v2
	s_delay_alu instid0(VALU_DEP_1) | instskip(SKIP_1) | instid1(VALU_DEP_2)
	v_min_u32_e32 v0, 32, v0
	v_mov_b32_e32 v29, v21
	v_subrev_nc_u32_e32 v2, 29, v0
	v_sub_nc_u32_e32 v0, 30, v0
	s_delay_alu instid0(VALU_DEP_2) | instskip(NEXT) | instid1(VALU_DEP_1)
	v_lshlrev_b64_e32 v[2:3], v2, v[28:29]
	v_and_b32_e32 v2, 3, v2
.LBB6_4313:                             ;   in Loop: Header=BB6_3506 Depth=4
	s_or_b32 exec_lo, exec_lo, s74
	v_bfe_i32 v3, v28, 0, 16
                                        ; implicit-def: $vgpr28
	s_delay_alu instid0(VALU_DEP_1) | instskip(NEXT) | instid1(VALU_DEP_1)
	v_and_b32_e32 v3, 0x80000000, v3
	v_lshl_add_u32 v0, v0, 23, v3
	s_delay_alu instid0(VALU_DEP_1) | instskip(NEXT) | instid1(VALU_DEP_1)
	v_lshl_or_b32 v0, v2, 21, v0
                                        ; implicit-def: $vgpr2
	v_add_nc_u32_e32 v0, 0x38000000, v0
.LBB6_4314:                             ;   in Loop: Header=BB6_3506 Depth=4
	s_and_not1_saveexec_b32 s74, s13
; %bb.4315:                             ;   in Loop: Header=BB6_3506 Depth=4
	v_cmp_lt_i16_e64 s13, -1, v28
	v_mov_b32_e32 v0, 0x7f800000
	v_cmp_eq_u32_e32 vcc_lo, 0, v2
	s_delay_alu instid0(VALU_DEP_2) | instskip(NEXT) | instid1(VALU_DEP_1)
	v_cndmask_b32_e64 v0, 0xff800000, v0, s13
	v_cndmask_b32_e32 v0, 0x7f800001, v0, vcc_lo
; %bb.4316:                             ;   in Loop: Header=BB6_3506 Depth=4
	s_or_b32 exec_lo, exec_lo, s74
.LBB6_4317:                             ;   in Loop: Header=BB6_3506 Depth=4
	s_delay_alu instid0(SALU_CYCLE_1)
	s_or_b32 exec_lo, exec_lo, s73
.LBB6_4318:                             ;   in Loop: Header=BB6_3506 Depth=4
	s_delay_alu instid0(SALU_CYCLE_1) | instskip(NEXT) | instid1(VALU_DEP_1)
	s_or_b32 exec_lo, exec_lo, s72
	v_mul_f32_e32 v0, v1, v0
	v_mov_b32_e32 v3, v21
                                        ; implicit-def: $vgpr5
	s_mov_b32 s13, exec_lo
	s_delay_alu instid0(VALU_DEP_2) | instskip(SKIP_1) | instid1(VALU_DEP_2)
	v_and_b32_e32 v2, 0x7f800000, v0
	v_and_b32_e32 v20, 0x7fffff, v0
	v_cmpx_ne_u64_e32 0x7f800000, v[2:3]
	s_xor_b32 s72, exec_lo, s13
	s_cbranch_execz .LBB6_4336
; %bb.4319:                             ;   in Loop: Header=BB6_3506 Depth=4
	v_dual_mov_b32 v3, v21 :: v_dual_lshrrev_b32 v1, 24, v0
	v_and_b32_e32 v2, 0x7fffffff, v0
                                        ; implicit-def: $vgpr5
	s_mov_b32 s13, exec_lo
	s_delay_alu instid0(VALU_DEP_2) | instskip(NEXT) | instid1(VALU_DEP_2)
	v_and_b32_e32 v25, 0x80, v1
	v_cmpx_gt_u64_e32 0x47600001, v[2:3]
	s_xor_b32 s73, exec_lo, s13
	s_cbranch_execz .LBB6_4333
; %bb.4320:                             ;   in Loop: Header=BB6_3506 Depth=4
	v_mov_b32_e32 v5, 0
	s_mov_b32 s74, exec_lo
	v_cmpx_ne_u32_e32 0, v0
	s_cbranch_execz .LBB6_4332
; %bb.4321:                             ;   in Loop: Header=BB6_3506 Depth=4
	v_bfe_u32 v5, v0, 23, 8
	v_or_b32_e32 v1, 0x800000, v20
	s_delay_alu instid0(VALU_DEP_2) | instskip(SKIP_2) | instid1(VALU_DEP_2)
	v_cmp_gt_u32_e64 s13, 0x72, v5
	v_sub_nc_u32_e32 v0, 0x71, v5
	v_cmp_eq_u32_e32 vcc_lo, 0, v5
	v_cndmask_b32_e64 v0, 0, v0, s13
	s_delay_alu instid0(VALU_DEP_1) | instskip(SKIP_1) | instid1(VALU_DEP_2)
	v_cndmask_b32_e64 v27, v0, 0x70, vcc_lo
	v_cndmask_b32_e32 v0, v1, v20, vcc_lo
	v_dual_mov_b32 v1, v21 :: v_dual_add_nc_u32 v2, 21, v27
	v_add_nc_u32_e32 v20, 20, v27
	s_delay_alu instid0(VALU_DEP_2) | instskip(NEXT) | instid1(VALU_DEP_2)
	v_lshlrev_b64_e64 v[2:3], v2, -1
	v_lshlrev_b64_e64 v[28:29], v20, 1
	s_delay_alu instid0(VALU_DEP_2) | instskip(SKIP_1) | instid1(VALU_DEP_4)
	v_bfi_b32 v2, v2, 0, v0
	v_lshrrev_b64 v[0:1], v27, v[0:1]
	v_bfi_b32 v3, v3, 0, 0
	s_delay_alu instid0(VALU_DEP_1) | instskip(NEXT) | instid1(VALU_DEP_3)
	v_cmp_eq_u64_e64 s13, v[2:3], v[28:29]
	v_mov_b64_e32 v[2:3], v[0:1]
	s_and_saveexec_b32 s75, s13
; %bb.4322:                             ;   in Loop: Header=BB6_3506 Depth=4
	v_bfe_u32 v2, v0, 21, 1
	v_mov_b32_e32 v3, v21
	s_delay_alu instid0(VALU_DEP_1) | instskip(NEXT) | instid1(VALU_DEP_1)
	v_add_nc_u64_e32 v[2:3], v[0:1], v[2:3]
	v_add_nc_u64_e32 v[2:3], -1, v[2:3]
; %bb.4323:                             ;   in Loop: Header=BB6_3506 Depth=4
	s_or_b32 exec_lo, exec_lo, s75
	v_add_nc_u32_e32 v1, 0xffffff81, v5
	s_delay_alu instid0(VALU_DEP_2) | instskip(SKIP_2) | instid1(VALU_DEP_3)
	v_and_b32_e32 v2, 0x1fffff, v2
	v_lshrrev_b32_e32 v3, 23, v0
	s_mov_b32 s13, exec_lo
	v_cndmask_b32_e64 v1, v1, 0xffffff82, vcc_lo
	s_delay_alu instid0(VALU_DEP_3) | instskip(NEXT) | instid1(VALU_DEP_2)
	v_add_nc_u32_e32 v20, v2, v0
                                        ; implicit-def: $vgpr2
	v_add3_u32 v5, v27, v1, v3
                                        ; implicit-def: $vgpr0_vgpr1
	s_delay_alu instid0(VALU_DEP_1) | instskip(NEXT) | instid1(VALU_DEP_1)
	v_add_nc_u32_e32 v3, 14, v5
	v_cmpx_ne_u32_e32 0, v3
	s_xor_b32 s13, exec_lo, s13
; %bb.4324:                             ;   in Loop: Header=BB6_3506 Depth=4
	v_cmp_lt_u64_e32 vcc_lo, 0xffffff, v[20:21]
	v_add_nc_u32_e32 v0, 15, v5
	s_delay_alu instid0(VALU_DEP_1) | instskip(SKIP_1) | instid1(VALU_DEP_1)
	v_cndmask_b32_e32 v2, v3, v0, vcc_lo
	v_cndmask_b32_e64 v0, 0, 1, vcc_lo
	v_lshrrev_b64 v[0:1], v0, v[20:21]
; %bb.4325:                             ;   in Loop: Header=BB6_3506 Depth=4
	s_and_not1_saveexec_b32 s13, s13
; %bb.4326:                             ;   in Loop: Header=BB6_3506 Depth=4
	v_mov_b64_e32 v[0:1], v[20:21]
	v_bfe_u32 v2, v20, 23, 1
; %bb.4327:                             ;   in Loop: Header=BB6_3506 Depth=4
	s_or_b32 exec_lo, exec_lo, s13
	s_delay_alu instid0(VALU_DEP_2) | instskip(NEXT) | instid1(VALU_DEP_2)
	v_lshrrev_b64 v[0:1], 21, v[0:1]
	v_cmp_gt_i32_e32 vcc_lo, 32, v2
	v_cmp_ne_u32_e64 s13, 0, v2
                                        ; implicit-def: $vgpr5
	s_delay_alu instid0(VALU_DEP_3) | instskip(NEXT) | instid1(VALU_DEP_1)
	v_dual_cndmask_b32 v1, 0, v1 :: v_dual_cndmask_b32 v0, 3, v0
	v_cmp_ne_u64_e32 vcc_lo, 0, v[0:1]
	s_or_b32 s13, s13, vcc_lo
	s_delay_alu instid0(SALU_CYCLE_1) | instskip(NEXT) | instid1(SALU_CYCLE_1)
	s_and_saveexec_b32 s75, s13
	s_xor_b32 s13, exec_lo, s75
; %bb.4328:                             ;   in Loop: Header=BB6_3506 Depth=4
	v_min_i32_e32 v1, 31, v2
	s_delay_alu instid0(VALU_DEP_1) | instskip(NEXT) | instid1(VALU_DEP_1)
	v_lshl_or_b32 v1, v1, 2, v25
                                        ; implicit-def: $vgpr25
	v_and_or_b32 v5, v0, 3, v1
; %bb.4329:                             ;   in Loop: Header=BB6_3506 Depth=4
	s_and_not1_saveexec_b32 s13, s13
; %bb.4330:                             ;   in Loop: Header=BB6_3506 Depth=4
	v_mov_b32_e32 v5, v25
; %bb.4331:                             ;   in Loop: Header=BB6_3506 Depth=4
	s_or_b32 exec_lo, exec_lo, s13
.LBB6_4332:                             ;   in Loop: Header=BB6_3506 Depth=4
	s_delay_alu instid0(SALU_CYCLE_1)
	s_or_b32 exec_lo, exec_lo, s74
                                        ; implicit-def: $vgpr25
.LBB6_4333:                             ;   in Loop: Header=BB6_3506 Depth=4
	s_and_not1_saveexec_b32 s13, s73
; %bb.4334:                             ;   in Loop: Header=BB6_3506 Depth=4
	v_or_b32_e32 v5, 0x7b, v25
; %bb.4335:                             ;   in Loop: Header=BB6_3506 Depth=4
	s_or_b32 exec_lo, exec_lo, s13
                                        ; implicit-def: $vgpr0
.LBB6_4336:                             ;   in Loop: Header=BB6_3506 Depth=4
	s_and_not1_saveexec_b32 s13, s72
	s_cbranch_execz .LBB6_4342
; %bb.4337:                             ;   in Loop: Header=BB6_3506 Depth=4
	s_mov_b32 s72, exec_lo
                                        ; implicit-def: $vgpr5
	v_cmpx_ne_u64_e32 0, v[20:21]
	s_xor_b32 s72, exec_lo, s72
; %bb.4338:                             ;   in Loop: Header=BB6_3506 Depth=4
	v_lshrrev_b32_e32 v0, 24, v0
	s_delay_alu instid0(VALU_DEP_1)
	v_or_b32_e32 v5, 0x7f, v0
                                        ; implicit-def: $vgpr0
; %bb.4339:                             ;   in Loop: Header=BB6_3506 Depth=4
	s_and_not1_saveexec_b32 s72, s72
; %bb.4340:                             ;   in Loop: Header=BB6_3506 Depth=4
	v_cmp_lt_i32_e32 vcc_lo, -1, v0
	v_cndmask_b32_e64 v5, -4, 0x7c, vcc_lo
; %bb.4341:                             ;   in Loop: Header=BB6_3506 Depth=4
	s_or_b32 exec_lo, exec_lo, s72
.LBB6_4342:                             ;   in Loop: Header=BB6_3506 Depth=4
	s_delay_alu instid0(SALU_CYCLE_1)
	s_or_b32 exec_lo, exec_lo, s13
	v_dual_mov_b32 v0, 0 :: v_dual_mov_b32 v1, 0
	s_mov_b32 s72, exec_lo
	v_cmpx_ne_u16_e32 0, v54
	s_cbranch_execz .LBB6_4352
; %bb.4343:                             ;   in Loop: Header=BB6_3506 Depth=4
	v_bfrev_b32_e32 v1, 1
	s_mov_b32 s73, exec_lo
	v_cmpx_ne_u16_e32 0xff80, v54
	s_cbranch_execz .LBB6_4351
; %bb.4344:                             ;   in Loop: Header=BB6_3506 Depth=4
	v_and_b32_e32 v1, 0x7c, v54
	v_and_b32_e32 v2, 3, v54
	s_delay_alu instid0(VALU_DEP_2) | instskip(SKIP_1) | instid1(SALU_CYCLE_1)
	v_cmp_ne_u32_e32 vcc_lo, 0x7c, v1
                                        ; implicit-def: $vgpr1
	s_and_saveexec_b32 s13, vcc_lo
	s_xor_b32 s13, exec_lo, s13
	s_cbranch_execz .LBB6_4348
; %bb.4345:                             ;   in Loop: Header=BB6_3506 Depth=4
	v_and_b32_e32 v1, 0xff, v54
	s_mov_b32 s74, exec_lo
	s_delay_alu instid0(VALU_DEP_1) | instskip(NEXT) | instid1(VALU_DEP_1)
	v_bfe_u32 v1, v1, 2, 5
	v_cmpx_eq_u32_e32 0, v1
	s_cbranch_execz .LBB6_4347
; %bb.4346:                             ;   in Loop: Header=BB6_3506 Depth=4
	v_clz_i32_u32_e32 v1, v2
	s_delay_alu instid0(VALU_DEP_1) | instskip(SKIP_1) | instid1(VALU_DEP_2)
	v_min_u32_e32 v1, 32, v1
	v_mov_b32_e32 v55, v21
	v_subrev_nc_u32_e32 v2, 29, v1
	v_sub_nc_u32_e32 v1, 30, v1
	s_delay_alu instid0(VALU_DEP_2) | instskip(NEXT) | instid1(VALU_DEP_1)
	v_lshlrev_b64_e32 v[2:3], v2, v[54:55]
	v_and_b32_e32 v2, 3, v2
.LBB6_4347:                             ;   in Loop: Header=BB6_3506 Depth=4
	s_or_b32 exec_lo, exec_lo, s74
	v_bfe_i32 v3, v54, 0, 16
                                        ; implicit-def: $vgpr54
	s_delay_alu instid0(VALU_DEP_1) | instskip(NEXT) | instid1(VALU_DEP_1)
	v_and_b32_e32 v3, 0x80000000, v3
	v_lshl_add_u32 v1, v1, 23, v3
	s_delay_alu instid0(VALU_DEP_1) | instskip(NEXT) | instid1(VALU_DEP_1)
	v_lshl_or_b32 v1, v2, 21, v1
                                        ; implicit-def: $vgpr2
	v_add_nc_u32_e32 v1, 0x38000000, v1
.LBB6_4348:                             ;   in Loop: Header=BB6_3506 Depth=4
	s_and_not1_saveexec_b32 s74, s13
; %bb.4349:                             ;   in Loop: Header=BB6_3506 Depth=4
	v_cmp_lt_i16_e64 s13, -1, v54
	v_mov_b32_e32 v1, 0x7f800000
	v_cmp_eq_u32_e32 vcc_lo, 0, v2
	s_delay_alu instid0(VALU_DEP_2) | instskip(NEXT) | instid1(VALU_DEP_1)
	v_cndmask_b32_e64 v1, 0xff800000, v1, s13
	v_cndmask_b32_e32 v1, 0x7f800001, v1, vcc_lo
; %bb.4350:                             ;   in Loop: Header=BB6_3506 Depth=4
	s_or_b32 exec_lo, exec_lo, s74
.LBB6_4351:                             ;   in Loop: Header=BB6_3506 Depth=4
	s_delay_alu instid0(SALU_CYCLE_1)
	s_or_b32 exec_lo, exec_lo, s73
.LBB6_4352:                             ;   in Loop: Header=BB6_3506 Depth=4
	s_delay_alu instid0(SALU_CYCLE_1) | instskip(NEXT) | instid1(SALU_CYCLE_1)
	s_or_b32 exec_lo, exec_lo, s72
	s_mov_b32 s72, exec_lo
	v_cmpx_ne_u16_e32 0, v30
	s_cbranch_execz .LBB6_4362
; %bb.4353:                             ;   in Loop: Header=BB6_3506 Depth=4
	v_bfrev_b32_e32 v0, 1
	s_mov_b32 s73, exec_lo
	v_cmpx_ne_u16_e32 0xff80, v30
	s_cbranch_execz .LBB6_4361
; %bb.4354:                             ;   in Loop: Header=BB6_3506 Depth=4
	v_and_b32_e32 v0, 0x7c, v30
	v_and_b32_e32 v2, 3, v30
	s_delay_alu instid0(VALU_DEP_2) | instskip(SKIP_1) | instid1(SALU_CYCLE_1)
	v_cmp_ne_u32_e32 vcc_lo, 0x7c, v0
                                        ; implicit-def: $vgpr0
	s_and_saveexec_b32 s13, vcc_lo
	s_xor_b32 s13, exec_lo, s13
	s_cbranch_execz .LBB6_4358
; %bb.4355:                             ;   in Loop: Header=BB6_3506 Depth=4
	v_and_b32_e32 v0, 0xff, v30
	s_mov_b32 s74, exec_lo
	s_delay_alu instid0(VALU_DEP_1) | instskip(NEXT) | instid1(VALU_DEP_1)
	v_bfe_u32 v0, v0, 2, 5
	v_cmpx_eq_u32_e32 0, v0
	s_cbranch_execz .LBB6_4357
; %bb.4356:                             ;   in Loop: Header=BB6_3506 Depth=4
	v_clz_i32_u32_e32 v0, v2
	s_delay_alu instid0(VALU_DEP_1) | instskip(SKIP_1) | instid1(VALU_DEP_2)
	v_min_u32_e32 v0, 32, v0
	v_mov_b32_e32 v31, v21
	v_subrev_nc_u32_e32 v2, 29, v0
	v_sub_nc_u32_e32 v0, 30, v0
	s_delay_alu instid0(VALU_DEP_2) | instskip(NEXT) | instid1(VALU_DEP_1)
	v_lshlrev_b64_e32 v[2:3], v2, v[30:31]
	v_and_b32_e32 v2, 3, v2
.LBB6_4357:                             ;   in Loop: Header=BB6_3506 Depth=4
	s_or_b32 exec_lo, exec_lo, s74
	v_bfe_i32 v3, v30, 0, 16
                                        ; implicit-def: $vgpr30
	s_delay_alu instid0(VALU_DEP_1) | instskip(NEXT) | instid1(VALU_DEP_1)
	v_and_b32_e32 v3, 0x80000000, v3
	v_lshl_add_u32 v0, v0, 23, v3
	s_delay_alu instid0(VALU_DEP_1) | instskip(NEXT) | instid1(VALU_DEP_1)
	v_lshl_or_b32 v0, v2, 21, v0
                                        ; implicit-def: $vgpr2
	v_add_nc_u32_e32 v0, 0x38000000, v0
.LBB6_4358:                             ;   in Loop: Header=BB6_3506 Depth=4
	s_and_not1_saveexec_b32 s74, s13
; %bb.4359:                             ;   in Loop: Header=BB6_3506 Depth=4
	v_cmp_lt_i16_e64 s13, -1, v30
	v_mov_b32_e32 v0, 0x7f800000
	v_cmp_eq_u32_e32 vcc_lo, 0, v2
	s_delay_alu instid0(VALU_DEP_2) | instskip(NEXT) | instid1(VALU_DEP_1)
	v_cndmask_b32_e64 v0, 0xff800000, v0, s13
	v_cndmask_b32_e32 v0, 0x7f800001, v0, vcc_lo
; %bb.4360:                             ;   in Loop: Header=BB6_3506 Depth=4
	s_or_b32 exec_lo, exec_lo, s74
.LBB6_4361:                             ;   in Loop: Header=BB6_3506 Depth=4
	s_delay_alu instid0(SALU_CYCLE_1)
	s_or_b32 exec_lo, exec_lo, s73
.LBB6_4362:                             ;   in Loop: Header=BB6_3506 Depth=4
	s_delay_alu instid0(SALU_CYCLE_1) | instskip(NEXT) | instid1(VALU_DEP_1)
	s_or_b32 exec_lo, exec_lo, s72
	v_mul_f32_e32 v0, v1, v0
	v_mov_b32_e32 v3, v21
                                        ; implicit-def: $vgpr28
	s_mov_b32 s13, exec_lo
	s_delay_alu instid0(VALU_DEP_2) | instskip(SKIP_1) | instid1(VALU_DEP_2)
	v_and_b32_e32 v2, 0x7f800000, v0
	v_and_b32_e32 v20, 0x7fffff, v0
	v_cmpx_ne_u64_e32 0x7f800000, v[2:3]
	s_xor_b32 s72, exec_lo, s13
	s_cbranch_execz .LBB6_4380
; %bb.4363:                             ;   in Loop: Header=BB6_3506 Depth=4
	v_dual_mov_b32 v3, v21 :: v_dual_lshrrev_b32 v1, 24, v0
	v_and_b32_e32 v2, 0x7fffffff, v0
                                        ; implicit-def: $vgpr28
	s_mov_b32 s13, exec_lo
	s_delay_alu instid0(VALU_DEP_2) | instskip(NEXT) | instid1(VALU_DEP_2)
	v_and_b32_e32 v25, 0x80, v1
	v_cmpx_gt_u64_e32 0x47600001, v[2:3]
	s_xor_b32 s73, exec_lo, s13
	s_cbranch_execz .LBB6_4377
; %bb.4364:                             ;   in Loop: Header=BB6_3506 Depth=4
	v_mov_b32_e32 v28, 0
	s_mov_b32 s74, exec_lo
	v_cmpx_ne_u32_e32 0, v0
	s_cbranch_execz .LBB6_4376
; %bb.4365:                             ;   in Loop: Header=BB6_3506 Depth=4
	v_bfe_u32 v27, v0, 23, 8
	v_or_b32_e32 v1, 0x800000, v20
	s_delay_alu instid0(VALU_DEP_2) | instskip(SKIP_2) | instid1(VALU_DEP_2)
	v_cmp_gt_u32_e64 s13, 0x72, v27
	v_sub_nc_u32_e32 v0, 0x71, v27
	v_cmp_eq_u32_e32 vcc_lo, 0, v27
	v_cndmask_b32_e64 v0, 0, v0, s13
	s_delay_alu instid0(VALU_DEP_1) | instskip(SKIP_1) | instid1(VALU_DEP_2)
	v_cndmask_b32_e64 v28, v0, 0x70, vcc_lo
	v_cndmask_b32_e32 v0, v1, v20, vcc_lo
	v_dual_mov_b32 v1, v21 :: v_dual_add_nc_u32 v2, 21, v28
	v_add_nc_u32_e32 v20, 20, v28
	s_delay_alu instid0(VALU_DEP_2) | instskip(NEXT) | instid1(VALU_DEP_2)
	v_lshlrev_b64_e64 v[2:3], v2, -1
	v_lshlrev_b64_e64 v[30:31], v20, 1
	s_delay_alu instid0(VALU_DEP_2) | instskip(SKIP_1) | instid1(VALU_DEP_4)
	v_bfi_b32 v2, v2, 0, v0
	v_lshrrev_b64 v[0:1], v28, v[0:1]
	v_bfi_b32 v3, v3, 0, 0
	s_delay_alu instid0(VALU_DEP_1) | instskip(NEXT) | instid1(VALU_DEP_3)
	v_cmp_eq_u64_e64 s13, v[2:3], v[30:31]
	v_mov_b64_e32 v[2:3], v[0:1]
	s_and_saveexec_b32 s75, s13
; %bb.4366:                             ;   in Loop: Header=BB6_3506 Depth=4
	v_bfe_u32 v2, v0, 21, 1
	v_mov_b32_e32 v3, v21
	s_delay_alu instid0(VALU_DEP_1) | instskip(NEXT) | instid1(VALU_DEP_1)
	v_add_nc_u64_e32 v[2:3], v[0:1], v[2:3]
	v_add_nc_u64_e32 v[2:3], -1, v[2:3]
; %bb.4367:                             ;   in Loop: Header=BB6_3506 Depth=4
	s_or_b32 exec_lo, exec_lo, s75
	v_add_nc_u32_e32 v1, 0xffffff81, v27
	s_delay_alu instid0(VALU_DEP_2) | instskip(SKIP_2) | instid1(VALU_DEP_3)
	v_and_b32_e32 v2, 0x1fffff, v2
	v_lshrrev_b32_e32 v3, 23, v0
	s_mov_b32 s13, exec_lo
	v_cndmask_b32_e64 v1, v1, 0xffffff82, vcc_lo
	s_delay_alu instid0(VALU_DEP_3) | instskip(NEXT) | instid1(VALU_DEP_2)
	v_add_nc_u32_e32 v20, v2, v0
                                        ; implicit-def: $vgpr2
	v_add3_u32 v27, v28, v1, v3
                                        ; implicit-def: $vgpr0_vgpr1
	s_delay_alu instid0(VALU_DEP_1) | instskip(NEXT) | instid1(VALU_DEP_1)
	v_add_nc_u32_e32 v3, 14, v27
	v_cmpx_ne_u32_e32 0, v3
	s_xor_b32 s13, exec_lo, s13
; %bb.4368:                             ;   in Loop: Header=BB6_3506 Depth=4
	v_cmp_lt_u64_e32 vcc_lo, 0xffffff, v[20:21]
	v_add_nc_u32_e32 v0, 15, v27
	s_delay_alu instid0(VALU_DEP_1) | instskip(SKIP_1) | instid1(VALU_DEP_1)
	v_cndmask_b32_e32 v2, v3, v0, vcc_lo
	v_cndmask_b32_e64 v0, 0, 1, vcc_lo
	v_lshrrev_b64 v[0:1], v0, v[20:21]
; %bb.4369:                             ;   in Loop: Header=BB6_3506 Depth=4
	s_and_not1_saveexec_b32 s13, s13
; %bb.4370:                             ;   in Loop: Header=BB6_3506 Depth=4
	v_mov_b64_e32 v[0:1], v[20:21]
	v_bfe_u32 v2, v20, 23, 1
; %bb.4371:                             ;   in Loop: Header=BB6_3506 Depth=4
	s_or_b32 exec_lo, exec_lo, s13
	s_delay_alu instid0(VALU_DEP_2) | instskip(NEXT) | instid1(VALU_DEP_2)
	v_lshrrev_b64 v[0:1], 21, v[0:1]
	v_cmp_gt_i32_e32 vcc_lo, 32, v2
	v_cmp_ne_u32_e64 s13, 0, v2
                                        ; implicit-def: $vgpr28
	s_delay_alu instid0(VALU_DEP_3) | instskip(NEXT) | instid1(VALU_DEP_1)
	v_dual_cndmask_b32 v1, 0, v1 :: v_dual_cndmask_b32 v0, 3, v0
	v_cmp_ne_u64_e32 vcc_lo, 0, v[0:1]
	s_or_b32 s13, s13, vcc_lo
	s_delay_alu instid0(SALU_CYCLE_1) | instskip(NEXT) | instid1(SALU_CYCLE_1)
	s_and_saveexec_b32 s75, s13
	s_xor_b32 s13, exec_lo, s75
; %bb.4372:                             ;   in Loop: Header=BB6_3506 Depth=4
	v_min_i32_e32 v1, 31, v2
	s_delay_alu instid0(VALU_DEP_1) | instskip(NEXT) | instid1(VALU_DEP_1)
	v_lshl_or_b32 v1, v1, 2, v25
                                        ; implicit-def: $vgpr25
	v_and_or_b32 v28, v0, 3, v1
; %bb.4373:                             ;   in Loop: Header=BB6_3506 Depth=4
	s_and_not1_saveexec_b32 s13, s13
; %bb.4374:                             ;   in Loop: Header=BB6_3506 Depth=4
	v_mov_b32_e32 v28, v25
; %bb.4375:                             ;   in Loop: Header=BB6_3506 Depth=4
	s_or_b32 exec_lo, exec_lo, s13
.LBB6_4376:                             ;   in Loop: Header=BB6_3506 Depth=4
	s_delay_alu instid0(SALU_CYCLE_1)
	s_or_b32 exec_lo, exec_lo, s74
                                        ; implicit-def: $vgpr25
.LBB6_4377:                             ;   in Loop: Header=BB6_3506 Depth=4
	s_and_not1_saveexec_b32 s13, s73
; %bb.4378:                             ;   in Loop: Header=BB6_3506 Depth=4
	v_or_b32_e32 v28, 0x7b, v25
; %bb.4379:                             ;   in Loop: Header=BB6_3506 Depth=4
	s_or_b32 exec_lo, exec_lo, s13
                                        ; implicit-def: $vgpr0
.LBB6_4380:                             ;   in Loop: Header=BB6_3506 Depth=4
	s_and_not1_saveexec_b32 s13, s72
	s_cbranch_execz .LBB6_4386
; %bb.4381:                             ;   in Loop: Header=BB6_3506 Depth=4
	s_mov_b32 s72, exec_lo
                                        ; implicit-def: $vgpr28
	v_cmpx_ne_u64_e32 0, v[20:21]
	s_xor_b32 s72, exec_lo, s72
; %bb.4382:                             ;   in Loop: Header=BB6_3506 Depth=4
	v_lshrrev_b32_e32 v0, 24, v0
	s_delay_alu instid0(VALU_DEP_1)
	v_or_b32_e32 v28, 0x7f, v0
                                        ; implicit-def: $vgpr0
; %bb.4383:                             ;   in Loop: Header=BB6_3506 Depth=4
	s_and_not1_saveexec_b32 s72, s72
; %bb.4384:                             ;   in Loop: Header=BB6_3506 Depth=4
	v_cmp_lt_i32_e32 vcc_lo, -1, v0
	v_cndmask_b32_e64 v28, -4, 0x7c, vcc_lo
; %bb.4385:                             ;   in Loop: Header=BB6_3506 Depth=4
	s_or_b32 exec_lo, exec_lo, s72
.LBB6_4386:                             ;   in Loop: Header=BB6_3506 Depth=4
	s_delay_alu instid0(SALU_CYCLE_1)
	s_or_b32 exec_lo, exec_lo, s13
	v_dual_mov_b32 v0, 0 :: v_dual_mov_b32 v1, 0
	s_mov_b32 s72, exec_lo
	v_cmpx_ne_u16_e32 0, v122
	s_cbranch_execz .LBB6_4396
; %bb.4387:                             ;   in Loop: Header=BB6_3506 Depth=4
	v_bfrev_b32_e32 v1, 1
	s_mov_b32 s73, exec_lo
	v_cmpx_ne_u16_e32 0xff80, v122
	s_cbranch_execz .LBB6_4395
; %bb.4388:                             ;   in Loop: Header=BB6_3506 Depth=4
	v_and_b32_e32 v1, 0x7c, v122
	v_and_b32_e32 v2, 3, v122
	s_delay_alu instid0(VALU_DEP_2) | instskip(SKIP_1) | instid1(SALU_CYCLE_1)
	v_cmp_ne_u32_e32 vcc_lo, 0x7c, v1
                                        ; implicit-def: $vgpr1
	s_and_saveexec_b32 s13, vcc_lo
	s_xor_b32 s13, exec_lo, s13
	s_cbranch_execz .LBB6_4392
; %bb.4389:                             ;   in Loop: Header=BB6_3506 Depth=4
	v_and_b32_e32 v1, 0xff, v122
	s_mov_b32 s74, exec_lo
	s_delay_alu instid0(VALU_DEP_1) | instskip(NEXT) | instid1(VALU_DEP_1)
	v_bfe_u32 v1, v1, 2, 5
	v_cmpx_eq_u32_e32 0, v1
	s_cbranch_execz .LBB6_4391
; %bb.4390:                             ;   in Loop: Header=BB6_3506 Depth=4
	v_clz_i32_u32_e32 v1, v2
	s_delay_alu instid0(VALU_DEP_1) | instskip(SKIP_1) | instid1(VALU_DEP_2)
	v_min_u32_e32 v1, 32, v1
	v_mov_b32_e32 v123, v21
	v_subrev_nc_u32_e32 v2, 29, v1
	v_sub_nc_u32_e32 v1, 30, v1
	s_delay_alu instid0(VALU_DEP_2) | instskip(NEXT) | instid1(VALU_DEP_1)
	v_lshlrev_b64_e32 v[2:3], v2, v[122:123]
	v_and_b32_e32 v2, 3, v2
.LBB6_4391:                             ;   in Loop: Header=BB6_3506 Depth=4
	s_or_b32 exec_lo, exec_lo, s74
	v_bfe_i32 v3, v122, 0, 16
                                        ; implicit-def: $vgpr122
	s_delay_alu instid0(VALU_DEP_1) | instskip(NEXT) | instid1(VALU_DEP_1)
	v_and_b32_e32 v3, 0x80000000, v3
	v_lshl_add_u32 v1, v1, 23, v3
	s_delay_alu instid0(VALU_DEP_1) | instskip(NEXT) | instid1(VALU_DEP_1)
	v_lshl_or_b32 v1, v2, 21, v1
                                        ; implicit-def: $vgpr2
	v_add_nc_u32_e32 v1, 0x38000000, v1
.LBB6_4392:                             ;   in Loop: Header=BB6_3506 Depth=4
	s_and_not1_saveexec_b32 s74, s13
; %bb.4393:                             ;   in Loop: Header=BB6_3506 Depth=4
	v_cmp_lt_i16_e64 s13, -1, v122
	v_mov_b32_e32 v1, 0x7f800000
	v_cmp_eq_u32_e32 vcc_lo, 0, v2
	s_delay_alu instid0(VALU_DEP_2) | instskip(NEXT) | instid1(VALU_DEP_1)
	v_cndmask_b32_e64 v1, 0xff800000, v1, s13
	v_cndmask_b32_e32 v1, 0x7f800001, v1, vcc_lo
; %bb.4394:                             ;   in Loop: Header=BB6_3506 Depth=4
	s_or_b32 exec_lo, exec_lo, s74
.LBB6_4395:                             ;   in Loop: Header=BB6_3506 Depth=4
	s_delay_alu instid0(SALU_CYCLE_1)
	s_or_b32 exec_lo, exec_lo, s73
.LBB6_4396:                             ;   in Loop: Header=BB6_3506 Depth=4
	s_delay_alu instid0(SALU_CYCLE_1) | instskip(NEXT) | instid1(SALU_CYCLE_1)
	s_or_b32 exec_lo, exec_lo, s72
	s_mov_b32 s72, exec_lo
	v_cmpx_ne_u16_e32 0, v52
	s_cbranch_execz .LBB6_4406
; %bb.4397:                             ;   in Loop: Header=BB6_3506 Depth=4
	v_bfrev_b32_e32 v0, 1
	s_mov_b32 s73, exec_lo
	v_cmpx_ne_u16_e32 0xff80, v52
	s_cbranch_execz .LBB6_4405
; %bb.4398:                             ;   in Loop: Header=BB6_3506 Depth=4
	v_and_b32_e32 v0, 0x7c, v52
	v_and_b32_e32 v2, 3, v52
	s_delay_alu instid0(VALU_DEP_2) | instskip(SKIP_1) | instid1(SALU_CYCLE_1)
	v_cmp_ne_u32_e32 vcc_lo, 0x7c, v0
                                        ; implicit-def: $vgpr0
	s_and_saveexec_b32 s13, vcc_lo
	s_xor_b32 s13, exec_lo, s13
	s_cbranch_execz .LBB6_4402
; %bb.4399:                             ;   in Loop: Header=BB6_3506 Depth=4
	v_and_b32_e32 v0, 0xff, v52
	s_mov_b32 s74, exec_lo
	s_delay_alu instid0(VALU_DEP_1) | instskip(NEXT) | instid1(VALU_DEP_1)
	v_bfe_u32 v0, v0, 2, 5
	v_cmpx_eq_u32_e32 0, v0
	s_cbranch_execz .LBB6_4401
; %bb.4400:                             ;   in Loop: Header=BB6_3506 Depth=4
	v_clz_i32_u32_e32 v0, v2
	s_delay_alu instid0(VALU_DEP_1) | instskip(SKIP_1) | instid1(VALU_DEP_2)
	v_min_u32_e32 v0, 32, v0
	v_mov_b32_e32 v53, v21
	v_subrev_nc_u32_e32 v2, 29, v0
	v_sub_nc_u32_e32 v0, 30, v0
	s_delay_alu instid0(VALU_DEP_2) | instskip(NEXT) | instid1(VALU_DEP_1)
	v_lshlrev_b64_e32 v[2:3], v2, v[52:53]
	v_and_b32_e32 v2, 3, v2
.LBB6_4401:                             ;   in Loop: Header=BB6_3506 Depth=4
	s_or_b32 exec_lo, exec_lo, s74
	v_bfe_i32 v3, v52, 0, 16
                                        ; implicit-def: $vgpr52
	s_delay_alu instid0(VALU_DEP_1) | instskip(NEXT) | instid1(VALU_DEP_1)
	v_and_b32_e32 v3, 0x80000000, v3
	v_lshl_add_u32 v0, v0, 23, v3
	s_delay_alu instid0(VALU_DEP_1) | instskip(NEXT) | instid1(VALU_DEP_1)
	v_lshl_or_b32 v0, v2, 21, v0
                                        ; implicit-def: $vgpr2
	v_add_nc_u32_e32 v0, 0x38000000, v0
.LBB6_4402:                             ;   in Loop: Header=BB6_3506 Depth=4
	s_and_not1_saveexec_b32 s74, s13
; %bb.4403:                             ;   in Loop: Header=BB6_3506 Depth=4
	v_cmp_lt_i16_e64 s13, -1, v52
	v_mov_b32_e32 v0, 0x7f800000
	v_cmp_eq_u32_e32 vcc_lo, 0, v2
	s_delay_alu instid0(VALU_DEP_2) | instskip(NEXT) | instid1(VALU_DEP_1)
	v_cndmask_b32_e64 v0, 0xff800000, v0, s13
	v_cndmask_b32_e32 v0, 0x7f800001, v0, vcc_lo
; %bb.4404:                             ;   in Loop: Header=BB6_3506 Depth=4
	s_or_b32 exec_lo, exec_lo, s74
.LBB6_4405:                             ;   in Loop: Header=BB6_3506 Depth=4
	s_delay_alu instid0(SALU_CYCLE_1)
	s_or_b32 exec_lo, exec_lo, s73
.LBB6_4406:                             ;   in Loop: Header=BB6_3506 Depth=4
	s_delay_alu instid0(SALU_CYCLE_1) | instskip(NEXT) | instid1(VALU_DEP_1)
	s_or_b32 exec_lo, exec_lo, s72
	v_mul_f32_e32 v0, v1, v0
	v_mov_b32_e32 v3, v21
                                        ; implicit-def: $vgpr29
	s_mov_b32 s13, exec_lo
	s_delay_alu instid0(VALU_DEP_2) | instskip(SKIP_1) | instid1(VALU_DEP_2)
	v_and_b32_e32 v2, 0x7f800000, v0
	v_and_b32_e32 v20, 0x7fffff, v0
	v_cmpx_ne_u64_e32 0x7f800000, v[2:3]
	s_xor_b32 s72, exec_lo, s13
	s_cbranch_execz .LBB6_4424
; %bb.4407:                             ;   in Loop: Header=BB6_3506 Depth=4
	v_dual_mov_b32 v3, v21 :: v_dual_lshrrev_b32 v1, 24, v0
	v_and_b32_e32 v2, 0x7fffffff, v0
                                        ; implicit-def: $vgpr29
	s_mov_b32 s13, exec_lo
	s_delay_alu instid0(VALU_DEP_2) | instskip(NEXT) | instid1(VALU_DEP_2)
	v_and_b32_e32 v25, 0x80, v1
	v_cmpx_gt_u64_e32 0x47600001, v[2:3]
	s_xor_b32 s73, exec_lo, s13
	s_cbranch_execz .LBB6_4421
; %bb.4408:                             ;   in Loop: Header=BB6_3506 Depth=4
	v_mov_b32_e32 v29, 0
	s_mov_b32 s74, exec_lo
	v_cmpx_ne_u32_e32 0, v0
	s_cbranch_execz .LBB6_4420
; %bb.4409:                             ;   in Loop: Header=BB6_3506 Depth=4
	v_bfe_u32 v27, v0, 23, 8
	v_or_b32_e32 v1, 0x800000, v20
	s_delay_alu instid0(VALU_DEP_2) | instskip(SKIP_2) | instid1(VALU_DEP_2)
	v_cmp_gt_u32_e64 s13, 0x72, v27
	v_sub_nc_u32_e32 v0, 0x71, v27
	v_cmp_eq_u32_e32 vcc_lo, 0, v27
	v_cndmask_b32_e64 v0, 0, v0, s13
	s_delay_alu instid0(VALU_DEP_1) | instskip(SKIP_1) | instid1(VALU_DEP_2)
	v_cndmask_b32_e64 v29, v0, 0x70, vcc_lo
	v_cndmask_b32_e32 v0, v1, v20, vcc_lo
	v_dual_mov_b32 v1, v21 :: v_dual_add_nc_u32 v2, 21, v29
	v_add_nc_u32_e32 v20, 20, v29
	s_delay_alu instid0(VALU_DEP_2) | instskip(NEXT) | instid1(VALU_DEP_2)
	v_lshlrev_b64_e64 v[2:3], v2, -1
	v_lshlrev_b64_e64 v[30:31], v20, 1
	s_delay_alu instid0(VALU_DEP_2) | instskip(SKIP_1) | instid1(VALU_DEP_4)
	v_bfi_b32 v2, v2, 0, v0
	v_lshrrev_b64 v[0:1], v29, v[0:1]
	v_bfi_b32 v3, v3, 0, 0
	s_delay_alu instid0(VALU_DEP_1) | instskip(NEXT) | instid1(VALU_DEP_3)
	v_cmp_eq_u64_e64 s13, v[2:3], v[30:31]
	v_mov_b64_e32 v[2:3], v[0:1]
	s_and_saveexec_b32 s75, s13
; %bb.4410:                             ;   in Loop: Header=BB6_3506 Depth=4
	v_bfe_u32 v2, v0, 21, 1
	v_mov_b32_e32 v3, v21
	s_delay_alu instid0(VALU_DEP_1) | instskip(NEXT) | instid1(VALU_DEP_1)
	v_add_nc_u64_e32 v[2:3], v[0:1], v[2:3]
	v_add_nc_u64_e32 v[2:3], -1, v[2:3]
; %bb.4411:                             ;   in Loop: Header=BB6_3506 Depth=4
	s_or_b32 exec_lo, exec_lo, s75
	v_add_nc_u32_e32 v1, 0xffffff81, v27
	s_delay_alu instid0(VALU_DEP_2) | instskip(SKIP_2) | instid1(VALU_DEP_3)
	v_and_b32_e32 v2, 0x1fffff, v2
	v_lshrrev_b32_e32 v3, 23, v0
	s_mov_b32 s13, exec_lo
	v_cndmask_b32_e64 v1, v1, 0xffffff82, vcc_lo
	s_delay_alu instid0(VALU_DEP_3) | instskip(NEXT) | instid1(VALU_DEP_2)
	v_add_nc_u32_e32 v20, v2, v0
                                        ; implicit-def: $vgpr2
	v_add3_u32 v27, v29, v1, v3
                                        ; implicit-def: $vgpr0_vgpr1
	s_delay_alu instid0(VALU_DEP_1) | instskip(NEXT) | instid1(VALU_DEP_1)
	v_add_nc_u32_e32 v3, 14, v27
	v_cmpx_ne_u32_e32 0, v3
	s_xor_b32 s13, exec_lo, s13
; %bb.4412:                             ;   in Loop: Header=BB6_3506 Depth=4
	v_cmp_lt_u64_e32 vcc_lo, 0xffffff, v[20:21]
	v_add_nc_u32_e32 v0, 15, v27
	s_delay_alu instid0(VALU_DEP_1) | instskip(SKIP_1) | instid1(VALU_DEP_1)
	v_cndmask_b32_e32 v2, v3, v0, vcc_lo
	v_cndmask_b32_e64 v0, 0, 1, vcc_lo
	v_lshrrev_b64 v[0:1], v0, v[20:21]
; %bb.4413:                             ;   in Loop: Header=BB6_3506 Depth=4
	s_and_not1_saveexec_b32 s13, s13
; %bb.4414:                             ;   in Loop: Header=BB6_3506 Depth=4
	v_mov_b64_e32 v[0:1], v[20:21]
	v_bfe_u32 v2, v20, 23, 1
; %bb.4415:                             ;   in Loop: Header=BB6_3506 Depth=4
	s_or_b32 exec_lo, exec_lo, s13
	s_delay_alu instid0(VALU_DEP_2) | instskip(NEXT) | instid1(VALU_DEP_2)
	v_lshrrev_b64 v[0:1], 21, v[0:1]
	v_cmp_gt_i32_e32 vcc_lo, 32, v2
	v_cmp_ne_u32_e64 s13, 0, v2
                                        ; implicit-def: $vgpr29
	s_delay_alu instid0(VALU_DEP_3) | instskip(NEXT) | instid1(VALU_DEP_1)
	v_dual_cndmask_b32 v1, 0, v1 :: v_dual_cndmask_b32 v0, 3, v0
	v_cmp_ne_u64_e32 vcc_lo, 0, v[0:1]
	s_or_b32 s13, s13, vcc_lo
	s_delay_alu instid0(SALU_CYCLE_1) | instskip(NEXT) | instid1(SALU_CYCLE_1)
	s_and_saveexec_b32 s75, s13
	s_xor_b32 s13, exec_lo, s75
; %bb.4416:                             ;   in Loop: Header=BB6_3506 Depth=4
	v_min_i32_e32 v1, 31, v2
	s_delay_alu instid0(VALU_DEP_1) | instskip(NEXT) | instid1(VALU_DEP_1)
	v_lshl_or_b32 v1, v1, 2, v25
                                        ; implicit-def: $vgpr25
	v_and_or_b32 v29, v0, 3, v1
; %bb.4417:                             ;   in Loop: Header=BB6_3506 Depth=4
	s_and_not1_saveexec_b32 s13, s13
; %bb.4418:                             ;   in Loop: Header=BB6_3506 Depth=4
	v_mov_b32_e32 v29, v25
; %bb.4419:                             ;   in Loop: Header=BB6_3506 Depth=4
	s_or_b32 exec_lo, exec_lo, s13
.LBB6_4420:                             ;   in Loop: Header=BB6_3506 Depth=4
	s_delay_alu instid0(SALU_CYCLE_1)
	s_or_b32 exec_lo, exec_lo, s74
                                        ; implicit-def: $vgpr25
.LBB6_4421:                             ;   in Loop: Header=BB6_3506 Depth=4
	s_and_not1_saveexec_b32 s13, s73
; %bb.4422:                             ;   in Loop: Header=BB6_3506 Depth=4
	v_or_b32_e32 v29, 0x7b, v25
; %bb.4423:                             ;   in Loop: Header=BB6_3506 Depth=4
	s_or_b32 exec_lo, exec_lo, s13
                                        ; implicit-def: $vgpr0
.LBB6_4424:                             ;   in Loop: Header=BB6_3506 Depth=4
	s_and_not1_saveexec_b32 s13, s72
	s_cbranch_execz .LBB6_4430
; %bb.4425:                             ;   in Loop: Header=BB6_3506 Depth=4
	s_mov_b32 s72, exec_lo
                                        ; implicit-def: $vgpr29
	v_cmpx_ne_u64_e32 0, v[20:21]
	s_xor_b32 s72, exec_lo, s72
; %bb.4426:                             ;   in Loop: Header=BB6_3506 Depth=4
	v_lshrrev_b32_e32 v0, 24, v0
	s_delay_alu instid0(VALU_DEP_1)
	v_or_b32_e32 v29, 0x7f, v0
                                        ; implicit-def: $vgpr0
; %bb.4427:                             ;   in Loop: Header=BB6_3506 Depth=4
	s_and_not1_saveexec_b32 s72, s72
; %bb.4428:                             ;   in Loop: Header=BB6_3506 Depth=4
	v_cmp_lt_i32_e32 vcc_lo, -1, v0
	v_cndmask_b32_e64 v29, -4, 0x7c, vcc_lo
; %bb.4429:                             ;   in Loop: Header=BB6_3506 Depth=4
	s_or_b32 exec_lo, exec_lo, s72
.LBB6_4430:                             ;   in Loop: Header=BB6_3506 Depth=4
	s_delay_alu instid0(SALU_CYCLE_1)
	s_or_b32 exec_lo, exec_lo, s13
	v_dual_mov_b32 v0, 0 :: v_dual_mov_b32 v1, 0
	s_mov_b32 s72, exec_lo
	v_cmpx_ne_u16_e32 0, v120
	s_cbranch_execz .LBB6_4440
; %bb.4431:                             ;   in Loop: Header=BB6_3506 Depth=4
	v_bfrev_b32_e32 v1, 1
	s_mov_b32 s73, exec_lo
	v_cmpx_ne_u16_e32 0xff80, v120
	s_cbranch_execz .LBB6_4439
; %bb.4432:                             ;   in Loop: Header=BB6_3506 Depth=4
	v_and_b32_e32 v1, 0x7c, v120
	v_and_b32_e32 v2, 3, v120
	s_delay_alu instid0(VALU_DEP_2) | instskip(SKIP_1) | instid1(SALU_CYCLE_1)
	v_cmp_ne_u32_e32 vcc_lo, 0x7c, v1
                                        ; implicit-def: $vgpr1
	s_and_saveexec_b32 s13, vcc_lo
	s_xor_b32 s13, exec_lo, s13
	s_cbranch_execz .LBB6_4436
; %bb.4433:                             ;   in Loop: Header=BB6_3506 Depth=4
	v_and_b32_e32 v1, 0xff, v120
	s_mov_b32 s74, exec_lo
	s_delay_alu instid0(VALU_DEP_1) | instskip(NEXT) | instid1(VALU_DEP_1)
	v_bfe_u32 v1, v1, 2, 5
	v_cmpx_eq_u32_e32 0, v1
	s_cbranch_execz .LBB6_4435
; %bb.4434:                             ;   in Loop: Header=BB6_3506 Depth=4
	v_clz_i32_u32_e32 v1, v2
	s_delay_alu instid0(VALU_DEP_1) | instskip(SKIP_1) | instid1(VALU_DEP_2)
	v_min_u32_e32 v1, 32, v1
	v_mov_b32_e32 v121, v21
	v_subrev_nc_u32_e32 v2, 29, v1
	v_sub_nc_u32_e32 v1, 30, v1
	s_delay_alu instid0(VALU_DEP_2) | instskip(NEXT) | instid1(VALU_DEP_1)
	v_lshlrev_b64_e32 v[2:3], v2, v[120:121]
	v_and_b32_e32 v2, 3, v2
.LBB6_4435:                             ;   in Loop: Header=BB6_3506 Depth=4
	s_or_b32 exec_lo, exec_lo, s74
	v_bfe_i32 v3, v120, 0, 16
                                        ; implicit-def: $vgpr120
	s_delay_alu instid0(VALU_DEP_1) | instskip(NEXT) | instid1(VALU_DEP_1)
	v_and_b32_e32 v3, 0x80000000, v3
	v_lshl_add_u32 v1, v1, 23, v3
	s_delay_alu instid0(VALU_DEP_1) | instskip(NEXT) | instid1(VALU_DEP_1)
	v_lshl_or_b32 v1, v2, 21, v1
                                        ; implicit-def: $vgpr2
	v_add_nc_u32_e32 v1, 0x38000000, v1
.LBB6_4436:                             ;   in Loop: Header=BB6_3506 Depth=4
	s_and_not1_saveexec_b32 s74, s13
; %bb.4437:                             ;   in Loop: Header=BB6_3506 Depth=4
	v_cmp_lt_i16_e64 s13, -1, v120
	v_mov_b32_e32 v1, 0x7f800000
	v_cmp_eq_u32_e32 vcc_lo, 0, v2
	s_delay_alu instid0(VALU_DEP_2) | instskip(NEXT) | instid1(VALU_DEP_1)
	v_cndmask_b32_e64 v1, 0xff800000, v1, s13
	v_cndmask_b32_e32 v1, 0x7f800001, v1, vcc_lo
; %bb.4438:                             ;   in Loop: Header=BB6_3506 Depth=4
	s_or_b32 exec_lo, exec_lo, s74
.LBB6_4439:                             ;   in Loop: Header=BB6_3506 Depth=4
	s_delay_alu instid0(SALU_CYCLE_1)
	s_or_b32 exec_lo, exec_lo, s73
.LBB6_4440:                             ;   in Loop: Header=BB6_3506 Depth=4
	s_delay_alu instid0(SALU_CYCLE_1) | instskip(NEXT) | instid1(SALU_CYCLE_1)
	s_or_b32 exec_lo, exec_lo, s72
	s_mov_b32 s72, exec_lo
	v_cmpx_ne_u16_e32 0, v110
	s_cbranch_execz .LBB6_4450
; %bb.4441:                             ;   in Loop: Header=BB6_3506 Depth=4
	v_bfrev_b32_e32 v0, 1
	s_mov_b32 s73, exec_lo
	v_cmpx_ne_u16_e32 0xff80, v110
	s_cbranch_execz .LBB6_4449
; %bb.4442:                             ;   in Loop: Header=BB6_3506 Depth=4
	v_and_b32_e32 v0, 0x7c, v110
	v_and_b32_e32 v2, 3, v110
	s_delay_alu instid0(VALU_DEP_2) | instskip(SKIP_1) | instid1(SALU_CYCLE_1)
	v_cmp_ne_u32_e32 vcc_lo, 0x7c, v0
                                        ; implicit-def: $vgpr0
	s_and_saveexec_b32 s13, vcc_lo
	s_xor_b32 s13, exec_lo, s13
	s_cbranch_execz .LBB6_4446
; %bb.4443:                             ;   in Loop: Header=BB6_3506 Depth=4
	v_and_b32_e32 v0, 0xff, v110
	s_mov_b32 s74, exec_lo
	s_delay_alu instid0(VALU_DEP_1) | instskip(NEXT) | instid1(VALU_DEP_1)
	v_bfe_u32 v0, v0, 2, 5
	v_cmpx_eq_u32_e32 0, v0
	s_cbranch_execz .LBB6_4445
; %bb.4444:                             ;   in Loop: Header=BB6_3506 Depth=4
	v_clz_i32_u32_e32 v0, v2
	s_delay_alu instid0(VALU_DEP_1) | instskip(SKIP_1) | instid1(VALU_DEP_2)
	v_min_u32_e32 v0, 32, v0
	v_mov_b32_e32 v111, v21
	v_subrev_nc_u32_e32 v2, 29, v0
	v_sub_nc_u32_e32 v0, 30, v0
	s_delay_alu instid0(VALU_DEP_2) | instskip(NEXT) | instid1(VALU_DEP_1)
	v_lshlrev_b64_e32 v[2:3], v2, v[110:111]
	v_and_b32_e32 v2, 3, v2
.LBB6_4445:                             ;   in Loop: Header=BB6_3506 Depth=4
	s_or_b32 exec_lo, exec_lo, s74
	v_bfe_i32 v3, v110, 0, 16
                                        ; implicit-def: $vgpr110
	s_delay_alu instid0(VALU_DEP_1) | instskip(NEXT) | instid1(VALU_DEP_1)
	v_and_b32_e32 v3, 0x80000000, v3
	v_lshl_add_u32 v0, v0, 23, v3
	s_delay_alu instid0(VALU_DEP_1) | instskip(NEXT) | instid1(VALU_DEP_1)
	v_lshl_or_b32 v0, v2, 21, v0
                                        ; implicit-def: $vgpr2
	v_add_nc_u32_e32 v0, 0x38000000, v0
.LBB6_4446:                             ;   in Loop: Header=BB6_3506 Depth=4
	s_and_not1_saveexec_b32 s74, s13
; %bb.4447:                             ;   in Loop: Header=BB6_3506 Depth=4
	v_cmp_lt_i16_e64 s13, -1, v110
	v_mov_b32_e32 v0, 0x7f800000
	v_cmp_eq_u32_e32 vcc_lo, 0, v2
	s_delay_alu instid0(VALU_DEP_2) | instskip(NEXT) | instid1(VALU_DEP_1)
	v_cndmask_b32_e64 v0, 0xff800000, v0, s13
	v_cndmask_b32_e32 v0, 0x7f800001, v0, vcc_lo
; %bb.4448:                             ;   in Loop: Header=BB6_3506 Depth=4
	s_or_b32 exec_lo, exec_lo, s74
.LBB6_4449:                             ;   in Loop: Header=BB6_3506 Depth=4
	s_delay_alu instid0(SALU_CYCLE_1)
	s_or_b32 exec_lo, exec_lo, s73
.LBB6_4450:                             ;   in Loop: Header=BB6_3506 Depth=4
	s_delay_alu instid0(SALU_CYCLE_1) | instskip(NEXT) | instid1(VALU_DEP_1)
	s_or_b32 exec_lo, exec_lo, s72
	v_mul_f32_e32 v0, v1, v0
	v_mov_b32_e32 v3, v21
                                        ; implicit-def: $vgpr30
	s_mov_b32 s13, exec_lo
	s_delay_alu instid0(VALU_DEP_2) | instskip(SKIP_1) | instid1(VALU_DEP_2)
	v_and_b32_e32 v2, 0x7f800000, v0
	v_and_b32_e32 v20, 0x7fffff, v0
	v_cmpx_ne_u64_e32 0x7f800000, v[2:3]
	s_xor_b32 s72, exec_lo, s13
	s_cbranch_execz .LBB6_4468
; %bb.4451:                             ;   in Loop: Header=BB6_3506 Depth=4
	v_dual_mov_b32 v3, v21 :: v_dual_lshrrev_b32 v1, 24, v0
	v_and_b32_e32 v2, 0x7fffffff, v0
                                        ; implicit-def: $vgpr30
	s_mov_b32 s13, exec_lo
	s_delay_alu instid0(VALU_DEP_2) | instskip(NEXT) | instid1(VALU_DEP_2)
	v_and_b32_e32 v25, 0x80, v1
	v_cmpx_gt_u64_e32 0x47600001, v[2:3]
	s_xor_b32 s73, exec_lo, s13
	s_cbranch_execz .LBB6_4465
; %bb.4452:                             ;   in Loop: Header=BB6_3506 Depth=4
	v_mov_b32_e32 v30, 0
	s_mov_b32 s74, exec_lo
	v_cmpx_ne_u32_e32 0, v0
	s_cbranch_execz .LBB6_4464
; %bb.4453:                             ;   in Loop: Header=BB6_3506 Depth=4
	v_bfe_u32 v27, v0, 23, 8
	v_or_b32_e32 v1, 0x800000, v20
	s_delay_alu instid0(VALU_DEP_2) | instskip(SKIP_2) | instid1(VALU_DEP_2)
	v_cmp_gt_u32_e64 s13, 0x72, v27
	v_sub_nc_u32_e32 v0, 0x71, v27
	v_cmp_eq_u32_e32 vcc_lo, 0, v27
	v_cndmask_b32_e64 v0, 0, v0, s13
	s_delay_alu instid0(VALU_DEP_1) | instskip(SKIP_1) | instid1(VALU_DEP_2)
	v_cndmask_b32_e64 v30, v0, 0x70, vcc_lo
	v_cndmask_b32_e32 v0, v1, v20, vcc_lo
	v_dual_mov_b32 v1, v21 :: v_dual_add_nc_u32 v2, 21, v30
	v_add_nc_u32_e32 v20, 20, v30
	s_delay_alu instid0(VALU_DEP_2) | instskip(NEXT) | instid1(VALU_DEP_2)
	v_lshlrev_b64_e64 v[2:3], v2, -1
	v_lshlrev_b64_e64 v[52:53], v20, 1
	s_delay_alu instid0(VALU_DEP_2) | instskip(SKIP_1) | instid1(VALU_DEP_4)
	v_bfi_b32 v2, v2, 0, v0
	v_lshrrev_b64 v[0:1], v30, v[0:1]
	v_bfi_b32 v3, v3, 0, 0
	s_delay_alu instid0(VALU_DEP_1) | instskip(NEXT) | instid1(VALU_DEP_3)
	v_cmp_eq_u64_e64 s13, v[2:3], v[52:53]
	v_mov_b64_e32 v[2:3], v[0:1]
	s_and_saveexec_b32 s75, s13
; %bb.4454:                             ;   in Loop: Header=BB6_3506 Depth=4
	v_bfe_u32 v2, v0, 21, 1
	v_mov_b32_e32 v3, v21
	s_delay_alu instid0(VALU_DEP_1) | instskip(NEXT) | instid1(VALU_DEP_1)
	v_add_nc_u64_e32 v[2:3], v[0:1], v[2:3]
	v_add_nc_u64_e32 v[2:3], -1, v[2:3]
; %bb.4455:                             ;   in Loop: Header=BB6_3506 Depth=4
	s_or_b32 exec_lo, exec_lo, s75
	v_add_nc_u32_e32 v1, 0xffffff81, v27
	s_delay_alu instid0(VALU_DEP_2) | instskip(SKIP_2) | instid1(VALU_DEP_3)
	v_and_b32_e32 v2, 0x1fffff, v2
	v_lshrrev_b32_e32 v3, 23, v0
	s_mov_b32 s13, exec_lo
	v_cndmask_b32_e64 v1, v1, 0xffffff82, vcc_lo
	s_delay_alu instid0(VALU_DEP_3) | instskip(NEXT) | instid1(VALU_DEP_2)
	v_add_nc_u32_e32 v20, v2, v0
                                        ; implicit-def: $vgpr2
	v_add3_u32 v27, v30, v1, v3
                                        ; implicit-def: $vgpr0_vgpr1
	s_delay_alu instid0(VALU_DEP_1) | instskip(NEXT) | instid1(VALU_DEP_1)
	v_add_nc_u32_e32 v3, 14, v27
	v_cmpx_ne_u32_e32 0, v3
	s_xor_b32 s13, exec_lo, s13
; %bb.4456:                             ;   in Loop: Header=BB6_3506 Depth=4
	v_cmp_lt_u64_e32 vcc_lo, 0xffffff, v[20:21]
	v_add_nc_u32_e32 v0, 15, v27
	s_delay_alu instid0(VALU_DEP_1) | instskip(SKIP_1) | instid1(VALU_DEP_1)
	v_cndmask_b32_e32 v2, v3, v0, vcc_lo
	v_cndmask_b32_e64 v0, 0, 1, vcc_lo
	v_lshrrev_b64 v[0:1], v0, v[20:21]
; %bb.4457:                             ;   in Loop: Header=BB6_3506 Depth=4
	s_and_not1_saveexec_b32 s13, s13
; %bb.4458:                             ;   in Loop: Header=BB6_3506 Depth=4
	v_mov_b64_e32 v[0:1], v[20:21]
	v_bfe_u32 v2, v20, 23, 1
; %bb.4459:                             ;   in Loop: Header=BB6_3506 Depth=4
	s_or_b32 exec_lo, exec_lo, s13
	s_delay_alu instid0(VALU_DEP_2) | instskip(NEXT) | instid1(VALU_DEP_2)
	v_lshrrev_b64 v[0:1], 21, v[0:1]
	v_cmp_gt_i32_e32 vcc_lo, 32, v2
	v_cmp_ne_u32_e64 s13, 0, v2
                                        ; implicit-def: $vgpr30
	s_delay_alu instid0(VALU_DEP_3) | instskip(NEXT) | instid1(VALU_DEP_1)
	v_dual_cndmask_b32 v1, 0, v1 :: v_dual_cndmask_b32 v0, 3, v0
	v_cmp_ne_u64_e32 vcc_lo, 0, v[0:1]
	s_or_b32 s13, s13, vcc_lo
	s_delay_alu instid0(SALU_CYCLE_1) | instskip(NEXT) | instid1(SALU_CYCLE_1)
	s_and_saveexec_b32 s75, s13
	s_xor_b32 s13, exec_lo, s75
; %bb.4460:                             ;   in Loop: Header=BB6_3506 Depth=4
	v_min_i32_e32 v1, 31, v2
	s_delay_alu instid0(VALU_DEP_1) | instskip(NEXT) | instid1(VALU_DEP_1)
	v_lshl_or_b32 v1, v1, 2, v25
                                        ; implicit-def: $vgpr25
	v_and_or_b32 v30, v0, 3, v1
; %bb.4461:                             ;   in Loop: Header=BB6_3506 Depth=4
	s_and_not1_saveexec_b32 s13, s13
; %bb.4462:                             ;   in Loop: Header=BB6_3506 Depth=4
	v_mov_b32_e32 v30, v25
; %bb.4463:                             ;   in Loop: Header=BB6_3506 Depth=4
	s_or_b32 exec_lo, exec_lo, s13
.LBB6_4464:                             ;   in Loop: Header=BB6_3506 Depth=4
	s_delay_alu instid0(SALU_CYCLE_1)
	s_or_b32 exec_lo, exec_lo, s74
                                        ; implicit-def: $vgpr25
.LBB6_4465:                             ;   in Loop: Header=BB6_3506 Depth=4
	s_and_not1_saveexec_b32 s13, s73
; %bb.4466:                             ;   in Loop: Header=BB6_3506 Depth=4
	v_or_b32_e32 v30, 0x7b, v25
; %bb.4467:                             ;   in Loop: Header=BB6_3506 Depth=4
	s_or_b32 exec_lo, exec_lo, s13
                                        ; implicit-def: $vgpr0
.LBB6_4468:                             ;   in Loop: Header=BB6_3506 Depth=4
	s_and_not1_saveexec_b32 s13, s72
	s_cbranch_execz .LBB6_4474
; %bb.4469:                             ;   in Loop: Header=BB6_3506 Depth=4
	s_mov_b32 s72, exec_lo
                                        ; implicit-def: $vgpr30
	v_cmpx_ne_u64_e32 0, v[20:21]
	s_xor_b32 s72, exec_lo, s72
; %bb.4470:                             ;   in Loop: Header=BB6_3506 Depth=4
	v_lshrrev_b32_e32 v0, 24, v0
	s_delay_alu instid0(VALU_DEP_1)
	v_or_b32_e32 v30, 0x7f, v0
                                        ; implicit-def: $vgpr0
; %bb.4471:                             ;   in Loop: Header=BB6_3506 Depth=4
	s_and_not1_saveexec_b32 s72, s72
; %bb.4472:                             ;   in Loop: Header=BB6_3506 Depth=4
	v_cmp_lt_i32_e32 vcc_lo, -1, v0
	v_cndmask_b32_e64 v30, -4, 0x7c, vcc_lo
; %bb.4473:                             ;   in Loop: Header=BB6_3506 Depth=4
	s_or_b32 exec_lo, exec_lo, s72
.LBB6_4474:                             ;   in Loop: Header=BB6_3506 Depth=4
	s_delay_alu instid0(SALU_CYCLE_1)
	s_or_b32 exec_lo, exec_lo, s13
	v_dual_mov_b32 v0, 0 :: v_dual_mov_b32 v1, 0
	s_mov_b32 s72, exec_lo
	v_cmpx_ne_u16_e32 0, v108
	s_cbranch_execz .LBB6_4484
; %bb.4475:                             ;   in Loop: Header=BB6_3506 Depth=4
	v_bfrev_b32_e32 v1, 1
	s_mov_b32 s73, exec_lo
	v_cmpx_ne_u16_e32 0xff80, v108
	s_cbranch_execz .LBB6_4483
; %bb.4476:                             ;   in Loop: Header=BB6_3506 Depth=4
	v_and_b32_e32 v1, 0x7c, v108
	v_and_b32_e32 v2, 3, v108
	s_delay_alu instid0(VALU_DEP_2) | instskip(SKIP_1) | instid1(SALU_CYCLE_1)
	v_cmp_ne_u32_e32 vcc_lo, 0x7c, v1
                                        ; implicit-def: $vgpr1
	s_and_saveexec_b32 s13, vcc_lo
	s_xor_b32 s13, exec_lo, s13
	s_cbranch_execz .LBB6_4480
; %bb.4477:                             ;   in Loop: Header=BB6_3506 Depth=4
	v_and_b32_e32 v1, 0xff, v108
	s_mov_b32 s74, exec_lo
	s_delay_alu instid0(VALU_DEP_1) | instskip(NEXT) | instid1(VALU_DEP_1)
	v_bfe_u32 v1, v1, 2, 5
	v_cmpx_eq_u32_e32 0, v1
	s_cbranch_execz .LBB6_4479
; %bb.4478:                             ;   in Loop: Header=BB6_3506 Depth=4
	v_clz_i32_u32_e32 v1, v2
	s_delay_alu instid0(VALU_DEP_1) | instskip(SKIP_1) | instid1(VALU_DEP_2)
	v_min_u32_e32 v1, 32, v1
	v_mov_b32_e32 v109, v21
	v_subrev_nc_u32_e32 v2, 29, v1
	v_sub_nc_u32_e32 v1, 30, v1
	s_delay_alu instid0(VALU_DEP_2) | instskip(NEXT) | instid1(VALU_DEP_1)
	v_lshlrev_b64_e32 v[2:3], v2, v[108:109]
	v_and_b32_e32 v2, 3, v2
.LBB6_4479:                             ;   in Loop: Header=BB6_3506 Depth=4
	s_or_b32 exec_lo, exec_lo, s74
	v_bfe_i32 v3, v108, 0, 16
                                        ; implicit-def: $vgpr108
	s_delay_alu instid0(VALU_DEP_1) | instskip(NEXT) | instid1(VALU_DEP_1)
	v_and_b32_e32 v3, 0x80000000, v3
	v_lshl_add_u32 v1, v1, 23, v3
	s_delay_alu instid0(VALU_DEP_1) | instskip(NEXT) | instid1(VALU_DEP_1)
	v_lshl_or_b32 v1, v2, 21, v1
                                        ; implicit-def: $vgpr2
	v_add_nc_u32_e32 v1, 0x38000000, v1
.LBB6_4480:                             ;   in Loop: Header=BB6_3506 Depth=4
	s_and_not1_saveexec_b32 s74, s13
; %bb.4481:                             ;   in Loop: Header=BB6_3506 Depth=4
	v_cmp_lt_i16_e64 s13, -1, v108
	v_mov_b32_e32 v1, 0x7f800000
	v_cmp_eq_u32_e32 vcc_lo, 0, v2
	s_delay_alu instid0(VALU_DEP_2) | instskip(NEXT) | instid1(VALU_DEP_1)
	v_cndmask_b32_e64 v1, 0xff800000, v1, s13
	v_cndmask_b32_e32 v1, 0x7f800001, v1, vcc_lo
; %bb.4482:                             ;   in Loop: Header=BB6_3506 Depth=4
	s_or_b32 exec_lo, exec_lo, s74
.LBB6_4483:                             ;   in Loop: Header=BB6_3506 Depth=4
	s_delay_alu instid0(SALU_CYCLE_1)
	s_or_b32 exec_lo, exec_lo, s73
.LBB6_4484:                             ;   in Loop: Header=BB6_3506 Depth=4
	s_delay_alu instid0(SALU_CYCLE_1) | instskip(NEXT) | instid1(SALU_CYCLE_1)
	s_or_b32 exec_lo, exec_lo, s72
	s_mov_b32 s72, exec_lo
	v_cmpx_ne_u16_e32 0, v106
	s_cbranch_execz .LBB6_4494
; %bb.4485:                             ;   in Loop: Header=BB6_3506 Depth=4
	v_bfrev_b32_e32 v0, 1
	s_mov_b32 s73, exec_lo
	v_cmpx_ne_u16_e32 0xff80, v106
	s_cbranch_execz .LBB6_4493
; %bb.4486:                             ;   in Loop: Header=BB6_3506 Depth=4
	v_and_b32_e32 v0, 0x7c, v106
	v_and_b32_e32 v2, 3, v106
	s_delay_alu instid0(VALU_DEP_2) | instskip(SKIP_1) | instid1(SALU_CYCLE_1)
	v_cmp_ne_u32_e32 vcc_lo, 0x7c, v0
                                        ; implicit-def: $vgpr0
	s_and_saveexec_b32 s13, vcc_lo
	s_xor_b32 s13, exec_lo, s13
	s_cbranch_execz .LBB6_4490
; %bb.4487:                             ;   in Loop: Header=BB6_3506 Depth=4
	v_and_b32_e32 v0, 0xff, v106
	s_mov_b32 s74, exec_lo
	s_delay_alu instid0(VALU_DEP_1) | instskip(NEXT) | instid1(VALU_DEP_1)
	v_bfe_u32 v0, v0, 2, 5
	v_cmpx_eq_u32_e32 0, v0
	s_cbranch_execz .LBB6_4489
; %bb.4488:                             ;   in Loop: Header=BB6_3506 Depth=4
	v_clz_i32_u32_e32 v0, v2
	s_delay_alu instid0(VALU_DEP_1) | instskip(SKIP_1) | instid1(VALU_DEP_2)
	v_min_u32_e32 v0, 32, v0
	v_mov_b32_e32 v107, v21
	v_subrev_nc_u32_e32 v2, 29, v0
	v_sub_nc_u32_e32 v0, 30, v0
	s_delay_alu instid0(VALU_DEP_2) | instskip(NEXT) | instid1(VALU_DEP_1)
	v_lshlrev_b64_e32 v[2:3], v2, v[106:107]
	v_and_b32_e32 v2, 3, v2
.LBB6_4489:                             ;   in Loop: Header=BB6_3506 Depth=4
	s_or_b32 exec_lo, exec_lo, s74
	v_bfe_i32 v3, v106, 0, 16
                                        ; implicit-def: $vgpr106
	s_delay_alu instid0(VALU_DEP_1) | instskip(NEXT) | instid1(VALU_DEP_1)
	v_and_b32_e32 v3, 0x80000000, v3
	v_lshl_add_u32 v0, v0, 23, v3
	s_delay_alu instid0(VALU_DEP_1) | instskip(NEXT) | instid1(VALU_DEP_1)
	v_lshl_or_b32 v0, v2, 21, v0
                                        ; implicit-def: $vgpr2
	v_add_nc_u32_e32 v0, 0x38000000, v0
.LBB6_4490:                             ;   in Loop: Header=BB6_3506 Depth=4
	s_and_not1_saveexec_b32 s74, s13
; %bb.4491:                             ;   in Loop: Header=BB6_3506 Depth=4
	v_cmp_lt_i16_e64 s13, -1, v106
	v_mov_b32_e32 v0, 0x7f800000
	v_cmp_eq_u32_e32 vcc_lo, 0, v2
	s_delay_alu instid0(VALU_DEP_2) | instskip(NEXT) | instid1(VALU_DEP_1)
	v_cndmask_b32_e64 v0, 0xff800000, v0, s13
	v_cndmask_b32_e32 v0, 0x7f800001, v0, vcc_lo
; %bb.4492:                             ;   in Loop: Header=BB6_3506 Depth=4
	s_or_b32 exec_lo, exec_lo, s74
.LBB6_4493:                             ;   in Loop: Header=BB6_3506 Depth=4
	s_delay_alu instid0(SALU_CYCLE_1)
	s_or_b32 exec_lo, exec_lo, s73
.LBB6_4494:                             ;   in Loop: Header=BB6_3506 Depth=4
	s_delay_alu instid0(SALU_CYCLE_1) | instskip(NEXT) | instid1(VALU_DEP_1)
	s_or_b32 exec_lo, exec_lo, s72
	v_mul_f32_e32 v0, v1, v0
	v_mov_b32_e32 v3, v21
                                        ; implicit-def: $vgpr31
	s_mov_b32 s13, exec_lo
	s_delay_alu instid0(VALU_DEP_2) | instskip(SKIP_1) | instid1(VALU_DEP_2)
	v_and_b32_e32 v2, 0x7f800000, v0
	v_and_b32_e32 v20, 0x7fffff, v0
	v_cmpx_ne_u64_e32 0x7f800000, v[2:3]
	s_xor_b32 s72, exec_lo, s13
	s_cbranch_execz .LBB6_4512
; %bb.4495:                             ;   in Loop: Header=BB6_3506 Depth=4
	v_dual_mov_b32 v3, v21 :: v_dual_lshrrev_b32 v1, 24, v0
	v_and_b32_e32 v2, 0x7fffffff, v0
                                        ; implicit-def: $vgpr31
	s_mov_b32 s13, exec_lo
	s_delay_alu instid0(VALU_DEP_2) | instskip(NEXT) | instid1(VALU_DEP_2)
	v_and_b32_e32 v25, 0x80, v1
	v_cmpx_gt_u64_e32 0x47600001, v[2:3]
	s_xor_b32 s73, exec_lo, s13
	s_cbranch_execz .LBB6_4509
; %bb.4496:                             ;   in Loop: Header=BB6_3506 Depth=4
	v_mov_b32_e32 v31, 0
	s_mov_b32 s74, exec_lo
	v_cmpx_ne_u32_e32 0, v0
	s_cbranch_execz .LBB6_4508
; %bb.4497:                             ;   in Loop: Header=BB6_3506 Depth=4
	v_bfe_u32 v27, v0, 23, 8
	v_or_b32_e32 v1, 0x800000, v20
	s_delay_alu instid0(VALU_DEP_2) | instskip(SKIP_2) | instid1(VALU_DEP_2)
	v_cmp_gt_u32_e64 s13, 0x72, v27
	v_sub_nc_u32_e32 v0, 0x71, v27
	v_cmp_eq_u32_e32 vcc_lo, 0, v27
	v_cndmask_b32_e64 v0, 0, v0, s13
	s_delay_alu instid0(VALU_DEP_1) | instskip(SKIP_1) | instid1(VALU_DEP_2)
	v_cndmask_b32_e64 v31, v0, 0x70, vcc_lo
	v_cndmask_b32_e32 v0, v1, v20, vcc_lo
	v_dual_mov_b32 v1, v21 :: v_dual_add_nc_u32 v2, 21, v31
	v_add_nc_u32_e32 v20, 20, v31
	s_delay_alu instid0(VALU_DEP_2) | instskip(NEXT) | instid1(VALU_DEP_2)
	v_lshlrev_b64_e64 v[2:3], v2, -1
	v_lshlrev_b64_e64 v[52:53], v20, 1
	s_delay_alu instid0(VALU_DEP_2) | instskip(SKIP_1) | instid1(VALU_DEP_4)
	v_bfi_b32 v2, v2, 0, v0
	v_lshrrev_b64 v[0:1], v31, v[0:1]
	v_bfi_b32 v3, v3, 0, 0
	s_delay_alu instid0(VALU_DEP_1) | instskip(NEXT) | instid1(VALU_DEP_3)
	v_cmp_eq_u64_e64 s13, v[2:3], v[52:53]
	v_mov_b64_e32 v[2:3], v[0:1]
	s_and_saveexec_b32 s75, s13
; %bb.4498:                             ;   in Loop: Header=BB6_3506 Depth=4
	v_bfe_u32 v2, v0, 21, 1
	v_mov_b32_e32 v3, v21
	s_delay_alu instid0(VALU_DEP_1) | instskip(NEXT) | instid1(VALU_DEP_1)
	v_add_nc_u64_e32 v[2:3], v[0:1], v[2:3]
	v_add_nc_u64_e32 v[2:3], -1, v[2:3]
; %bb.4499:                             ;   in Loop: Header=BB6_3506 Depth=4
	s_or_b32 exec_lo, exec_lo, s75
	v_add_nc_u32_e32 v1, 0xffffff81, v27
	s_delay_alu instid0(VALU_DEP_2) | instskip(SKIP_2) | instid1(VALU_DEP_3)
	v_and_b32_e32 v2, 0x1fffff, v2
	v_lshrrev_b32_e32 v3, 23, v0
	s_mov_b32 s13, exec_lo
	v_cndmask_b32_e64 v1, v1, 0xffffff82, vcc_lo
	s_delay_alu instid0(VALU_DEP_3) | instskip(NEXT) | instid1(VALU_DEP_2)
	v_add_nc_u32_e32 v20, v2, v0
                                        ; implicit-def: $vgpr2
	v_add3_u32 v27, v31, v1, v3
                                        ; implicit-def: $vgpr0_vgpr1
	s_delay_alu instid0(VALU_DEP_1) | instskip(NEXT) | instid1(VALU_DEP_1)
	v_add_nc_u32_e32 v3, 14, v27
	v_cmpx_ne_u32_e32 0, v3
	s_xor_b32 s13, exec_lo, s13
; %bb.4500:                             ;   in Loop: Header=BB6_3506 Depth=4
	v_cmp_lt_u64_e32 vcc_lo, 0xffffff, v[20:21]
	v_add_nc_u32_e32 v0, 15, v27
	s_delay_alu instid0(VALU_DEP_1) | instskip(SKIP_1) | instid1(VALU_DEP_1)
	v_cndmask_b32_e32 v2, v3, v0, vcc_lo
	v_cndmask_b32_e64 v0, 0, 1, vcc_lo
	v_lshrrev_b64 v[0:1], v0, v[20:21]
; %bb.4501:                             ;   in Loop: Header=BB6_3506 Depth=4
	s_and_not1_saveexec_b32 s13, s13
; %bb.4502:                             ;   in Loop: Header=BB6_3506 Depth=4
	v_mov_b64_e32 v[0:1], v[20:21]
	v_bfe_u32 v2, v20, 23, 1
; %bb.4503:                             ;   in Loop: Header=BB6_3506 Depth=4
	s_or_b32 exec_lo, exec_lo, s13
	s_delay_alu instid0(VALU_DEP_2) | instskip(NEXT) | instid1(VALU_DEP_2)
	v_lshrrev_b64 v[0:1], 21, v[0:1]
	v_cmp_gt_i32_e32 vcc_lo, 32, v2
	v_cmp_ne_u32_e64 s13, 0, v2
                                        ; implicit-def: $vgpr31
	s_delay_alu instid0(VALU_DEP_3) | instskip(NEXT) | instid1(VALU_DEP_1)
	v_dual_cndmask_b32 v1, 0, v1 :: v_dual_cndmask_b32 v0, 3, v0
	v_cmp_ne_u64_e32 vcc_lo, 0, v[0:1]
	s_or_b32 s13, s13, vcc_lo
	s_delay_alu instid0(SALU_CYCLE_1) | instskip(NEXT) | instid1(SALU_CYCLE_1)
	s_and_saveexec_b32 s75, s13
	s_xor_b32 s13, exec_lo, s75
; %bb.4504:                             ;   in Loop: Header=BB6_3506 Depth=4
	v_min_i32_e32 v1, 31, v2
	s_delay_alu instid0(VALU_DEP_1) | instskip(NEXT) | instid1(VALU_DEP_1)
	v_lshl_or_b32 v1, v1, 2, v25
                                        ; implicit-def: $vgpr25
	v_and_or_b32 v31, v0, 3, v1
; %bb.4505:                             ;   in Loop: Header=BB6_3506 Depth=4
	s_and_not1_saveexec_b32 s13, s13
; %bb.4506:                             ;   in Loop: Header=BB6_3506 Depth=4
	v_mov_b32_e32 v31, v25
; %bb.4507:                             ;   in Loop: Header=BB6_3506 Depth=4
	s_or_b32 exec_lo, exec_lo, s13
.LBB6_4508:                             ;   in Loop: Header=BB6_3506 Depth=4
	s_delay_alu instid0(SALU_CYCLE_1)
	s_or_b32 exec_lo, exec_lo, s74
                                        ; implicit-def: $vgpr25
.LBB6_4509:                             ;   in Loop: Header=BB6_3506 Depth=4
	s_and_not1_saveexec_b32 s13, s73
; %bb.4510:                             ;   in Loop: Header=BB6_3506 Depth=4
	v_or_b32_e32 v31, 0x7b, v25
; %bb.4511:                             ;   in Loop: Header=BB6_3506 Depth=4
	s_or_b32 exec_lo, exec_lo, s13
                                        ; implicit-def: $vgpr0
.LBB6_4512:                             ;   in Loop: Header=BB6_3506 Depth=4
	s_and_not1_saveexec_b32 s13, s72
	s_cbranch_execz .LBB6_4518
; %bb.4513:                             ;   in Loop: Header=BB6_3506 Depth=4
	s_mov_b32 s72, exec_lo
                                        ; implicit-def: $vgpr31
	v_cmpx_ne_u64_e32 0, v[20:21]
	s_xor_b32 s72, exec_lo, s72
; %bb.4514:                             ;   in Loop: Header=BB6_3506 Depth=4
	v_lshrrev_b32_e32 v0, 24, v0
	s_delay_alu instid0(VALU_DEP_1)
	v_or_b32_e32 v31, 0x7f, v0
                                        ; implicit-def: $vgpr0
; %bb.4515:                             ;   in Loop: Header=BB6_3506 Depth=4
	s_and_not1_saveexec_b32 s72, s72
; %bb.4516:                             ;   in Loop: Header=BB6_3506 Depth=4
	v_cmp_lt_i32_e32 vcc_lo, -1, v0
	v_cndmask_b32_e64 v31, -4, 0x7c, vcc_lo
; %bb.4517:                             ;   in Loop: Header=BB6_3506 Depth=4
	s_or_b32 exec_lo, exec_lo, s72
.LBB6_4518:                             ;   in Loop: Header=BB6_3506 Depth=4
	s_delay_alu instid0(SALU_CYCLE_1)
	s_or_b32 exec_lo, exec_lo, s13
	v_dual_mov_b32 v0, 0 :: v_dual_mov_b32 v1, 0
	s_mov_b32 s72, exec_lo
	v_cmpx_ne_u16_e32 0, v104
	s_cbranch_execz .LBB6_4528
; %bb.4519:                             ;   in Loop: Header=BB6_3506 Depth=4
	v_bfrev_b32_e32 v1, 1
	s_mov_b32 s73, exec_lo
	v_cmpx_ne_u16_e32 0xff80, v104
	s_cbranch_execz .LBB6_4527
; %bb.4520:                             ;   in Loop: Header=BB6_3506 Depth=4
	v_and_b32_e32 v1, 0x7c, v104
	v_and_b32_e32 v2, 3, v104
	s_delay_alu instid0(VALU_DEP_2) | instskip(SKIP_1) | instid1(SALU_CYCLE_1)
	v_cmp_ne_u32_e32 vcc_lo, 0x7c, v1
                                        ; implicit-def: $vgpr1
	s_and_saveexec_b32 s13, vcc_lo
	s_xor_b32 s13, exec_lo, s13
	s_cbranch_execz .LBB6_4524
; %bb.4521:                             ;   in Loop: Header=BB6_3506 Depth=4
	v_and_b32_e32 v1, 0xff, v104
	s_mov_b32 s74, exec_lo
	s_delay_alu instid0(VALU_DEP_1) | instskip(NEXT) | instid1(VALU_DEP_1)
	v_bfe_u32 v1, v1, 2, 5
	v_cmpx_eq_u32_e32 0, v1
	s_cbranch_execz .LBB6_4523
; %bb.4522:                             ;   in Loop: Header=BB6_3506 Depth=4
	v_clz_i32_u32_e32 v1, v2
	s_delay_alu instid0(VALU_DEP_1) | instskip(SKIP_1) | instid1(VALU_DEP_2)
	v_min_u32_e32 v1, 32, v1
	v_mov_b32_e32 v105, v21
	v_subrev_nc_u32_e32 v2, 29, v1
	v_sub_nc_u32_e32 v1, 30, v1
	s_delay_alu instid0(VALU_DEP_2) | instskip(NEXT) | instid1(VALU_DEP_1)
	v_lshlrev_b64_e32 v[2:3], v2, v[104:105]
	v_and_b32_e32 v2, 3, v2
.LBB6_4523:                             ;   in Loop: Header=BB6_3506 Depth=4
	s_or_b32 exec_lo, exec_lo, s74
	v_bfe_i32 v3, v104, 0, 16
                                        ; implicit-def: $vgpr104
	s_delay_alu instid0(VALU_DEP_1) | instskip(NEXT) | instid1(VALU_DEP_1)
	v_and_b32_e32 v3, 0x80000000, v3
	v_lshl_add_u32 v1, v1, 23, v3
	s_delay_alu instid0(VALU_DEP_1) | instskip(NEXT) | instid1(VALU_DEP_1)
	v_lshl_or_b32 v1, v2, 21, v1
                                        ; implicit-def: $vgpr2
	v_add_nc_u32_e32 v1, 0x38000000, v1
.LBB6_4524:                             ;   in Loop: Header=BB6_3506 Depth=4
	s_and_not1_saveexec_b32 s74, s13
; %bb.4525:                             ;   in Loop: Header=BB6_3506 Depth=4
	v_cmp_lt_i16_e64 s13, -1, v104
	v_mov_b32_e32 v1, 0x7f800000
	v_cmp_eq_u32_e32 vcc_lo, 0, v2
	s_delay_alu instid0(VALU_DEP_2) | instskip(NEXT) | instid1(VALU_DEP_1)
	v_cndmask_b32_e64 v1, 0xff800000, v1, s13
	v_cndmask_b32_e32 v1, 0x7f800001, v1, vcc_lo
; %bb.4526:                             ;   in Loop: Header=BB6_3506 Depth=4
	s_or_b32 exec_lo, exec_lo, s74
.LBB6_4527:                             ;   in Loop: Header=BB6_3506 Depth=4
	s_delay_alu instid0(SALU_CYCLE_1)
	s_or_b32 exec_lo, exec_lo, s73
.LBB6_4528:                             ;   in Loop: Header=BB6_3506 Depth=4
	s_delay_alu instid0(SALU_CYCLE_1) | instskip(NEXT) | instid1(SALU_CYCLE_1)
	s_or_b32 exec_lo, exec_lo, s72
	s_mov_b32 s72, exec_lo
	v_cmpx_ne_u16_e32 0, v94
	s_cbranch_execz .LBB6_4538
; %bb.4529:                             ;   in Loop: Header=BB6_3506 Depth=4
	v_bfrev_b32_e32 v0, 1
	s_mov_b32 s73, exec_lo
	v_cmpx_ne_u16_e32 0xff80, v94
	s_cbranch_execz .LBB6_4537
; %bb.4530:                             ;   in Loop: Header=BB6_3506 Depth=4
	v_and_b32_e32 v0, 0x7c, v94
	v_and_b32_e32 v2, 3, v94
	s_delay_alu instid0(VALU_DEP_2) | instskip(SKIP_1) | instid1(SALU_CYCLE_1)
	v_cmp_ne_u32_e32 vcc_lo, 0x7c, v0
                                        ; implicit-def: $vgpr0
	s_and_saveexec_b32 s13, vcc_lo
	s_xor_b32 s13, exec_lo, s13
	s_cbranch_execz .LBB6_4534
; %bb.4531:                             ;   in Loop: Header=BB6_3506 Depth=4
	v_and_b32_e32 v0, 0xff, v94
	s_mov_b32 s74, exec_lo
	s_delay_alu instid0(VALU_DEP_1) | instskip(NEXT) | instid1(VALU_DEP_1)
	v_bfe_u32 v0, v0, 2, 5
	v_cmpx_eq_u32_e32 0, v0
	s_cbranch_execz .LBB6_4533
; %bb.4532:                             ;   in Loop: Header=BB6_3506 Depth=4
	v_clz_i32_u32_e32 v0, v2
	s_delay_alu instid0(VALU_DEP_1) | instskip(SKIP_1) | instid1(VALU_DEP_2)
	v_min_u32_e32 v0, 32, v0
	v_mov_b32_e32 v95, v21
	v_subrev_nc_u32_e32 v2, 29, v0
	v_sub_nc_u32_e32 v0, 30, v0
	s_delay_alu instid0(VALU_DEP_2) | instskip(NEXT) | instid1(VALU_DEP_1)
	v_lshlrev_b64_e32 v[2:3], v2, v[94:95]
	v_and_b32_e32 v2, 3, v2
.LBB6_4533:                             ;   in Loop: Header=BB6_3506 Depth=4
	s_or_b32 exec_lo, exec_lo, s74
	v_bfe_i32 v3, v94, 0, 16
                                        ; implicit-def: $vgpr94
	s_delay_alu instid0(VALU_DEP_1) | instskip(NEXT) | instid1(VALU_DEP_1)
	v_and_b32_e32 v3, 0x80000000, v3
	v_lshl_add_u32 v0, v0, 23, v3
	s_delay_alu instid0(VALU_DEP_1) | instskip(NEXT) | instid1(VALU_DEP_1)
	v_lshl_or_b32 v0, v2, 21, v0
                                        ; implicit-def: $vgpr2
	v_add_nc_u32_e32 v0, 0x38000000, v0
.LBB6_4534:                             ;   in Loop: Header=BB6_3506 Depth=4
	s_and_not1_saveexec_b32 s74, s13
; %bb.4535:                             ;   in Loop: Header=BB6_3506 Depth=4
	v_cmp_lt_i16_e64 s13, -1, v94
	v_mov_b32_e32 v0, 0x7f800000
	v_cmp_eq_u32_e32 vcc_lo, 0, v2
	s_delay_alu instid0(VALU_DEP_2) | instskip(NEXT) | instid1(VALU_DEP_1)
	v_cndmask_b32_e64 v0, 0xff800000, v0, s13
	v_cndmask_b32_e32 v0, 0x7f800001, v0, vcc_lo
; %bb.4536:                             ;   in Loop: Header=BB6_3506 Depth=4
	s_or_b32 exec_lo, exec_lo, s74
.LBB6_4537:                             ;   in Loop: Header=BB6_3506 Depth=4
	s_delay_alu instid0(SALU_CYCLE_1)
	s_or_b32 exec_lo, exec_lo, s73
.LBB6_4538:                             ;   in Loop: Header=BB6_3506 Depth=4
	s_delay_alu instid0(SALU_CYCLE_1) | instskip(NEXT) | instid1(VALU_DEP_1)
	s_or_b32 exec_lo, exec_lo, s72
	v_mul_f32_e32 v0, v1, v0
	v_mov_b32_e32 v3, v21
                                        ; implicit-def: $vgpr52
	s_mov_b32 s13, exec_lo
	s_delay_alu instid0(VALU_DEP_2) | instskip(SKIP_1) | instid1(VALU_DEP_2)
	v_and_b32_e32 v2, 0x7f800000, v0
	v_and_b32_e32 v20, 0x7fffff, v0
	v_cmpx_ne_u64_e32 0x7f800000, v[2:3]
	s_xor_b32 s72, exec_lo, s13
	s_cbranch_execz .LBB6_4556
; %bb.4539:                             ;   in Loop: Header=BB6_3506 Depth=4
	v_dual_mov_b32 v3, v21 :: v_dual_lshrrev_b32 v1, 24, v0
	v_and_b32_e32 v2, 0x7fffffff, v0
                                        ; implicit-def: $vgpr52
	s_mov_b32 s13, exec_lo
	s_delay_alu instid0(VALU_DEP_2) | instskip(NEXT) | instid1(VALU_DEP_2)
	v_and_b32_e32 v25, 0x80, v1
	v_cmpx_gt_u64_e32 0x47600001, v[2:3]
	s_xor_b32 s73, exec_lo, s13
	s_cbranch_execz .LBB6_4553
; %bb.4540:                             ;   in Loop: Header=BB6_3506 Depth=4
	v_mov_b32_e32 v52, 0
	s_mov_b32 s74, exec_lo
	v_cmpx_ne_u32_e32 0, v0
	s_cbranch_execz .LBB6_4552
; %bb.4541:                             ;   in Loop: Header=BB6_3506 Depth=4
	v_bfe_u32 v27, v0, 23, 8
	v_or_b32_e32 v1, 0x800000, v20
	s_delay_alu instid0(VALU_DEP_2) | instskip(SKIP_2) | instid1(VALU_DEP_2)
	v_cmp_gt_u32_e64 s13, 0x72, v27
	v_sub_nc_u32_e32 v0, 0x71, v27
	v_cmp_eq_u32_e32 vcc_lo, 0, v27
	v_cndmask_b32_e64 v0, 0, v0, s13
	s_delay_alu instid0(VALU_DEP_1) | instskip(SKIP_1) | instid1(VALU_DEP_2)
	v_cndmask_b32_e64 v33, v0, 0x70, vcc_lo
	v_cndmask_b32_e32 v0, v1, v20, vcc_lo
	v_dual_mov_b32 v1, v21 :: v_dual_add_nc_u32 v2, 21, v33
	v_add_nc_u32_e32 v20, 20, v33
	s_delay_alu instid0(VALU_DEP_2) | instskip(NEXT) | instid1(VALU_DEP_2)
	v_lshlrev_b64_e64 v[2:3], v2, -1
	v_lshlrev_b64_e64 v[52:53], v20, 1
	s_delay_alu instid0(VALU_DEP_2) | instskip(SKIP_1) | instid1(VALU_DEP_4)
	v_bfi_b32 v2, v2, 0, v0
	v_lshrrev_b64 v[0:1], v33, v[0:1]
	v_bfi_b32 v3, v3, 0, 0
	s_delay_alu instid0(VALU_DEP_1) | instskip(NEXT) | instid1(VALU_DEP_3)
	v_cmp_eq_u64_e64 s13, v[2:3], v[52:53]
	v_mov_b64_e32 v[2:3], v[0:1]
	s_and_saveexec_b32 s75, s13
; %bb.4542:                             ;   in Loop: Header=BB6_3506 Depth=4
	v_bfe_u32 v2, v0, 21, 1
	v_mov_b32_e32 v3, v21
	s_delay_alu instid0(VALU_DEP_1) | instskip(NEXT) | instid1(VALU_DEP_1)
	v_add_nc_u64_e32 v[2:3], v[0:1], v[2:3]
	v_add_nc_u64_e32 v[2:3], -1, v[2:3]
; %bb.4543:                             ;   in Loop: Header=BB6_3506 Depth=4
	s_or_b32 exec_lo, exec_lo, s75
	v_add_nc_u32_e32 v1, 0xffffff81, v27
	s_delay_alu instid0(VALU_DEP_2) | instskip(SKIP_2) | instid1(VALU_DEP_3)
	v_and_b32_e32 v2, 0x1fffff, v2
	v_lshrrev_b32_e32 v3, 23, v0
	s_mov_b32 s13, exec_lo
	v_cndmask_b32_e64 v1, v1, 0xffffff82, vcc_lo
	s_delay_alu instid0(VALU_DEP_3) | instskip(NEXT) | instid1(VALU_DEP_2)
	v_add_nc_u32_e32 v20, v2, v0
                                        ; implicit-def: $vgpr2
	v_add3_u32 v27, v33, v1, v3
                                        ; implicit-def: $vgpr0_vgpr1
	s_delay_alu instid0(VALU_DEP_1) | instskip(NEXT) | instid1(VALU_DEP_1)
	v_add_nc_u32_e32 v3, 14, v27
	v_cmpx_ne_u32_e32 0, v3
	s_xor_b32 s13, exec_lo, s13
; %bb.4544:                             ;   in Loop: Header=BB6_3506 Depth=4
	v_cmp_lt_u64_e32 vcc_lo, 0xffffff, v[20:21]
	v_add_nc_u32_e32 v0, 15, v27
	s_delay_alu instid0(VALU_DEP_1) | instskip(SKIP_1) | instid1(VALU_DEP_1)
	v_cndmask_b32_e32 v2, v3, v0, vcc_lo
	v_cndmask_b32_e64 v0, 0, 1, vcc_lo
	v_lshrrev_b64 v[0:1], v0, v[20:21]
; %bb.4545:                             ;   in Loop: Header=BB6_3506 Depth=4
	s_and_not1_saveexec_b32 s13, s13
; %bb.4546:                             ;   in Loop: Header=BB6_3506 Depth=4
	v_mov_b64_e32 v[0:1], v[20:21]
	v_bfe_u32 v2, v20, 23, 1
; %bb.4547:                             ;   in Loop: Header=BB6_3506 Depth=4
	s_or_b32 exec_lo, exec_lo, s13
	s_delay_alu instid0(VALU_DEP_2) | instskip(NEXT) | instid1(VALU_DEP_2)
	v_lshrrev_b64 v[0:1], 21, v[0:1]
	v_cmp_gt_i32_e32 vcc_lo, 32, v2
	v_cmp_ne_u32_e64 s13, 0, v2
                                        ; implicit-def: $vgpr52
	s_delay_alu instid0(VALU_DEP_3) | instskip(NEXT) | instid1(VALU_DEP_1)
	v_dual_cndmask_b32 v1, 0, v1 :: v_dual_cndmask_b32 v0, 3, v0
	v_cmp_ne_u64_e32 vcc_lo, 0, v[0:1]
	s_or_b32 s13, s13, vcc_lo
	s_delay_alu instid0(SALU_CYCLE_1) | instskip(NEXT) | instid1(SALU_CYCLE_1)
	s_and_saveexec_b32 s75, s13
	s_xor_b32 s13, exec_lo, s75
; %bb.4548:                             ;   in Loop: Header=BB6_3506 Depth=4
	v_min_i32_e32 v1, 31, v2
	s_delay_alu instid0(VALU_DEP_1) | instskip(NEXT) | instid1(VALU_DEP_1)
	v_lshl_or_b32 v1, v1, 2, v25
                                        ; implicit-def: $vgpr25
	v_and_or_b32 v52, v0, 3, v1
; %bb.4549:                             ;   in Loop: Header=BB6_3506 Depth=4
	s_and_not1_saveexec_b32 s13, s13
; %bb.4550:                             ;   in Loop: Header=BB6_3506 Depth=4
	v_mov_b32_e32 v52, v25
; %bb.4551:                             ;   in Loop: Header=BB6_3506 Depth=4
	s_or_b32 exec_lo, exec_lo, s13
.LBB6_4552:                             ;   in Loop: Header=BB6_3506 Depth=4
	s_delay_alu instid0(SALU_CYCLE_1)
	s_or_b32 exec_lo, exec_lo, s74
                                        ; implicit-def: $vgpr25
.LBB6_4553:                             ;   in Loop: Header=BB6_3506 Depth=4
	s_and_not1_saveexec_b32 s13, s73
; %bb.4554:                             ;   in Loop: Header=BB6_3506 Depth=4
	v_or_b32_e32 v52, 0x7b, v25
; %bb.4555:                             ;   in Loop: Header=BB6_3506 Depth=4
	s_or_b32 exec_lo, exec_lo, s13
                                        ; implicit-def: $vgpr0
.LBB6_4556:                             ;   in Loop: Header=BB6_3506 Depth=4
	s_and_not1_saveexec_b32 s13, s72
	s_cbranch_execz .LBB6_4562
; %bb.4557:                             ;   in Loop: Header=BB6_3506 Depth=4
	s_mov_b32 s72, exec_lo
                                        ; implicit-def: $vgpr52
	v_cmpx_ne_u64_e32 0, v[20:21]
	s_xor_b32 s72, exec_lo, s72
; %bb.4558:                             ;   in Loop: Header=BB6_3506 Depth=4
	v_lshrrev_b32_e32 v0, 24, v0
	s_delay_alu instid0(VALU_DEP_1)
	v_or_b32_e32 v52, 0x7f, v0
                                        ; implicit-def: $vgpr0
; %bb.4559:                             ;   in Loop: Header=BB6_3506 Depth=4
	s_and_not1_saveexec_b32 s72, s72
; %bb.4560:                             ;   in Loop: Header=BB6_3506 Depth=4
	v_cmp_lt_i32_e32 vcc_lo, -1, v0
	v_cndmask_b32_e64 v52, -4, 0x7c, vcc_lo
; %bb.4561:                             ;   in Loop: Header=BB6_3506 Depth=4
	s_or_b32 exec_lo, exec_lo, s72
.LBB6_4562:                             ;   in Loop: Header=BB6_3506 Depth=4
	s_delay_alu instid0(SALU_CYCLE_1)
	s_or_b32 exec_lo, exec_lo, s13
	v_dual_mov_b32 v0, 0 :: v_dual_mov_b32 v1, 0
	s_mov_b32 s72, exec_lo
	v_cmpx_ne_u16_e32 0, v92
	s_cbranch_execz .LBB6_4572
; %bb.4563:                             ;   in Loop: Header=BB6_3506 Depth=4
	v_bfrev_b32_e32 v1, 1
	s_mov_b32 s73, exec_lo
	v_cmpx_ne_u16_e32 0xff80, v92
	s_cbranch_execz .LBB6_4571
; %bb.4564:                             ;   in Loop: Header=BB6_3506 Depth=4
	v_and_b32_e32 v1, 0x7c, v92
	v_and_b32_e32 v2, 3, v92
	s_delay_alu instid0(VALU_DEP_2) | instskip(SKIP_1) | instid1(SALU_CYCLE_1)
	v_cmp_ne_u32_e32 vcc_lo, 0x7c, v1
                                        ; implicit-def: $vgpr1
	s_and_saveexec_b32 s13, vcc_lo
	s_xor_b32 s13, exec_lo, s13
	s_cbranch_execz .LBB6_4568
; %bb.4565:                             ;   in Loop: Header=BB6_3506 Depth=4
	v_and_b32_e32 v1, 0xff, v92
	s_mov_b32 s74, exec_lo
	s_delay_alu instid0(VALU_DEP_1) | instskip(NEXT) | instid1(VALU_DEP_1)
	v_bfe_u32 v1, v1, 2, 5
	v_cmpx_eq_u32_e32 0, v1
	s_cbranch_execz .LBB6_4567
; %bb.4566:                             ;   in Loop: Header=BB6_3506 Depth=4
	v_clz_i32_u32_e32 v1, v2
	s_delay_alu instid0(VALU_DEP_1) | instskip(SKIP_1) | instid1(VALU_DEP_2)
	v_min_u32_e32 v1, 32, v1
	v_mov_b32_e32 v93, v21
	v_subrev_nc_u32_e32 v2, 29, v1
	v_sub_nc_u32_e32 v1, 30, v1
	s_delay_alu instid0(VALU_DEP_2) | instskip(NEXT) | instid1(VALU_DEP_1)
	v_lshlrev_b64_e32 v[2:3], v2, v[92:93]
	v_and_b32_e32 v2, 3, v2
.LBB6_4567:                             ;   in Loop: Header=BB6_3506 Depth=4
	s_or_b32 exec_lo, exec_lo, s74
	v_bfe_i32 v3, v92, 0, 16
                                        ; implicit-def: $vgpr92
	s_delay_alu instid0(VALU_DEP_1) | instskip(NEXT) | instid1(VALU_DEP_1)
	v_and_b32_e32 v3, 0x80000000, v3
	v_lshl_add_u32 v1, v1, 23, v3
	s_delay_alu instid0(VALU_DEP_1) | instskip(NEXT) | instid1(VALU_DEP_1)
	v_lshl_or_b32 v1, v2, 21, v1
                                        ; implicit-def: $vgpr2
	v_add_nc_u32_e32 v1, 0x38000000, v1
.LBB6_4568:                             ;   in Loop: Header=BB6_3506 Depth=4
	s_and_not1_saveexec_b32 s74, s13
; %bb.4569:                             ;   in Loop: Header=BB6_3506 Depth=4
	v_cmp_lt_i16_e64 s13, -1, v92
	v_mov_b32_e32 v1, 0x7f800000
	v_cmp_eq_u32_e32 vcc_lo, 0, v2
	s_delay_alu instid0(VALU_DEP_2) | instskip(NEXT) | instid1(VALU_DEP_1)
	v_cndmask_b32_e64 v1, 0xff800000, v1, s13
	v_cndmask_b32_e32 v1, 0x7f800001, v1, vcc_lo
; %bb.4570:                             ;   in Loop: Header=BB6_3506 Depth=4
	s_or_b32 exec_lo, exec_lo, s74
.LBB6_4571:                             ;   in Loop: Header=BB6_3506 Depth=4
	s_delay_alu instid0(SALU_CYCLE_1)
	s_or_b32 exec_lo, exec_lo, s73
.LBB6_4572:                             ;   in Loop: Header=BB6_3506 Depth=4
	s_delay_alu instid0(SALU_CYCLE_1) | instskip(NEXT) | instid1(SALU_CYCLE_1)
	s_or_b32 exec_lo, exec_lo, s72
	s_mov_b32 s72, exec_lo
	v_cmpx_ne_u16_e32 0, v90
	s_cbranch_execz .LBB6_4582
; %bb.4573:                             ;   in Loop: Header=BB6_3506 Depth=4
	v_bfrev_b32_e32 v0, 1
	s_mov_b32 s73, exec_lo
	v_cmpx_ne_u16_e32 0xff80, v90
	s_cbranch_execz .LBB6_4581
; %bb.4574:                             ;   in Loop: Header=BB6_3506 Depth=4
	v_and_b32_e32 v0, 0x7c, v90
	v_and_b32_e32 v2, 3, v90
	s_delay_alu instid0(VALU_DEP_2) | instskip(SKIP_1) | instid1(SALU_CYCLE_1)
	v_cmp_ne_u32_e32 vcc_lo, 0x7c, v0
                                        ; implicit-def: $vgpr0
	s_and_saveexec_b32 s13, vcc_lo
	s_xor_b32 s13, exec_lo, s13
	s_cbranch_execz .LBB6_4578
; %bb.4575:                             ;   in Loop: Header=BB6_3506 Depth=4
	v_and_b32_e32 v0, 0xff, v90
	s_mov_b32 s74, exec_lo
	s_delay_alu instid0(VALU_DEP_1) | instskip(NEXT) | instid1(VALU_DEP_1)
	v_bfe_u32 v0, v0, 2, 5
	v_cmpx_eq_u32_e32 0, v0
	s_cbranch_execz .LBB6_4577
; %bb.4576:                             ;   in Loop: Header=BB6_3506 Depth=4
	v_clz_i32_u32_e32 v0, v2
	s_delay_alu instid0(VALU_DEP_1) | instskip(SKIP_1) | instid1(VALU_DEP_2)
	v_min_u32_e32 v0, 32, v0
	v_mov_b32_e32 v91, v21
	v_subrev_nc_u32_e32 v2, 29, v0
	v_sub_nc_u32_e32 v0, 30, v0
	s_delay_alu instid0(VALU_DEP_2) | instskip(NEXT) | instid1(VALU_DEP_1)
	v_lshlrev_b64_e32 v[2:3], v2, v[90:91]
	v_and_b32_e32 v2, 3, v2
.LBB6_4577:                             ;   in Loop: Header=BB6_3506 Depth=4
	s_or_b32 exec_lo, exec_lo, s74
	v_bfe_i32 v3, v90, 0, 16
                                        ; implicit-def: $vgpr90
	s_delay_alu instid0(VALU_DEP_1) | instskip(NEXT) | instid1(VALU_DEP_1)
	v_and_b32_e32 v3, 0x80000000, v3
	v_lshl_add_u32 v0, v0, 23, v3
	s_delay_alu instid0(VALU_DEP_1) | instskip(NEXT) | instid1(VALU_DEP_1)
	v_lshl_or_b32 v0, v2, 21, v0
                                        ; implicit-def: $vgpr2
	v_add_nc_u32_e32 v0, 0x38000000, v0
.LBB6_4578:                             ;   in Loop: Header=BB6_3506 Depth=4
	s_and_not1_saveexec_b32 s74, s13
; %bb.4579:                             ;   in Loop: Header=BB6_3506 Depth=4
	v_cmp_lt_i16_e64 s13, -1, v90
	v_mov_b32_e32 v0, 0x7f800000
	v_cmp_eq_u32_e32 vcc_lo, 0, v2
	s_delay_alu instid0(VALU_DEP_2) | instskip(NEXT) | instid1(VALU_DEP_1)
	v_cndmask_b32_e64 v0, 0xff800000, v0, s13
	v_cndmask_b32_e32 v0, 0x7f800001, v0, vcc_lo
; %bb.4580:                             ;   in Loop: Header=BB6_3506 Depth=4
	s_or_b32 exec_lo, exec_lo, s74
.LBB6_4581:                             ;   in Loop: Header=BB6_3506 Depth=4
	s_delay_alu instid0(SALU_CYCLE_1)
	s_or_b32 exec_lo, exec_lo, s73
.LBB6_4582:                             ;   in Loop: Header=BB6_3506 Depth=4
	s_delay_alu instid0(SALU_CYCLE_1) | instskip(NEXT) | instid1(VALU_DEP_1)
	s_or_b32 exec_lo, exec_lo, s72
	v_mul_f32_e32 v0, v1, v0
	v_mov_b32_e32 v3, v21
                                        ; implicit-def: $vgpr53
	s_mov_b32 s13, exec_lo
	s_delay_alu instid0(VALU_DEP_2) | instskip(SKIP_1) | instid1(VALU_DEP_2)
	v_and_b32_e32 v2, 0x7f800000, v0
	v_and_b32_e32 v20, 0x7fffff, v0
	v_cmpx_ne_u64_e32 0x7f800000, v[2:3]
	s_xor_b32 s72, exec_lo, s13
	s_cbranch_execz .LBB6_4600
; %bb.4583:                             ;   in Loop: Header=BB6_3506 Depth=4
	v_dual_mov_b32 v3, v21 :: v_dual_lshrrev_b32 v1, 24, v0
	v_and_b32_e32 v2, 0x7fffffff, v0
                                        ; implicit-def: $vgpr53
	s_mov_b32 s13, exec_lo
	s_delay_alu instid0(VALU_DEP_2) | instskip(NEXT) | instid1(VALU_DEP_2)
	v_and_b32_e32 v25, 0x80, v1
	v_cmpx_gt_u64_e32 0x47600001, v[2:3]
	s_xor_b32 s73, exec_lo, s13
	s_cbranch_execz .LBB6_4597
; %bb.4584:                             ;   in Loop: Header=BB6_3506 Depth=4
	v_mov_b32_e32 v53, 0
	s_mov_b32 s74, exec_lo
	v_cmpx_ne_u32_e32 0, v0
	s_cbranch_execz .LBB6_4596
; %bb.4585:                             ;   in Loop: Header=BB6_3506 Depth=4
	v_bfe_u32 v27, v0, 23, 8
	v_or_b32_e32 v1, 0x800000, v20
	s_delay_alu instid0(VALU_DEP_2) | instskip(SKIP_2) | instid1(VALU_DEP_2)
	v_cmp_gt_u32_e64 s13, 0x72, v27
	v_sub_nc_u32_e32 v0, 0x71, v27
	v_cmp_eq_u32_e32 vcc_lo, 0, v27
	v_cndmask_b32_e64 v0, 0, v0, s13
	s_delay_alu instid0(VALU_DEP_1) | instskip(SKIP_1) | instid1(VALU_DEP_2)
	v_cndmask_b32_e64 v33, v0, 0x70, vcc_lo
	v_cndmask_b32_e32 v0, v1, v20, vcc_lo
	v_dual_mov_b32 v1, v21 :: v_dual_add_nc_u32 v2, 21, v33
	v_add_nc_u32_e32 v20, 20, v33
	s_delay_alu instid0(VALU_DEP_2) | instskip(NEXT) | instid1(VALU_DEP_2)
	v_lshlrev_b64_e64 v[2:3], v2, -1
	v_lshlrev_b64_e64 v[54:55], v20, 1
	s_delay_alu instid0(VALU_DEP_2) | instskip(SKIP_1) | instid1(VALU_DEP_4)
	v_bfi_b32 v2, v2, 0, v0
	v_lshrrev_b64 v[0:1], v33, v[0:1]
	v_bfi_b32 v3, v3, 0, 0
	s_delay_alu instid0(VALU_DEP_1) | instskip(NEXT) | instid1(VALU_DEP_3)
	v_cmp_eq_u64_e64 s13, v[2:3], v[54:55]
	v_mov_b64_e32 v[2:3], v[0:1]
	s_and_saveexec_b32 s75, s13
; %bb.4586:                             ;   in Loop: Header=BB6_3506 Depth=4
	v_bfe_u32 v2, v0, 21, 1
	v_mov_b32_e32 v3, v21
	s_delay_alu instid0(VALU_DEP_1) | instskip(NEXT) | instid1(VALU_DEP_1)
	v_add_nc_u64_e32 v[2:3], v[0:1], v[2:3]
	v_add_nc_u64_e32 v[2:3], -1, v[2:3]
; %bb.4587:                             ;   in Loop: Header=BB6_3506 Depth=4
	s_or_b32 exec_lo, exec_lo, s75
	v_add_nc_u32_e32 v1, 0xffffff81, v27
	s_delay_alu instid0(VALU_DEP_2) | instskip(SKIP_2) | instid1(VALU_DEP_3)
	v_and_b32_e32 v2, 0x1fffff, v2
	v_lshrrev_b32_e32 v3, 23, v0
	s_mov_b32 s13, exec_lo
	v_cndmask_b32_e64 v1, v1, 0xffffff82, vcc_lo
	s_delay_alu instid0(VALU_DEP_3) | instskip(NEXT) | instid1(VALU_DEP_2)
	v_add_nc_u32_e32 v20, v2, v0
                                        ; implicit-def: $vgpr2
	v_add3_u32 v27, v33, v1, v3
                                        ; implicit-def: $vgpr0_vgpr1
	s_delay_alu instid0(VALU_DEP_1) | instskip(NEXT) | instid1(VALU_DEP_1)
	v_add_nc_u32_e32 v3, 14, v27
	v_cmpx_ne_u32_e32 0, v3
	s_xor_b32 s13, exec_lo, s13
; %bb.4588:                             ;   in Loop: Header=BB6_3506 Depth=4
	v_cmp_lt_u64_e32 vcc_lo, 0xffffff, v[20:21]
	v_add_nc_u32_e32 v0, 15, v27
	s_delay_alu instid0(VALU_DEP_1) | instskip(SKIP_1) | instid1(VALU_DEP_1)
	v_cndmask_b32_e32 v2, v3, v0, vcc_lo
	v_cndmask_b32_e64 v0, 0, 1, vcc_lo
	v_lshrrev_b64 v[0:1], v0, v[20:21]
; %bb.4589:                             ;   in Loop: Header=BB6_3506 Depth=4
	s_and_not1_saveexec_b32 s13, s13
; %bb.4590:                             ;   in Loop: Header=BB6_3506 Depth=4
	v_mov_b64_e32 v[0:1], v[20:21]
	v_bfe_u32 v2, v20, 23, 1
; %bb.4591:                             ;   in Loop: Header=BB6_3506 Depth=4
	s_or_b32 exec_lo, exec_lo, s13
	s_delay_alu instid0(VALU_DEP_2) | instskip(NEXT) | instid1(VALU_DEP_2)
	v_lshrrev_b64 v[0:1], 21, v[0:1]
	v_cmp_gt_i32_e32 vcc_lo, 32, v2
	v_cmp_ne_u32_e64 s13, 0, v2
                                        ; implicit-def: $vgpr53
	s_delay_alu instid0(VALU_DEP_3) | instskip(NEXT) | instid1(VALU_DEP_1)
	v_dual_cndmask_b32 v1, 0, v1 :: v_dual_cndmask_b32 v0, 3, v0
	v_cmp_ne_u64_e32 vcc_lo, 0, v[0:1]
	s_or_b32 s13, s13, vcc_lo
	s_delay_alu instid0(SALU_CYCLE_1) | instskip(NEXT) | instid1(SALU_CYCLE_1)
	s_and_saveexec_b32 s75, s13
	s_xor_b32 s13, exec_lo, s75
; %bb.4592:                             ;   in Loop: Header=BB6_3506 Depth=4
	v_min_i32_e32 v1, 31, v2
	s_delay_alu instid0(VALU_DEP_1) | instskip(NEXT) | instid1(VALU_DEP_1)
	v_lshl_or_b32 v1, v1, 2, v25
                                        ; implicit-def: $vgpr25
	v_and_or_b32 v53, v0, 3, v1
; %bb.4593:                             ;   in Loop: Header=BB6_3506 Depth=4
	s_and_not1_saveexec_b32 s13, s13
; %bb.4594:                             ;   in Loop: Header=BB6_3506 Depth=4
	v_mov_b32_e32 v53, v25
; %bb.4595:                             ;   in Loop: Header=BB6_3506 Depth=4
	s_or_b32 exec_lo, exec_lo, s13
.LBB6_4596:                             ;   in Loop: Header=BB6_3506 Depth=4
	s_delay_alu instid0(SALU_CYCLE_1)
	s_or_b32 exec_lo, exec_lo, s74
                                        ; implicit-def: $vgpr25
.LBB6_4597:                             ;   in Loop: Header=BB6_3506 Depth=4
	s_and_not1_saveexec_b32 s13, s73
; %bb.4598:                             ;   in Loop: Header=BB6_3506 Depth=4
	v_or_b32_e32 v53, 0x7b, v25
; %bb.4599:                             ;   in Loop: Header=BB6_3506 Depth=4
	s_or_b32 exec_lo, exec_lo, s13
                                        ; implicit-def: $vgpr0
.LBB6_4600:                             ;   in Loop: Header=BB6_3506 Depth=4
	s_and_not1_saveexec_b32 s13, s72
	s_cbranch_execz .LBB6_4606
; %bb.4601:                             ;   in Loop: Header=BB6_3506 Depth=4
	s_mov_b32 s72, exec_lo
                                        ; implicit-def: $vgpr53
	v_cmpx_ne_u64_e32 0, v[20:21]
	s_xor_b32 s72, exec_lo, s72
; %bb.4602:                             ;   in Loop: Header=BB6_3506 Depth=4
	v_lshrrev_b32_e32 v0, 24, v0
	s_delay_alu instid0(VALU_DEP_1)
	v_or_b32_e32 v53, 0x7f, v0
                                        ; implicit-def: $vgpr0
; %bb.4603:                             ;   in Loop: Header=BB6_3506 Depth=4
	s_and_not1_saveexec_b32 s72, s72
; %bb.4604:                             ;   in Loop: Header=BB6_3506 Depth=4
	v_cmp_lt_i32_e32 vcc_lo, -1, v0
	v_cndmask_b32_e64 v53, -4, 0x7c, vcc_lo
; %bb.4605:                             ;   in Loop: Header=BB6_3506 Depth=4
	s_or_b32 exec_lo, exec_lo, s72
.LBB6_4606:                             ;   in Loop: Header=BB6_3506 Depth=4
	s_delay_alu instid0(SALU_CYCLE_1)
	s_or_b32 exec_lo, exec_lo, s13
	v_dual_mov_b32 v0, 0 :: v_dual_mov_b32 v1, 0
	s_mov_b32 s72, exec_lo
	v_cmpx_ne_u16_e32 0, v88
	s_cbranch_execz .LBB6_4616
; %bb.4607:                             ;   in Loop: Header=BB6_3506 Depth=4
	v_bfrev_b32_e32 v1, 1
	s_mov_b32 s73, exec_lo
	v_cmpx_ne_u16_e32 0xff80, v88
	s_cbranch_execz .LBB6_4615
; %bb.4608:                             ;   in Loop: Header=BB6_3506 Depth=4
	v_and_b32_e32 v1, 0x7c, v88
	v_and_b32_e32 v2, 3, v88
	s_delay_alu instid0(VALU_DEP_2) | instskip(SKIP_1) | instid1(SALU_CYCLE_1)
	v_cmp_ne_u32_e32 vcc_lo, 0x7c, v1
                                        ; implicit-def: $vgpr1
	s_and_saveexec_b32 s13, vcc_lo
	s_xor_b32 s13, exec_lo, s13
	s_cbranch_execz .LBB6_4612
; %bb.4609:                             ;   in Loop: Header=BB6_3506 Depth=4
	v_and_b32_e32 v1, 0xff, v88
	s_mov_b32 s74, exec_lo
	s_delay_alu instid0(VALU_DEP_1) | instskip(NEXT) | instid1(VALU_DEP_1)
	v_bfe_u32 v1, v1, 2, 5
	v_cmpx_eq_u32_e32 0, v1
	s_cbranch_execz .LBB6_4611
; %bb.4610:                             ;   in Loop: Header=BB6_3506 Depth=4
	v_clz_i32_u32_e32 v1, v2
	s_delay_alu instid0(VALU_DEP_1) | instskip(SKIP_1) | instid1(VALU_DEP_2)
	v_min_u32_e32 v1, 32, v1
	v_mov_b32_e32 v89, v21
	v_subrev_nc_u32_e32 v2, 29, v1
	v_sub_nc_u32_e32 v1, 30, v1
	s_delay_alu instid0(VALU_DEP_2) | instskip(NEXT) | instid1(VALU_DEP_1)
	v_lshlrev_b64_e32 v[2:3], v2, v[88:89]
	v_and_b32_e32 v2, 3, v2
.LBB6_4611:                             ;   in Loop: Header=BB6_3506 Depth=4
	s_or_b32 exec_lo, exec_lo, s74
	v_bfe_i32 v3, v88, 0, 16
                                        ; implicit-def: $vgpr88
	s_delay_alu instid0(VALU_DEP_1) | instskip(NEXT) | instid1(VALU_DEP_1)
	v_and_b32_e32 v3, 0x80000000, v3
	v_lshl_add_u32 v1, v1, 23, v3
	s_delay_alu instid0(VALU_DEP_1) | instskip(NEXT) | instid1(VALU_DEP_1)
	v_lshl_or_b32 v1, v2, 21, v1
                                        ; implicit-def: $vgpr2
	v_add_nc_u32_e32 v1, 0x38000000, v1
.LBB6_4612:                             ;   in Loop: Header=BB6_3506 Depth=4
	s_and_not1_saveexec_b32 s74, s13
; %bb.4613:                             ;   in Loop: Header=BB6_3506 Depth=4
	v_cmp_lt_i16_e64 s13, -1, v88
	v_mov_b32_e32 v1, 0x7f800000
	v_cmp_eq_u32_e32 vcc_lo, 0, v2
	s_delay_alu instid0(VALU_DEP_2) | instskip(NEXT) | instid1(VALU_DEP_1)
	v_cndmask_b32_e64 v1, 0xff800000, v1, s13
	v_cndmask_b32_e32 v1, 0x7f800001, v1, vcc_lo
; %bb.4614:                             ;   in Loop: Header=BB6_3506 Depth=4
	s_or_b32 exec_lo, exec_lo, s74
.LBB6_4615:                             ;   in Loop: Header=BB6_3506 Depth=4
	s_delay_alu instid0(SALU_CYCLE_1)
	s_or_b32 exec_lo, exec_lo, s73
.LBB6_4616:                             ;   in Loop: Header=BB6_3506 Depth=4
	s_delay_alu instid0(SALU_CYCLE_1) | instskip(NEXT) | instid1(SALU_CYCLE_1)
	s_or_b32 exec_lo, exec_lo, s72
	s_mov_b32 s72, exec_lo
	v_cmpx_ne_u16_e32 0, v50
	s_cbranch_execz .LBB6_4626
; %bb.4617:                             ;   in Loop: Header=BB6_3506 Depth=4
	v_bfrev_b32_e32 v0, 1
	s_mov_b32 s73, exec_lo
	v_cmpx_ne_u16_e32 0xff80, v50
	s_cbranch_execz .LBB6_4625
; %bb.4618:                             ;   in Loop: Header=BB6_3506 Depth=4
	v_and_b32_e32 v0, 0x7c, v50
	v_and_b32_e32 v2, 3, v50
	s_delay_alu instid0(VALU_DEP_2) | instskip(SKIP_1) | instid1(SALU_CYCLE_1)
	v_cmp_ne_u32_e32 vcc_lo, 0x7c, v0
                                        ; implicit-def: $vgpr0
	s_and_saveexec_b32 s13, vcc_lo
	s_xor_b32 s13, exec_lo, s13
	s_cbranch_execz .LBB6_4622
; %bb.4619:                             ;   in Loop: Header=BB6_3506 Depth=4
	v_and_b32_e32 v0, 0xff, v50
	s_mov_b32 s74, exec_lo
	s_delay_alu instid0(VALU_DEP_1) | instskip(NEXT) | instid1(VALU_DEP_1)
	v_bfe_u32 v0, v0, 2, 5
	v_cmpx_eq_u32_e32 0, v0
	s_cbranch_execz .LBB6_4621
; %bb.4620:                             ;   in Loop: Header=BB6_3506 Depth=4
	v_clz_i32_u32_e32 v0, v2
	s_delay_alu instid0(VALU_DEP_1) | instskip(SKIP_1) | instid1(VALU_DEP_2)
	v_min_u32_e32 v0, 32, v0
	v_mov_b32_e32 v51, v21
	v_subrev_nc_u32_e32 v2, 29, v0
	v_sub_nc_u32_e32 v0, 30, v0
	s_delay_alu instid0(VALU_DEP_2) | instskip(NEXT) | instid1(VALU_DEP_1)
	v_lshlrev_b64_e32 v[2:3], v2, v[50:51]
	v_and_b32_e32 v2, 3, v2
.LBB6_4621:                             ;   in Loop: Header=BB6_3506 Depth=4
	s_or_b32 exec_lo, exec_lo, s74
	v_bfe_i32 v3, v50, 0, 16
                                        ; implicit-def: $vgpr50
	s_delay_alu instid0(VALU_DEP_1) | instskip(NEXT) | instid1(VALU_DEP_1)
	v_and_b32_e32 v3, 0x80000000, v3
	v_lshl_add_u32 v0, v0, 23, v3
	s_delay_alu instid0(VALU_DEP_1) | instskip(NEXT) | instid1(VALU_DEP_1)
	v_lshl_or_b32 v0, v2, 21, v0
                                        ; implicit-def: $vgpr2
	v_add_nc_u32_e32 v0, 0x38000000, v0
.LBB6_4622:                             ;   in Loop: Header=BB6_3506 Depth=4
	s_and_not1_saveexec_b32 s74, s13
; %bb.4623:                             ;   in Loop: Header=BB6_3506 Depth=4
	v_cmp_lt_i16_e64 s13, -1, v50
	v_mov_b32_e32 v0, 0x7f800000
	v_cmp_eq_u32_e32 vcc_lo, 0, v2
	s_delay_alu instid0(VALU_DEP_2) | instskip(NEXT) | instid1(VALU_DEP_1)
	v_cndmask_b32_e64 v0, 0xff800000, v0, s13
	v_cndmask_b32_e32 v0, 0x7f800001, v0, vcc_lo
; %bb.4624:                             ;   in Loop: Header=BB6_3506 Depth=4
	s_or_b32 exec_lo, exec_lo, s74
.LBB6_4625:                             ;   in Loop: Header=BB6_3506 Depth=4
	s_delay_alu instid0(SALU_CYCLE_1)
	s_or_b32 exec_lo, exec_lo, s73
.LBB6_4626:                             ;   in Loop: Header=BB6_3506 Depth=4
	s_delay_alu instid0(SALU_CYCLE_1) | instskip(NEXT) | instid1(VALU_DEP_1)
	s_or_b32 exec_lo, exec_lo, s72
	v_mul_f32_e32 v0, v1, v0
	v_mov_b32_e32 v3, v21
                                        ; implicit-def: $vgpr50
	s_mov_b32 s13, exec_lo
	s_delay_alu instid0(VALU_DEP_2) | instskip(SKIP_1) | instid1(VALU_DEP_2)
	v_and_b32_e32 v2, 0x7f800000, v0
	v_and_b32_e32 v20, 0x7fffff, v0
	v_cmpx_ne_u64_e32 0x7f800000, v[2:3]
	s_xor_b32 s72, exec_lo, s13
	s_cbranch_execz .LBB6_4644
; %bb.4627:                             ;   in Loop: Header=BB6_3506 Depth=4
	v_dual_mov_b32 v3, v21 :: v_dual_lshrrev_b32 v1, 24, v0
	v_and_b32_e32 v2, 0x7fffffff, v0
                                        ; implicit-def: $vgpr50
	s_mov_b32 s13, exec_lo
	s_delay_alu instid0(VALU_DEP_2) | instskip(NEXT) | instid1(VALU_DEP_2)
	v_and_b32_e32 v25, 0x80, v1
	v_cmpx_gt_u64_e32 0x47600001, v[2:3]
	s_xor_b32 s73, exec_lo, s13
	s_cbranch_execz .LBB6_4641
; %bb.4628:                             ;   in Loop: Header=BB6_3506 Depth=4
	v_mov_b32_e32 v50, 0
	s_mov_b32 s74, exec_lo
	v_cmpx_ne_u32_e32 0, v0
	s_cbranch_execz .LBB6_4640
; %bb.4629:                             ;   in Loop: Header=BB6_3506 Depth=4
	v_bfe_u32 v27, v0, 23, 8
	v_or_b32_e32 v1, 0x800000, v20
	s_delay_alu instid0(VALU_DEP_2) | instskip(SKIP_2) | instid1(VALU_DEP_2)
	v_cmp_gt_u32_e64 s13, 0x72, v27
	v_sub_nc_u32_e32 v0, 0x71, v27
	v_cmp_eq_u32_e32 vcc_lo, 0, v27
	v_cndmask_b32_e64 v0, 0, v0, s13
	s_delay_alu instid0(VALU_DEP_1) | instskip(SKIP_1) | instid1(VALU_DEP_2)
	v_cndmask_b32_e64 v33, v0, 0x70, vcc_lo
	v_cndmask_b32_e32 v0, v1, v20, vcc_lo
	v_dual_mov_b32 v1, v21 :: v_dual_add_nc_u32 v2, 21, v33
	v_add_nc_u32_e32 v20, 20, v33
	s_delay_alu instid0(VALU_DEP_2) | instskip(NEXT) | instid1(VALU_DEP_2)
	v_lshlrev_b64_e64 v[2:3], v2, -1
	v_lshlrev_b64_e64 v[50:51], v20, 1
	s_delay_alu instid0(VALU_DEP_2) | instskip(SKIP_1) | instid1(VALU_DEP_4)
	v_bfi_b32 v2, v2, 0, v0
	v_lshrrev_b64 v[0:1], v33, v[0:1]
	v_bfi_b32 v3, v3, 0, 0
	s_delay_alu instid0(VALU_DEP_1) | instskip(NEXT) | instid1(VALU_DEP_3)
	v_cmp_eq_u64_e64 s13, v[2:3], v[50:51]
	v_mov_b64_e32 v[2:3], v[0:1]
	s_and_saveexec_b32 s75, s13
; %bb.4630:                             ;   in Loop: Header=BB6_3506 Depth=4
	v_bfe_u32 v2, v0, 21, 1
	v_mov_b32_e32 v3, v21
	s_delay_alu instid0(VALU_DEP_1) | instskip(NEXT) | instid1(VALU_DEP_1)
	v_add_nc_u64_e32 v[2:3], v[0:1], v[2:3]
	v_add_nc_u64_e32 v[2:3], -1, v[2:3]
; %bb.4631:                             ;   in Loop: Header=BB6_3506 Depth=4
	s_or_b32 exec_lo, exec_lo, s75
	v_add_nc_u32_e32 v1, 0xffffff81, v27
	s_delay_alu instid0(VALU_DEP_2) | instskip(SKIP_2) | instid1(VALU_DEP_3)
	v_and_b32_e32 v2, 0x1fffff, v2
	v_lshrrev_b32_e32 v3, 23, v0
	s_mov_b32 s13, exec_lo
	v_cndmask_b32_e64 v1, v1, 0xffffff82, vcc_lo
	s_delay_alu instid0(VALU_DEP_3) | instskip(NEXT) | instid1(VALU_DEP_2)
	v_add_nc_u32_e32 v20, v2, v0
                                        ; implicit-def: $vgpr2
	v_add3_u32 v27, v33, v1, v3
                                        ; implicit-def: $vgpr0_vgpr1
	s_delay_alu instid0(VALU_DEP_1) | instskip(NEXT) | instid1(VALU_DEP_1)
	v_add_nc_u32_e32 v3, 14, v27
	v_cmpx_ne_u32_e32 0, v3
	s_xor_b32 s13, exec_lo, s13
; %bb.4632:                             ;   in Loop: Header=BB6_3506 Depth=4
	v_cmp_lt_u64_e32 vcc_lo, 0xffffff, v[20:21]
	v_add_nc_u32_e32 v0, 15, v27
	s_delay_alu instid0(VALU_DEP_1) | instskip(SKIP_1) | instid1(VALU_DEP_1)
	v_cndmask_b32_e32 v2, v3, v0, vcc_lo
	v_cndmask_b32_e64 v0, 0, 1, vcc_lo
	v_lshrrev_b64 v[0:1], v0, v[20:21]
; %bb.4633:                             ;   in Loop: Header=BB6_3506 Depth=4
	s_and_not1_saveexec_b32 s13, s13
; %bb.4634:                             ;   in Loop: Header=BB6_3506 Depth=4
	v_mov_b64_e32 v[0:1], v[20:21]
	v_bfe_u32 v2, v20, 23, 1
; %bb.4635:                             ;   in Loop: Header=BB6_3506 Depth=4
	s_or_b32 exec_lo, exec_lo, s13
	s_delay_alu instid0(VALU_DEP_2) | instskip(NEXT) | instid1(VALU_DEP_2)
	v_lshrrev_b64 v[0:1], 21, v[0:1]
	v_cmp_gt_i32_e32 vcc_lo, 32, v2
	v_cmp_ne_u32_e64 s13, 0, v2
                                        ; implicit-def: $vgpr50
	s_delay_alu instid0(VALU_DEP_3) | instskip(NEXT) | instid1(VALU_DEP_1)
	v_dual_cndmask_b32 v1, 0, v1 :: v_dual_cndmask_b32 v0, 3, v0
	v_cmp_ne_u64_e32 vcc_lo, 0, v[0:1]
	s_or_b32 s13, s13, vcc_lo
	s_delay_alu instid0(SALU_CYCLE_1) | instskip(NEXT) | instid1(SALU_CYCLE_1)
	s_and_saveexec_b32 s75, s13
	s_xor_b32 s13, exec_lo, s75
; %bb.4636:                             ;   in Loop: Header=BB6_3506 Depth=4
	v_min_i32_e32 v1, 31, v2
	s_delay_alu instid0(VALU_DEP_1) | instskip(NEXT) | instid1(VALU_DEP_1)
	v_lshl_or_b32 v1, v1, 2, v25
                                        ; implicit-def: $vgpr25
	v_and_or_b32 v50, v0, 3, v1
; %bb.4637:                             ;   in Loop: Header=BB6_3506 Depth=4
	s_and_not1_saveexec_b32 s13, s13
; %bb.4638:                             ;   in Loop: Header=BB6_3506 Depth=4
	v_mov_b32_e32 v50, v25
; %bb.4639:                             ;   in Loop: Header=BB6_3506 Depth=4
	s_or_b32 exec_lo, exec_lo, s13
.LBB6_4640:                             ;   in Loop: Header=BB6_3506 Depth=4
	s_delay_alu instid0(SALU_CYCLE_1)
	s_or_b32 exec_lo, exec_lo, s74
                                        ; implicit-def: $vgpr25
.LBB6_4641:                             ;   in Loop: Header=BB6_3506 Depth=4
	s_and_not1_saveexec_b32 s13, s73
; %bb.4642:                             ;   in Loop: Header=BB6_3506 Depth=4
	v_or_b32_e32 v50, 0x7b, v25
; %bb.4643:                             ;   in Loop: Header=BB6_3506 Depth=4
	s_or_b32 exec_lo, exec_lo, s13
                                        ; implicit-def: $vgpr0
.LBB6_4644:                             ;   in Loop: Header=BB6_3506 Depth=4
	s_and_not1_saveexec_b32 s13, s72
	s_cbranch_execz .LBB6_4650
; %bb.4645:                             ;   in Loop: Header=BB6_3506 Depth=4
	s_mov_b32 s72, exec_lo
                                        ; implicit-def: $vgpr50
	v_cmpx_ne_u64_e32 0, v[20:21]
	s_xor_b32 s72, exec_lo, s72
; %bb.4646:                             ;   in Loop: Header=BB6_3506 Depth=4
	v_lshrrev_b32_e32 v0, 24, v0
	s_delay_alu instid0(VALU_DEP_1)
	v_or_b32_e32 v50, 0x7f, v0
                                        ; implicit-def: $vgpr0
; %bb.4647:                             ;   in Loop: Header=BB6_3506 Depth=4
	s_and_not1_saveexec_b32 s72, s72
; %bb.4648:                             ;   in Loop: Header=BB6_3506 Depth=4
	v_cmp_lt_i32_e32 vcc_lo, -1, v0
	v_cndmask_b32_e64 v50, -4, 0x7c, vcc_lo
; %bb.4649:                             ;   in Loop: Header=BB6_3506 Depth=4
	s_or_b32 exec_lo, exec_lo, s72
.LBB6_4650:                             ;   in Loop: Header=BB6_3506 Depth=4
	s_delay_alu instid0(SALU_CYCLE_1)
	s_or_b32 exec_lo, exec_lo, s13
	v_dual_mov_b32 v0, 0 :: v_dual_mov_b32 v1, 0
	s_mov_b32 s72, exec_lo
	v_cmpx_ne_u16_e32 0, v48
	s_cbranch_execz .LBB6_4660
; %bb.4651:                             ;   in Loop: Header=BB6_3506 Depth=4
	v_bfrev_b32_e32 v1, 1
	s_mov_b32 s73, exec_lo
	v_cmpx_ne_u16_e32 0xff80, v48
	s_cbranch_execz .LBB6_4659
; %bb.4652:                             ;   in Loop: Header=BB6_3506 Depth=4
	v_and_b32_e32 v1, 0x7c, v48
	v_and_b32_e32 v2, 3, v48
	s_delay_alu instid0(VALU_DEP_2) | instskip(SKIP_1) | instid1(SALU_CYCLE_1)
	v_cmp_ne_u32_e32 vcc_lo, 0x7c, v1
                                        ; implicit-def: $vgpr1
	s_and_saveexec_b32 s13, vcc_lo
	s_xor_b32 s13, exec_lo, s13
	s_cbranch_execz .LBB6_4656
; %bb.4653:                             ;   in Loop: Header=BB6_3506 Depth=4
	v_and_b32_e32 v1, 0xff, v48
	s_mov_b32 s74, exec_lo
	s_delay_alu instid0(VALU_DEP_1) | instskip(NEXT) | instid1(VALU_DEP_1)
	v_bfe_u32 v1, v1, 2, 5
	v_cmpx_eq_u32_e32 0, v1
	s_cbranch_execz .LBB6_4655
; %bb.4654:                             ;   in Loop: Header=BB6_3506 Depth=4
	v_clz_i32_u32_e32 v1, v2
	s_delay_alu instid0(VALU_DEP_1) | instskip(SKIP_1) | instid1(VALU_DEP_2)
	v_min_u32_e32 v1, 32, v1
	v_mov_b32_e32 v49, v21
	v_subrev_nc_u32_e32 v2, 29, v1
	v_sub_nc_u32_e32 v1, 30, v1
	s_delay_alu instid0(VALU_DEP_2) | instskip(NEXT) | instid1(VALU_DEP_1)
	v_lshlrev_b64_e32 v[2:3], v2, v[48:49]
	v_and_b32_e32 v2, 3, v2
.LBB6_4655:                             ;   in Loop: Header=BB6_3506 Depth=4
	s_or_b32 exec_lo, exec_lo, s74
	v_bfe_i32 v3, v48, 0, 16
                                        ; implicit-def: $vgpr48
	s_delay_alu instid0(VALU_DEP_1) | instskip(NEXT) | instid1(VALU_DEP_1)
	v_and_b32_e32 v3, 0x80000000, v3
	v_lshl_add_u32 v1, v1, 23, v3
	s_delay_alu instid0(VALU_DEP_1) | instskip(NEXT) | instid1(VALU_DEP_1)
	v_lshl_or_b32 v1, v2, 21, v1
                                        ; implicit-def: $vgpr2
	v_add_nc_u32_e32 v1, 0x38000000, v1
.LBB6_4656:                             ;   in Loop: Header=BB6_3506 Depth=4
	s_and_not1_saveexec_b32 s74, s13
; %bb.4657:                             ;   in Loop: Header=BB6_3506 Depth=4
	v_cmp_lt_i16_e64 s13, -1, v48
	v_mov_b32_e32 v1, 0x7f800000
	v_cmp_eq_u32_e32 vcc_lo, 0, v2
	s_delay_alu instid0(VALU_DEP_2) | instskip(NEXT) | instid1(VALU_DEP_1)
	v_cndmask_b32_e64 v1, 0xff800000, v1, s13
	v_cndmask_b32_e32 v1, 0x7f800001, v1, vcc_lo
; %bb.4658:                             ;   in Loop: Header=BB6_3506 Depth=4
	s_or_b32 exec_lo, exec_lo, s74
.LBB6_4659:                             ;   in Loop: Header=BB6_3506 Depth=4
	s_delay_alu instid0(SALU_CYCLE_1)
	s_or_b32 exec_lo, exec_lo, s73
.LBB6_4660:                             ;   in Loop: Header=BB6_3506 Depth=4
	s_delay_alu instid0(SALU_CYCLE_1) | instskip(NEXT) | instid1(SALU_CYCLE_1)
	s_or_b32 exec_lo, exec_lo, s72
	s_mov_b32 s72, exec_lo
	v_cmpx_ne_u16_e32 0, v38
	s_cbranch_execz .LBB6_4670
; %bb.4661:                             ;   in Loop: Header=BB6_3506 Depth=4
	v_bfrev_b32_e32 v0, 1
	s_mov_b32 s73, exec_lo
	v_cmpx_ne_u16_e32 0xff80, v38
	s_cbranch_execz .LBB6_4669
; %bb.4662:                             ;   in Loop: Header=BB6_3506 Depth=4
	v_and_b32_e32 v0, 0x7c, v38
	v_and_b32_e32 v2, 3, v38
	s_delay_alu instid0(VALU_DEP_2) | instskip(SKIP_1) | instid1(SALU_CYCLE_1)
	v_cmp_ne_u32_e32 vcc_lo, 0x7c, v0
                                        ; implicit-def: $vgpr0
	s_and_saveexec_b32 s13, vcc_lo
	s_xor_b32 s13, exec_lo, s13
	s_cbranch_execz .LBB6_4666
; %bb.4663:                             ;   in Loop: Header=BB6_3506 Depth=4
	v_and_b32_e32 v0, 0xff, v38
	s_mov_b32 s74, exec_lo
	s_delay_alu instid0(VALU_DEP_1) | instskip(NEXT) | instid1(VALU_DEP_1)
	v_bfe_u32 v0, v0, 2, 5
	v_cmpx_eq_u32_e32 0, v0
	s_cbranch_execz .LBB6_4665
; %bb.4664:                             ;   in Loop: Header=BB6_3506 Depth=4
	v_clz_i32_u32_e32 v0, v2
	s_delay_alu instid0(VALU_DEP_1) | instskip(SKIP_1) | instid1(VALU_DEP_2)
	v_min_u32_e32 v0, 32, v0
	v_mov_b32_e32 v39, v21
	v_subrev_nc_u32_e32 v2, 29, v0
	v_sub_nc_u32_e32 v0, 30, v0
	s_delay_alu instid0(VALU_DEP_2) | instskip(NEXT) | instid1(VALU_DEP_1)
	v_lshlrev_b64_e32 v[2:3], v2, v[38:39]
	v_and_b32_e32 v2, 3, v2
.LBB6_4665:                             ;   in Loop: Header=BB6_3506 Depth=4
	s_or_b32 exec_lo, exec_lo, s74
	v_bfe_i32 v3, v38, 0, 16
                                        ; implicit-def: $vgpr38
	s_delay_alu instid0(VALU_DEP_1) | instskip(NEXT) | instid1(VALU_DEP_1)
	v_and_b32_e32 v3, 0x80000000, v3
	v_lshl_add_u32 v0, v0, 23, v3
	s_delay_alu instid0(VALU_DEP_1) | instskip(NEXT) | instid1(VALU_DEP_1)
	v_lshl_or_b32 v0, v2, 21, v0
                                        ; implicit-def: $vgpr2
	v_add_nc_u32_e32 v0, 0x38000000, v0
.LBB6_4666:                             ;   in Loop: Header=BB6_3506 Depth=4
	s_and_not1_saveexec_b32 s74, s13
; %bb.4667:                             ;   in Loop: Header=BB6_3506 Depth=4
	v_cmp_lt_i16_e64 s13, -1, v38
	v_mov_b32_e32 v0, 0x7f800000
	v_cmp_eq_u32_e32 vcc_lo, 0, v2
	s_delay_alu instid0(VALU_DEP_2) | instskip(NEXT) | instid1(VALU_DEP_1)
	v_cndmask_b32_e64 v0, 0xff800000, v0, s13
	v_cndmask_b32_e32 v0, 0x7f800001, v0, vcc_lo
; %bb.4668:                             ;   in Loop: Header=BB6_3506 Depth=4
	s_or_b32 exec_lo, exec_lo, s74
.LBB6_4669:                             ;   in Loop: Header=BB6_3506 Depth=4
	s_delay_alu instid0(SALU_CYCLE_1)
	s_or_b32 exec_lo, exec_lo, s73
.LBB6_4670:                             ;   in Loop: Header=BB6_3506 Depth=4
	s_delay_alu instid0(SALU_CYCLE_1) | instskip(NEXT) | instid1(VALU_DEP_1)
	s_or_b32 exec_lo, exec_lo, s72
	v_mul_f32_e32 v0, v1, v0
	v_mov_b32_e32 v3, v21
                                        ; implicit-def: $vgpr38
	s_mov_b32 s13, exec_lo
	s_delay_alu instid0(VALU_DEP_2) | instskip(SKIP_1) | instid1(VALU_DEP_2)
	v_and_b32_e32 v2, 0x7f800000, v0
	v_and_b32_e32 v20, 0x7fffff, v0
	v_cmpx_ne_u64_e32 0x7f800000, v[2:3]
	s_xor_b32 s72, exec_lo, s13
	s_cbranch_execz .LBB6_4688
; %bb.4671:                             ;   in Loop: Header=BB6_3506 Depth=4
	v_dual_mov_b32 v3, v21 :: v_dual_lshrrev_b32 v1, 24, v0
	v_and_b32_e32 v2, 0x7fffffff, v0
                                        ; implicit-def: $vgpr38
	s_mov_b32 s13, exec_lo
	s_delay_alu instid0(VALU_DEP_2) | instskip(NEXT) | instid1(VALU_DEP_2)
	v_and_b32_e32 v25, 0x80, v1
	v_cmpx_gt_u64_e32 0x47600001, v[2:3]
	s_xor_b32 s73, exec_lo, s13
	s_cbranch_execz .LBB6_4685
; %bb.4672:                             ;   in Loop: Header=BB6_3506 Depth=4
	v_mov_b32_e32 v38, 0
	s_mov_b32 s74, exec_lo
	v_cmpx_ne_u32_e32 0, v0
	s_cbranch_execz .LBB6_4684
; %bb.4673:                             ;   in Loop: Header=BB6_3506 Depth=4
	v_bfe_u32 v27, v0, 23, 8
	v_or_b32_e32 v1, 0x800000, v20
	s_delay_alu instid0(VALU_DEP_2) | instskip(SKIP_2) | instid1(VALU_DEP_2)
	v_cmp_gt_u32_e64 s13, 0x72, v27
	v_sub_nc_u32_e32 v0, 0x71, v27
	v_cmp_eq_u32_e32 vcc_lo, 0, v27
	v_cndmask_b32_e64 v0, 0, v0, s13
	s_delay_alu instid0(VALU_DEP_1) | instskip(SKIP_1) | instid1(VALU_DEP_2)
	v_cndmask_b32_e64 v33, v0, 0x70, vcc_lo
	v_cndmask_b32_e32 v0, v1, v20, vcc_lo
	v_dual_mov_b32 v1, v21 :: v_dual_add_nc_u32 v2, 21, v33
	v_add_nc_u32_e32 v20, 20, v33
	s_delay_alu instid0(VALU_DEP_2) | instskip(NEXT) | instid1(VALU_DEP_2)
	v_lshlrev_b64_e64 v[2:3], v2, -1
	v_lshlrev_b64_e64 v[38:39], v20, 1
	s_delay_alu instid0(VALU_DEP_2) | instskip(SKIP_1) | instid1(VALU_DEP_4)
	v_bfi_b32 v2, v2, 0, v0
	v_lshrrev_b64 v[0:1], v33, v[0:1]
	v_bfi_b32 v3, v3, 0, 0
	s_delay_alu instid0(VALU_DEP_1) | instskip(NEXT) | instid1(VALU_DEP_3)
	v_cmp_eq_u64_e64 s13, v[2:3], v[38:39]
	v_mov_b64_e32 v[2:3], v[0:1]
	s_and_saveexec_b32 s75, s13
; %bb.4674:                             ;   in Loop: Header=BB6_3506 Depth=4
	v_bfe_u32 v2, v0, 21, 1
	v_mov_b32_e32 v3, v21
	s_delay_alu instid0(VALU_DEP_1) | instskip(NEXT) | instid1(VALU_DEP_1)
	v_add_nc_u64_e32 v[2:3], v[0:1], v[2:3]
	v_add_nc_u64_e32 v[2:3], -1, v[2:3]
; %bb.4675:                             ;   in Loop: Header=BB6_3506 Depth=4
	s_or_b32 exec_lo, exec_lo, s75
	v_add_nc_u32_e32 v1, 0xffffff81, v27
	s_delay_alu instid0(VALU_DEP_2) | instskip(SKIP_2) | instid1(VALU_DEP_3)
	v_and_b32_e32 v2, 0x1fffff, v2
	v_lshrrev_b32_e32 v3, 23, v0
	s_mov_b32 s13, exec_lo
	v_cndmask_b32_e64 v1, v1, 0xffffff82, vcc_lo
	s_delay_alu instid0(VALU_DEP_3) | instskip(NEXT) | instid1(VALU_DEP_2)
	v_add_nc_u32_e32 v20, v2, v0
                                        ; implicit-def: $vgpr2
	v_add3_u32 v27, v33, v1, v3
                                        ; implicit-def: $vgpr0_vgpr1
	s_delay_alu instid0(VALU_DEP_1) | instskip(NEXT) | instid1(VALU_DEP_1)
	v_add_nc_u32_e32 v3, 14, v27
	v_cmpx_ne_u32_e32 0, v3
	s_xor_b32 s13, exec_lo, s13
; %bb.4676:                             ;   in Loop: Header=BB6_3506 Depth=4
	v_cmp_lt_u64_e32 vcc_lo, 0xffffff, v[20:21]
	v_add_nc_u32_e32 v0, 15, v27
	s_delay_alu instid0(VALU_DEP_1) | instskip(SKIP_1) | instid1(VALU_DEP_1)
	v_cndmask_b32_e32 v2, v3, v0, vcc_lo
	v_cndmask_b32_e64 v0, 0, 1, vcc_lo
	v_lshrrev_b64 v[0:1], v0, v[20:21]
; %bb.4677:                             ;   in Loop: Header=BB6_3506 Depth=4
	s_and_not1_saveexec_b32 s13, s13
; %bb.4678:                             ;   in Loop: Header=BB6_3506 Depth=4
	v_mov_b64_e32 v[0:1], v[20:21]
	v_bfe_u32 v2, v20, 23, 1
; %bb.4679:                             ;   in Loop: Header=BB6_3506 Depth=4
	s_or_b32 exec_lo, exec_lo, s13
	s_delay_alu instid0(VALU_DEP_2) | instskip(NEXT) | instid1(VALU_DEP_2)
	v_lshrrev_b64 v[0:1], 21, v[0:1]
	v_cmp_gt_i32_e32 vcc_lo, 32, v2
	v_cmp_ne_u32_e64 s13, 0, v2
                                        ; implicit-def: $vgpr38
	s_delay_alu instid0(VALU_DEP_3) | instskip(NEXT) | instid1(VALU_DEP_1)
	v_dual_cndmask_b32 v1, 0, v1 :: v_dual_cndmask_b32 v0, 3, v0
	v_cmp_ne_u64_e32 vcc_lo, 0, v[0:1]
	s_or_b32 s13, s13, vcc_lo
	s_delay_alu instid0(SALU_CYCLE_1) | instskip(NEXT) | instid1(SALU_CYCLE_1)
	s_and_saveexec_b32 s75, s13
	s_xor_b32 s13, exec_lo, s75
; %bb.4680:                             ;   in Loop: Header=BB6_3506 Depth=4
	v_min_i32_e32 v1, 31, v2
	s_delay_alu instid0(VALU_DEP_1) | instskip(NEXT) | instid1(VALU_DEP_1)
	v_lshl_or_b32 v1, v1, 2, v25
                                        ; implicit-def: $vgpr25
	v_and_or_b32 v38, v0, 3, v1
; %bb.4681:                             ;   in Loop: Header=BB6_3506 Depth=4
	s_and_not1_saveexec_b32 s13, s13
; %bb.4682:                             ;   in Loop: Header=BB6_3506 Depth=4
	v_mov_b32_e32 v38, v25
; %bb.4683:                             ;   in Loop: Header=BB6_3506 Depth=4
	s_or_b32 exec_lo, exec_lo, s13
.LBB6_4684:                             ;   in Loop: Header=BB6_3506 Depth=4
	s_delay_alu instid0(SALU_CYCLE_1)
	s_or_b32 exec_lo, exec_lo, s74
                                        ; implicit-def: $vgpr25
.LBB6_4685:                             ;   in Loop: Header=BB6_3506 Depth=4
	s_and_not1_saveexec_b32 s13, s73
; %bb.4686:                             ;   in Loop: Header=BB6_3506 Depth=4
	v_or_b32_e32 v38, 0x7b, v25
; %bb.4687:                             ;   in Loop: Header=BB6_3506 Depth=4
	s_or_b32 exec_lo, exec_lo, s13
                                        ; implicit-def: $vgpr0
.LBB6_4688:                             ;   in Loop: Header=BB6_3506 Depth=4
	s_and_not1_saveexec_b32 s13, s72
	s_cbranch_execz .LBB6_4694
; %bb.4689:                             ;   in Loop: Header=BB6_3506 Depth=4
	s_mov_b32 s72, exec_lo
                                        ; implicit-def: $vgpr38
	v_cmpx_ne_u64_e32 0, v[20:21]
	s_xor_b32 s72, exec_lo, s72
; %bb.4690:                             ;   in Loop: Header=BB6_3506 Depth=4
	v_lshrrev_b32_e32 v0, 24, v0
	s_delay_alu instid0(VALU_DEP_1)
	v_or_b32_e32 v38, 0x7f, v0
                                        ; implicit-def: $vgpr0
; %bb.4691:                             ;   in Loop: Header=BB6_3506 Depth=4
	s_and_not1_saveexec_b32 s72, s72
; %bb.4692:                             ;   in Loop: Header=BB6_3506 Depth=4
	v_cmp_lt_i32_e32 vcc_lo, -1, v0
	v_cndmask_b32_e64 v38, -4, 0x7c, vcc_lo
; %bb.4693:                             ;   in Loop: Header=BB6_3506 Depth=4
	s_or_b32 exec_lo, exec_lo, s72
.LBB6_4694:                             ;   in Loop: Header=BB6_3506 Depth=4
	s_delay_alu instid0(SALU_CYCLE_1)
	s_or_b32 exec_lo, exec_lo, s13
	v_dual_mov_b32 v0, 0 :: v_dual_mov_b32 v1, 0
	s_mov_b32 s72, exec_lo
	v_cmpx_ne_u16_e32 0, v36
	s_cbranch_execz .LBB6_4704
; %bb.4695:                             ;   in Loop: Header=BB6_3506 Depth=4
	v_bfrev_b32_e32 v1, 1
	s_mov_b32 s73, exec_lo
	v_cmpx_ne_u16_e32 0xff80, v36
	s_cbranch_execz .LBB6_4703
; %bb.4696:                             ;   in Loop: Header=BB6_3506 Depth=4
	v_and_b32_e32 v1, 0x7c, v36
	v_and_b32_e32 v2, 3, v36
	s_delay_alu instid0(VALU_DEP_2) | instskip(SKIP_1) | instid1(SALU_CYCLE_1)
	v_cmp_ne_u32_e32 vcc_lo, 0x7c, v1
                                        ; implicit-def: $vgpr1
	s_and_saveexec_b32 s13, vcc_lo
	s_xor_b32 s13, exec_lo, s13
	s_cbranch_execz .LBB6_4700
; %bb.4697:                             ;   in Loop: Header=BB6_3506 Depth=4
	v_and_b32_e32 v1, 0xff, v36
	s_mov_b32 s74, exec_lo
	s_delay_alu instid0(VALU_DEP_1) | instskip(NEXT) | instid1(VALU_DEP_1)
	v_bfe_u32 v1, v1, 2, 5
	v_cmpx_eq_u32_e32 0, v1
	s_cbranch_execz .LBB6_4699
; %bb.4698:                             ;   in Loop: Header=BB6_3506 Depth=4
	v_clz_i32_u32_e32 v1, v2
	s_delay_alu instid0(VALU_DEP_1) | instskip(SKIP_1) | instid1(VALU_DEP_2)
	v_min_u32_e32 v1, 32, v1
	v_mov_b32_e32 v37, v21
	v_subrev_nc_u32_e32 v2, 29, v1
	v_sub_nc_u32_e32 v1, 30, v1
	s_delay_alu instid0(VALU_DEP_2) | instskip(NEXT) | instid1(VALU_DEP_1)
	v_lshlrev_b64_e32 v[2:3], v2, v[36:37]
	v_and_b32_e32 v2, 3, v2
.LBB6_4699:                             ;   in Loop: Header=BB6_3506 Depth=4
	s_or_b32 exec_lo, exec_lo, s74
	v_bfe_i32 v3, v36, 0, 16
                                        ; implicit-def: $vgpr36
	s_delay_alu instid0(VALU_DEP_1) | instskip(NEXT) | instid1(VALU_DEP_1)
	v_and_b32_e32 v3, 0x80000000, v3
	v_lshl_add_u32 v1, v1, 23, v3
	s_delay_alu instid0(VALU_DEP_1) | instskip(NEXT) | instid1(VALU_DEP_1)
	v_lshl_or_b32 v1, v2, 21, v1
                                        ; implicit-def: $vgpr2
	v_add_nc_u32_e32 v1, 0x38000000, v1
.LBB6_4700:                             ;   in Loop: Header=BB6_3506 Depth=4
	s_and_not1_saveexec_b32 s74, s13
; %bb.4701:                             ;   in Loop: Header=BB6_3506 Depth=4
	v_cmp_lt_i16_e64 s13, -1, v36
	v_mov_b32_e32 v1, 0x7f800000
	v_cmp_eq_u32_e32 vcc_lo, 0, v2
	s_delay_alu instid0(VALU_DEP_2) | instskip(NEXT) | instid1(VALU_DEP_1)
	v_cndmask_b32_e64 v1, 0xff800000, v1, s13
	v_cndmask_b32_e32 v1, 0x7f800001, v1, vcc_lo
; %bb.4702:                             ;   in Loop: Header=BB6_3506 Depth=4
	s_or_b32 exec_lo, exec_lo, s74
.LBB6_4703:                             ;   in Loop: Header=BB6_3506 Depth=4
	s_delay_alu instid0(SALU_CYCLE_1)
	s_or_b32 exec_lo, exec_lo, s73
.LBB6_4704:                             ;   in Loop: Header=BB6_3506 Depth=4
	s_delay_alu instid0(SALU_CYCLE_1) | instskip(NEXT) | instid1(SALU_CYCLE_1)
	s_or_b32 exec_lo, exec_lo, s72
	s_mov_b32 s72, exec_lo
	v_cmpx_ne_u16_e32 0, v34
	s_cbranch_execz .LBB6_4714
; %bb.4705:                             ;   in Loop: Header=BB6_3506 Depth=4
	v_bfrev_b32_e32 v0, 1
	s_mov_b32 s73, exec_lo
	v_cmpx_ne_u16_e32 0xff80, v34
	s_cbranch_execz .LBB6_4713
; %bb.4706:                             ;   in Loop: Header=BB6_3506 Depth=4
	v_and_b32_e32 v0, 0x7c, v34
	v_and_b32_e32 v2, 3, v34
	s_delay_alu instid0(VALU_DEP_2) | instskip(SKIP_1) | instid1(SALU_CYCLE_1)
	v_cmp_ne_u32_e32 vcc_lo, 0x7c, v0
                                        ; implicit-def: $vgpr0
	s_and_saveexec_b32 s13, vcc_lo
	s_xor_b32 s13, exec_lo, s13
	s_cbranch_execz .LBB6_4710
; %bb.4707:                             ;   in Loop: Header=BB6_3506 Depth=4
	v_and_b32_e32 v0, 0xff, v34
	s_mov_b32 s74, exec_lo
	s_delay_alu instid0(VALU_DEP_1) | instskip(NEXT) | instid1(VALU_DEP_1)
	v_bfe_u32 v0, v0, 2, 5
	v_cmpx_eq_u32_e32 0, v0
	s_cbranch_execz .LBB6_4709
; %bb.4708:                             ;   in Loop: Header=BB6_3506 Depth=4
	v_clz_i32_u32_e32 v0, v2
	s_delay_alu instid0(VALU_DEP_1) | instskip(SKIP_1) | instid1(VALU_DEP_2)
	v_min_u32_e32 v0, 32, v0
	v_mov_b32_e32 v35, v21
	v_subrev_nc_u32_e32 v2, 29, v0
	v_sub_nc_u32_e32 v0, 30, v0
	s_delay_alu instid0(VALU_DEP_2) | instskip(NEXT) | instid1(VALU_DEP_1)
	v_lshlrev_b64_e32 v[2:3], v2, v[34:35]
	v_and_b32_e32 v2, 3, v2
.LBB6_4709:                             ;   in Loop: Header=BB6_3506 Depth=4
	s_or_b32 exec_lo, exec_lo, s74
	v_bfe_i32 v3, v34, 0, 16
                                        ; implicit-def: $vgpr34
	s_delay_alu instid0(VALU_DEP_1) | instskip(NEXT) | instid1(VALU_DEP_1)
	v_and_b32_e32 v3, 0x80000000, v3
	v_lshl_add_u32 v0, v0, 23, v3
	s_delay_alu instid0(VALU_DEP_1) | instskip(NEXT) | instid1(VALU_DEP_1)
	v_lshl_or_b32 v0, v2, 21, v0
                                        ; implicit-def: $vgpr2
	v_add_nc_u32_e32 v0, 0x38000000, v0
.LBB6_4710:                             ;   in Loop: Header=BB6_3506 Depth=4
	s_and_not1_saveexec_b32 s74, s13
; %bb.4711:                             ;   in Loop: Header=BB6_3506 Depth=4
	v_cmp_lt_i16_e64 s13, -1, v34
	v_mov_b32_e32 v0, 0x7f800000
	v_cmp_eq_u32_e32 vcc_lo, 0, v2
	s_delay_alu instid0(VALU_DEP_2) | instskip(NEXT) | instid1(VALU_DEP_1)
	v_cndmask_b32_e64 v0, 0xff800000, v0, s13
	v_cndmask_b32_e32 v0, 0x7f800001, v0, vcc_lo
; %bb.4712:                             ;   in Loop: Header=BB6_3506 Depth=4
	s_or_b32 exec_lo, exec_lo, s74
.LBB6_4713:                             ;   in Loop: Header=BB6_3506 Depth=4
	s_delay_alu instid0(SALU_CYCLE_1)
	s_or_b32 exec_lo, exec_lo, s73
.LBB6_4714:                             ;   in Loop: Header=BB6_3506 Depth=4
	s_delay_alu instid0(SALU_CYCLE_1) | instskip(NEXT) | instid1(VALU_DEP_1)
	s_or_b32 exec_lo, exec_lo, s72
	v_mul_f32_e32 v0, v1, v0
	v_mov_b32_e32 v3, v21
                                        ; implicit-def: $vgpr34
	s_mov_b32 s13, exec_lo
	s_delay_alu instid0(VALU_DEP_2) | instskip(SKIP_1) | instid1(VALU_DEP_2)
	v_and_b32_e32 v2, 0x7f800000, v0
	v_and_b32_e32 v20, 0x7fffff, v0
	v_cmpx_ne_u64_e32 0x7f800000, v[2:3]
	s_xor_b32 s72, exec_lo, s13
	s_cbranch_execz .LBB6_4732
; %bb.4715:                             ;   in Loop: Header=BB6_3506 Depth=4
	v_dual_mov_b32 v3, v21 :: v_dual_lshrrev_b32 v1, 24, v0
	v_and_b32_e32 v2, 0x7fffffff, v0
                                        ; implicit-def: $vgpr34
	s_mov_b32 s13, exec_lo
	s_delay_alu instid0(VALU_DEP_2) | instskip(NEXT) | instid1(VALU_DEP_2)
	v_and_b32_e32 v25, 0x80, v1
	v_cmpx_gt_u64_e32 0x47600001, v[2:3]
	s_xor_b32 s73, exec_lo, s13
	s_cbranch_execz .LBB6_4729
; %bb.4716:                             ;   in Loop: Header=BB6_3506 Depth=4
	v_mov_b32_e32 v34, 0
	s_mov_b32 s74, exec_lo
	v_cmpx_ne_u32_e32 0, v0
	s_cbranch_execz .LBB6_4728
; %bb.4717:                             ;   in Loop: Header=BB6_3506 Depth=4
	v_bfe_u32 v27, v0, 23, 8
	v_or_b32_e32 v1, 0x800000, v20
	s_delay_alu instid0(VALU_DEP_2) | instskip(SKIP_2) | instid1(VALU_DEP_2)
	v_cmp_gt_u32_e64 s13, 0x72, v27
	v_sub_nc_u32_e32 v0, 0x71, v27
	v_cmp_eq_u32_e32 vcc_lo, 0, v27
	v_cndmask_b32_e64 v0, 0, v0, s13
	s_delay_alu instid0(VALU_DEP_1) | instskip(SKIP_1) | instid1(VALU_DEP_2)
	v_cndmask_b32_e64 v33, v0, 0x70, vcc_lo
	v_cndmask_b32_e32 v0, v1, v20, vcc_lo
	v_dual_mov_b32 v1, v21 :: v_dual_add_nc_u32 v2, 21, v33
	v_add_nc_u32_e32 v20, 20, v33
	s_delay_alu instid0(VALU_DEP_2) | instskip(NEXT) | instid1(VALU_DEP_2)
	v_lshlrev_b64_e64 v[2:3], v2, -1
	v_lshlrev_b64_e64 v[34:35], v20, 1
	s_delay_alu instid0(VALU_DEP_2) | instskip(SKIP_1) | instid1(VALU_DEP_4)
	v_bfi_b32 v2, v2, 0, v0
	v_lshrrev_b64 v[0:1], v33, v[0:1]
	v_bfi_b32 v3, v3, 0, 0
	s_delay_alu instid0(VALU_DEP_1) | instskip(NEXT) | instid1(VALU_DEP_3)
	v_cmp_eq_u64_e64 s13, v[2:3], v[34:35]
	v_mov_b64_e32 v[2:3], v[0:1]
	s_and_saveexec_b32 s75, s13
; %bb.4718:                             ;   in Loop: Header=BB6_3506 Depth=4
	v_bfe_u32 v2, v0, 21, 1
	v_mov_b32_e32 v3, v21
	s_delay_alu instid0(VALU_DEP_1) | instskip(NEXT) | instid1(VALU_DEP_1)
	v_add_nc_u64_e32 v[2:3], v[0:1], v[2:3]
	v_add_nc_u64_e32 v[2:3], -1, v[2:3]
; %bb.4719:                             ;   in Loop: Header=BB6_3506 Depth=4
	s_or_b32 exec_lo, exec_lo, s75
	v_add_nc_u32_e32 v1, 0xffffff81, v27
	s_delay_alu instid0(VALU_DEP_2) | instskip(SKIP_2) | instid1(VALU_DEP_3)
	v_and_b32_e32 v2, 0x1fffff, v2
	v_lshrrev_b32_e32 v3, 23, v0
	s_mov_b32 s13, exec_lo
	v_cndmask_b32_e64 v1, v1, 0xffffff82, vcc_lo
	s_delay_alu instid0(VALU_DEP_3) | instskip(NEXT) | instid1(VALU_DEP_2)
	v_add_nc_u32_e32 v20, v2, v0
                                        ; implicit-def: $vgpr2
	v_add3_u32 v27, v33, v1, v3
                                        ; implicit-def: $vgpr0_vgpr1
	s_delay_alu instid0(VALU_DEP_1) | instskip(NEXT) | instid1(VALU_DEP_1)
	v_add_nc_u32_e32 v3, 14, v27
	v_cmpx_ne_u32_e32 0, v3
	s_xor_b32 s13, exec_lo, s13
; %bb.4720:                             ;   in Loop: Header=BB6_3506 Depth=4
	v_cmp_lt_u64_e32 vcc_lo, 0xffffff, v[20:21]
	v_add_nc_u32_e32 v0, 15, v27
	s_delay_alu instid0(VALU_DEP_1) | instskip(SKIP_1) | instid1(VALU_DEP_1)
	v_cndmask_b32_e32 v2, v3, v0, vcc_lo
	v_cndmask_b32_e64 v0, 0, 1, vcc_lo
	v_lshrrev_b64 v[0:1], v0, v[20:21]
; %bb.4721:                             ;   in Loop: Header=BB6_3506 Depth=4
	s_and_not1_saveexec_b32 s13, s13
; %bb.4722:                             ;   in Loop: Header=BB6_3506 Depth=4
	v_mov_b64_e32 v[0:1], v[20:21]
	v_bfe_u32 v2, v20, 23, 1
; %bb.4723:                             ;   in Loop: Header=BB6_3506 Depth=4
	s_or_b32 exec_lo, exec_lo, s13
	s_delay_alu instid0(VALU_DEP_2) | instskip(NEXT) | instid1(VALU_DEP_2)
	v_lshrrev_b64 v[0:1], 21, v[0:1]
	v_cmp_gt_i32_e32 vcc_lo, 32, v2
	v_cmp_ne_u32_e64 s13, 0, v2
                                        ; implicit-def: $vgpr34
	s_delay_alu instid0(VALU_DEP_3) | instskip(NEXT) | instid1(VALU_DEP_1)
	v_dual_cndmask_b32 v1, 0, v1 :: v_dual_cndmask_b32 v0, 3, v0
	v_cmp_ne_u64_e32 vcc_lo, 0, v[0:1]
	s_or_b32 s13, s13, vcc_lo
	s_delay_alu instid0(SALU_CYCLE_1) | instskip(NEXT) | instid1(SALU_CYCLE_1)
	s_and_saveexec_b32 s75, s13
	s_xor_b32 s13, exec_lo, s75
; %bb.4724:                             ;   in Loop: Header=BB6_3506 Depth=4
	v_min_i32_e32 v1, 31, v2
	s_delay_alu instid0(VALU_DEP_1) | instskip(NEXT) | instid1(VALU_DEP_1)
	v_lshl_or_b32 v1, v1, 2, v25
                                        ; implicit-def: $vgpr25
	v_and_or_b32 v34, v0, 3, v1
; %bb.4725:                             ;   in Loop: Header=BB6_3506 Depth=4
	s_and_not1_saveexec_b32 s13, s13
; %bb.4726:                             ;   in Loop: Header=BB6_3506 Depth=4
	v_mov_b32_e32 v34, v25
; %bb.4727:                             ;   in Loop: Header=BB6_3506 Depth=4
	s_or_b32 exec_lo, exec_lo, s13
.LBB6_4728:                             ;   in Loop: Header=BB6_3506 Depth=4
	s_delay_alu instid0(SALU_CYCLE_1)
	s_or_b32 exec_lo, exec_lo, s74
                                        ; implicit-def: $vgpr25
.LBB6_4729:                             ;   in Loop: Header=BB6_3506 Depth=4
	s_and_not1_saveexec_b32 s13, s73
; %bb.4730:                             ;   in Loop: Header=BB6_3506 Depth=4
	v_or_b32_e32 v34, 0x7b, v25
; %bb.4731:                             ;   in Loop: Header=BB6_3506 Depth=4
	s_or_b32 exec_lo, exec_lo, s13
                                        ; implicit-def: $vgpr0
.LBB6_4732:                             ;   in Loop: Header=BB6_3506 Depth=4
	s_and_not1_saveexec_b32 s13, s72
	s_cbranch_execz .LBB6_4738
; %bb.4733:                             ;   in Loop: Header=BB6_3506 Depth=4
	s_mov_b32 s72, exec_lo
                                        ; implicit-def: $vgpr34
	v_cmpx_ne_u64_e32 0, v[20:21]
	s_xor_b32 s72, exec_lo, s72
; %bb.4734:                             ;   in Loop: Header=BB6_3506 Depth=4
	v_lshrrev_b32_e32 v0, 24, v0
	s_delay_alu instid0(VALU_DEP_1)
	v_or_b32_e32 v34, 0x7f, v0
                                        ; implicit-def: $vgpr0
; %bb.4735:                             ;   in Loop: Header=BB6_3506 Depth=4
	s_and_not1_saveexec_b32 s72, s72
; %bb.4736:                             ;   in Loop: Header=BB6_3506 Depth=4
	v_cmp_lt_i32_e32 vcc_lo, -1, v0
	v_cndmask_b32_e64 v34, -4, 0x7c, vcc_lo
; %bb.4737:                             ;   in Loop: Header=BB6_3506 Depth=4
	s_or_b32 exec_lo, exec_lo, s72
.LBB6_4738:                             ;   in Loop: Header=BB6_3506 Depth=4
	s_delay_alu instid0(SALU_CYCLE_1)
	s_or_b32 exec_lo, exec_lo, s13
	v_dual_mov_b32 v0, 0 :: v_dual_mov_b32 v1, 0
	s_mov_b32 s72, exec_lo
	v_cmpx_ne_u16_e32 0, v32
	s_cbranch_execz .LBB6_4748
; %bb.4739:                             ;   in Loop: Header=BB6_3506 Depth=4
	v_bfrev_b32_e32 v1, 1
	s_mov_b32 s73, exec_lo
	v_cmpx_ne_u16_e32 0xff80, v32
	s_cbranch_execz .LBB6_4747
; %bb.4740:                             ;   in Loop: Header=BB6_3506 Depth=4
	v_and_b32_e32 v1, 0x7c, v32
	v_and_b32_e32 v2, 3, v32
	s_delay_alu instid0(VALU_DEP_2) | instskip(SKIP_1) | instid1(SALU_CYCLE_1)
	v_cmp_ne_u32_e32 vcc_lo, 0x7c, v1
                                        ; implicit-def: $vgpr1
	s_and_saveexec_b32 s13, vcc_lo
	s_xor_b32 s13, exec_lo, s13
	s_cbranch_execz .LBB6_4744
; %bb.4741:                             ;   in Loop: Header=BB6_3506 Depth=4
	v_and_b32_e32 v1, 0xff, v32
	s_mov_b32 s74, exec_lo
	s_delay_alu instid0(VALU_DEP_1) | instskip(NEXT) | instid1(VALU_DEP_1)
	v_bfe_u32 v1, v1, 2, 5
	v_cmpx_eq_u32_e32 0, v1
	s_cbranch_execz .LBB6_4743
; %bb.4742:                             ;   in Loop: Header=BB6_3506 Depth=4
	v_clz_i32_u32_e32 v1, v2
	s_delay_alu instid0(VALU_DEP_1) | instskip(SKIP_1) | instid1(VALU_DEP_2)
	v_min_u32_e32 v1, 32, v1
	v_mov_b32_e32 v33, v21
	v_subrev_nc_u32_e32 v2, 29, v1
	v_sub_nc_u32_e32 v1, 30, v1
	s_delay_alu instid0(VALU_DEP_2) | instskip(NEXT) | instid1(VALU_DEP_1)
	v_lshlrev_b64_e32 v[2:3], v2, v[32:33]
	v_and_b32_e32 v2, 3, v2
.LBB6_4743:                             ;   in Loop: Header=BB6_3506 Depth=4
	s_or_b32 exec_lo, exec_lo, s74
	v_bfe_i32 v3, v32, 0, 16
                                        ; implicit-def: $vgpr32
	s_delay_alu instid0(VALU_DEP_1) | instskip(NEXT) | instid1(VALU_DEP_1)
	v_and_b32_e32 v3, 0x80000000, v3
	v_lshl_add_u32 v1, v1, 23, v3
	s_delay_alu instid0(VALU_DEP_1) | instskip(NEXT) | instid1(VALU_DEP_1)
	v_lshl_or_b32 v1, v2, 21, v1
                                        ; implicit-def: $vgpr2
	v_add_nc_u32_e32 v1, 0x38000000, v1
.LBB6_4744:                             ;   in Loop: Header=BB6_3506 Depth=4
	s_and_not1_saveexec_b32 s74, s13
; %bb.4745:                             ;   in Loop: Header=BB6_3506 Depth=4
	v_cmp_lt_i16_e64 s13, -1, v32
	v_mov_b32_e32 v1, 0x7f800000
	v_cmp_eq_u32_e32 vcc_lo, 0, v2
	s_delay_alu instid0(VALU_DEP_2) | instskip(NEXT) | instid1(VALU_DEP_1)
	v_cndmask_b32_e64 v1, 0xff800000, v1, s13
	v_cndmask_b32_e32 v1, 0x7f800001, v1, vcc_lo
; %bb.4746:                             ;   in Loop: Header=BB6_3506 Depth=4
	s_or_b32 exec_lo, exec_lo, s74
.LBB6_4747:                             ;   in Loop: Header=BB6_3506 Depth=4
	s_delay_alu instid0(SALU_CYCLE_1)
	s_or_b32 exec_lo, exec_lo, s73
.LBB6_4748:                             ;   in Loop: Header=BB6_3506 Depth=4
	s_delay_alu instid0(SALU_CYCLE_1) | instskip(NEXT) | instid1(SALU_CYCLE_1)
	s_or_b32 exec_lo, exec_lo, s72
	s_mov_b32 s72, exec_lo
	v_cmpx_ne_u16_e32 0, v26
	s_cbranch_execz .LBB6_4758
; %bb.4749:                             ;   in Loop: Header=BB6_3506 Depth=4
	v_bfrev_b32_e32 v0, 1
	s_mov_b32 s73, exec_lo
	v_cmpx_ne_u16_e32 0xff80, v26
	s_cbranch_execz .LBB6_4757
; %bb.4750:                             ;   in Loop: Header=BB6_3506 Depth=4
	v_and_b32_e32 v0, 0x7c, v26
	v_and_b32_e32 v2, 3, v26
	s_delay_alu instid0(VALU_DEP_2) | instskip(SKIP_1) | instid1(SALU_CYCLE_1)
	v_cmp_ne_u32_e32 vcc_lo, 0x7c, v0
                                        ; implicit-def: $vgpr0
	s_and_saveexec_b32 s13, vcc_lo
	s_xor_b32 s13, exec_lo, s13
	s_cbranch_execz .LBB6_4754
; %bb.4751:                             ;   in Loop: Header=BB6_3506 Depth=4
	v_and_b32_e32 v0, 0xff, v26
	s_mov_b32 s74, exec_lo
	s_delay_alu instid0(VALU_DEP_1) | instskip(NEXT) | instid1(VALU_DEP_1)
	v_bfe_u32 v0, v0, 2, 5
	v_cmpx_eq_u32_e32 0, v0
	s_cbranch_execz .LBB6_4753
; %bb.4752:                             ;   in Loop: Header=BB6_3506 Depth=4
	v_clz_i32_u32_e32 v0, v2
	s_delay_alu instid0(VALU_DEP_1) | instskip(SKIP_1) | instid1(VALU_DEP_2)
	v_min_u32_e32 v0, 32, v0
	v_mov_b32_e32 v27, v21
	v_subrev_nc_u32_e32 v2, 29, v0
	v_sub_nc_u32_e32 v0, 30, v0
	s_delay_alu instid0(VALU_DEP_2) | instskip(NEXT) | instid1(VALU_DEP_1)
	v_lshlrev_b64_e32 v[2:3], v2, v[26:27]
	v_and_b32_e32 v2, 3, v2
.LBB6_4753:                             ;   in Loop: Header=BB6_3506 Depth=4
	s_or_b32 exec_lo, exec_lo, s74
	v_bfe_i32 v3, v26, 0, 16
                                        ; implicit-def: $vgpr26
	s_delay_alu instid0(VALU_DEP_1) | instskip(NEXT) | instid1(VALU_DEP_1)
	v_and_b32_e32 v3, 0x80000000, v3
	v_lshl_add_u32 v0, v0, 23, v3
	s_delay_alu instid0(VALU_DEP_1) | instskip(NEXT) | instid1(VALU_DEP_1)
	v_lshl_or_b32 v0, v2, 21, v0
                                        ; implicit-def: $vgpr2
	v_add_nc_u32_e32 v0, 0x38000000, v0
.LBB6_4754:                             ;   in Loop: Header=BB6_3506 Depth=4
	s_and_not1_saveexec_b32 s74, s13
; %bb.4755:                             ;   in Loop: Header=BB6_3506 Depth=4
	v_cmp_lt_i16_e64 s13, -1, v26
	v_mov_b32_e32 v0, 0x7f800000
	v_cmp_eq_u32_e32 vcc_lo, 0, v2
	s_delay_alu instid0(VALU_DEP_2) | instskip(NEXT) | instid1(VALU_DEP_1)
	v_cndmask_b32_e64 v0, 0xff800000, v0, s13
	v_cndmask_b32_e32 v0, 0x7f800001, v0, vcc_lo
; %bb.4756:                             ;   in Loop: Header=BB6_3506 Depth=4
	s_or_b32 exec_lo, exec_lo, s74
.LBB6_4757:                             ;   in Loop: Header=BB6_3506 Depth=4
	s_delay_alu instid0(SALU_CYCLE_1)
	s_or_b32 exec_lo, exec_lo, s73
.LBB6_4758:                             ;   in Loop: Header=BB6_3506 Depth=4
	s_delay_alu instid0(SALU_CYCLE_1) | instskip(NEXT) | instid1(VALU_DEP_1)
	s_or_b32 exec_lo, exec_lo, s72
	v_mul_f32_e32 v0, v1, v0
	v_mov_b32_e32 v3, v21
                                        ; implicit-def: $vgpr26
	s_mov_b32 s13, exec_lo
	s_delay_alu instid0(VALU_DEP_2) | instskip(SKIP_1) | instid1(VALU_DEP_2)
	v_and_b32_e32 v2, 0x7f800000, v0
	v_and_b32_e32 v20, 0x7fffff, v0
	v_cmpx_ne_u64_e32 0x7f800000, v[2:3]
	s_xor_b32 s72, exec_lo, s13
	s_cbranch_execz .LBB6_4776
; %bb.4759:                             ;   in Loop: Header=BB6_3506 Depth=4
	v_dual_mov_b32 v3, v21 :: v_dual_lshrrev_b32 v1, 24, v0
	v_and_b32_e32 v2, 0x7fffffff, v0
                                        ; implicit-def: $vgpr26
	s_mov_b32 s13, exec_lo
	s_delay_alu instid0(VALU_DEP_2) | instskip(NEXT) | instid1(VALU_DEP_2)
	v_and_b32_e32 v25, 0x80, v1
	v_cmpx_gt_u64_e32 0x47600001, v[2:3]
	s_xor_b32 s73, exec_lo, s13
	s_cbranch_execz .LBB6_4773
; %bb.4760:                             ;   in Loop: Header=BB6_3506 Depth=4
	v_mov_b32_e32 v26, 0
	s_mov_b32 s74, exec_lo
	v_cmpx_ne_u32_e32 0, v0
	s_cbranch_execz .LBB6_4772
; %bb.4761:                             ;   in Loop: Header=BB6_3506 Depth=4
	v_bfe_u32 v26, v0, 23, 8
	v_or_b32_e32 v1, 0x800000, v20
	s_delay_alu instid0(VALU_DEP_2) | instskip(SKIP_2) | instid1(VALU_DEP_2)
	v_cmp_gt_u32_e64 s13, 0x72, v26
	v_sub_nc_u32_e32 v0, 0x71, v26
	v_cmp_eq_u32_e32 vcc_lo, 0, v26
	v_cndmask_b32_e64 v0, 0, v0, s13
	s_delay_alu instid0(VALU_DEP_1) | instskip(SKIP_1) | instid1(VALU_DEP_2)
	v_cndmask_b32_e64 v27, v0, 0x70, vcc_lo
	v_cndmask_b32_e32 v0, v1, v20, vcc_lo
	v_dual_mov_b32 v1, v21 :: v_dual_add_nc_u32 v2, 21, v27
	v_add_nc_u32_e32 v20, 20, v27
	s_delay_alu instid0(VALU_DEP_2) | instskip(NEXT) | instid1(VALU_DEP_2)
	v_lshlrev_b64_e64 v[2:3], v2, -1
	v_lshlrev_b64_e64 v[32:33], v20, 1
	s_delay_alu instid0(VALU_DEP_2) | instskip(SKIP_1) | instid1(VALU_DEP_4)
	v_bfi_b32 v2, v2, 0, v0
	v_lshrrev_b64 v[0:1], v27, v[0:1]
	v_bfi_b32 v3, v3, 0, 0
	s_delay_alu instid0(VALU_DEP_1) | instskip(NEXT) | instid1(VALU_DEP_3)
	v_cmp_eq_u64_e64 s13, v[2:3], v[32:33]
	v_mov_b64_e32 v[2:3], v[0:1]
	s_and_saveexec_b32 s75, s13
; %bb.4762:                             ;   in Loop: Header=BB6_3506 Depth=4
	v_bfe_u32 v2, v0, 21, 1
	v_mov_b32_e32 v3, v21
	s_delay_alu instid0(VALU_DEP_1) | instskip(NEXT) | instid1(VALU_DEP_1)
	v_add_nc_u64_e32 v[2:3], v[0:1], v[2:3]
	v_add_nc_u64_e32 v[2:3], -1, v[2:3]
; %bb.4763:                             ;   in Loop: Header=BB6_3506 Depth=4
	s_or_b32 exec_lo, exec_lo, s75
	v_add_nc_u32_e32 v1, 0xffffff81, v26
	s_delay_alu instid0(VALU_DEP_2) | instskip(SKIP_2) | instid1(VALU_DEP_3)
	v_and_b32_e32 v2, 0x1fffff, v2
	v_lshrrev_b32_e32 v3, 23, v0
	s_mov_b32 s13, exec_lo
	v_cndmask_b32_e64 v1, v1, 0xffffff82, vcc_lo
	s_delay_alu instid0(VALU_DEP_3) | instskip(NEXT) | instid1(VALU_DEP_2)
	v_add_nc_u32_e32 v20, v2, v0
                                        ; implicit-def: $vgpr2
	v_add3_u32 v26, v27, v1, v3
                                        ; implicit-def: $vgpr0_vgpr1
	s_delay_alu instid0(VALU_DEP_1) | instskip(NEXT) | instid1(VALU_DEP_1)
	v_add_nc_u32_e32 v3, 14, v26
	v_cmpx_ne_u32_e32 0, v3
	s_xor_b32 s13, exec_lo, s13
; %bb.4764:                             ;   in Loop: Header=BB6_3506 Depth=4
	v_cmp_lt_u64_e32 vcc_lo, 0xffffff, v[20:21]
	v_add_nc_u32_e32 v0, 15, v26
	s_delay_alu instid0(VALU_DEP_1) | instskip(SKIP_1) | instid1(VALU_DEP_1)
	v_cndmask_b32_e32 v2, v3, v0, vcc_lo
	v_cndmask_b32_e64 v0, 0, 1, vcc_lo
	v_lshrrev_b64 v[0:1], v0, v[20:21]
; %bb.4765:                             ;   in Loop: Header=BB6_3506 Depth=4
	s_and_not1_saveexec_b32 s13, s13
; %bb.4766:                             ;   in Loop: Header=BB6_3506 Depth=4
	v_mov_b64_e32 v[0:1], v[20:21]
	v_bfe_u32 v2, v20, 23, 1
; %bb.4767:                             ;   in Loop: Header=BB6_3506 Depth=4
	s_or_b32 exec_lo, exec_lo, s13
	s_delay_alu instid0(VALU_DEP_2) | instskip(NEXT) | instid1(VALU_DEP_2)
	v_lshrrev_b64 v[0:1], 21, v[0:1]
	v_cmp_gt_i32_e32 vcc_lo, 32, v2
	v_cmp_ne_u32_e64 s13, 0, v2
                                        ; implicit-def: $vgpr26
	s_delay_alu instid0(VALU_DEP_3) | instskip(NEXT) | instid1(VALU_DEP_1)
	v_dual_cndmask_b32 v1, 0, v1 :: v_dual_cndmask_b32 v0, 3, v0
	v_cmp_ne_u64_e32 vcc_lo, 0, v[0:1]
	s_or_b32 s13, s13, vcc_lo
	s_delay_alu instid0(SALU_CYCLE_1) | instskip(NEXT) | instid1(SALU_CYCLE_1)
	s_and_saveexec_b32 s75, s13
	s_xor_b32 s13, exec_lo, s75
; %bb.4768:                             ;   in Loop: Header=BB6_3506 Depth=4
	v_min_i32_e32 v1, 31, v2
	s_delay_alu instid0(VALU_DEP_1) | instskip(NEXT) | instid1(VALU_DEP_1)
	v_lshl_or_b32 v1, v1, 2, v25
                                        ; implicit-def: $vgpr25
	v_and_or_b32 v26, v0, 3, v1
; %bb.4769:                             ;   in Loop: Header=BB6_3506 Depth=4
	s_and_not1_saveexec_b32 s13, s13
; %bb.4770:                             ;   in Loop: Header=BB6_3506 Depth=4
	v_mov_b32_e32 v26, v25
; %bb.4771:                             ;   in Loop: Header=BB6_3506 Depth=4
	s_or_b32 exec_lo, exec_lo, s13
.LBB6_4772:                             ;   in Loop: Header=BB6_3506 Depth=4
	s_delay_alu instid0(SALU_CYCLE_1)
	s_or_b32 exec_lo, exec_lo, s74
                                        ; implicit-def: $vgpr25
.LBB6_4773:                             ;   in Loop: Header=BB6_3506 Depth=4
	s_and_not1_saveexec_b32 s13, s73
; %bb.4774:                             ;   in Loop: Header=BB6_3506 Depth=4
	v_or_b32_e32 v26, 0x7b, v25
; %bb.4775:                             ;   in Loop: Header=BB6_3506 Depth=4
	s_or_b32 exec_lo, exec_lo, s13
                                        ; implicit-def: $vgpr0
.LBB6_4776:                             ;   in Loop: Header=BB6_3506 Depth=4
	s_and_not1_saveexec_b32 s13, s72
	s_cbranch_execz .LBB6_4782
; %bb.4777:                             ;   in Loop: Header=BB6_3506 Depth=4
	s_mov_b32 s72, exec_lo
                                        ; implicit-def: $vgpr26
	v_cmpx_ne_u64_e32 0, v[20:21]
	s_xor_b32 s72, exec_lo, s72
; %bb.4778:                             ;   in Loop: Header=BB6_3506 Depth=4
	v_lshrrev_b32_e32 v0, 24, v0
	s_delay_alu instid0(VALU_DEP_1)
	v_or_b32_e32 v26, 0x7f, v0
                                        ; implicit-def: $vgpr0
; %bb.4779:                             ;   in Loop: Header=BB6_3506 Depth=4
	s_and_not1_saveexec_b32 s72, s72
; %bb.4780:                             ;   in Loop: Header=BB6_3506 Depth=4
	v_cmp_lt_i32_e32 vcc_lo, -1, v0
	v_cndmask_b32_e64 v26, -4, 0x7c, vcc_lo
; %bb.4781:                             ;   in Loop: Header=BB6_3506 Depth=4
	s_or_b32 exec_lo, exec_lo, s72
.LBB6_4782:                             ;   in Loop: Header=BB6_3506 Depth=4
	s_delay_alu instid0(SALU_CYCLE_1)
	s_or_b32 exec_lo, exec_lo, s13
	scratch_load_b64 v[2:3], off, s33 offset:236 ; 8-byte Folded Reload
	v_dual_mov_b32 v0, 0 :: v_dual_mov_b32 v1, 0
	s_mov_b32 s72, exec_lo
	s_wait_loadcnt 0x0
	s_wait_xcnt 0x0
	v_cmpx_ne_u16_e32 0, v2
	s_cbranch_execz .LBB6_4792
; %bb.4783:                             ;   in Loop: Header=BB6_3506 Depth=4
	v_bfrev_b32_e32 v1, 1
	s_mov_b32 s73, exec_lo
	v_cmpx_ne_u16_e32 0xff80, v2
	s_cbranch_execz .LBB6_4791
; %bb.4784:                             ;   in Loop: Header=BB6_3506 Depth=4
	v_and_b32_e32 v1, 0x7c, v2
	v_and_b32_e32 v2, 3, v2
	s_delay_alu instid0(VALU_DEP_2) | instskip(SKIP_1) | instid1(SALU_CYCLE_1)
	v_cmp_ne_u32_e32 vcc_lo, 0x7c, v1
                                        ; implicit-def: $vgpr1
	s_and_saveexec_b32 s13, vcc_lo
	s_xor_b32 s13, exec_lo, s13
	s_cbranch_execz .LBB6_4788
; %bb.4785:                             ;   in Loop: Header=BB6_3506 Depth=4
	scratch_load_b64 v[24:25], off, s33 offset:236 ; 8-byte Folded Reload
	s_mov_b32 s74, exec_lo
	s_wait_loadcnt 0x0
	v_and_b32_e32 v1, 0xff, v24
	s_delay_alu instid0(VALU_DEP_1) | instskip(SKIP_1) | instid1(VALU_DEP_1)
	v_bfe_u32 v1, v1, 2, 5
	s_wait_xcnt 0x0
	v_cmpx_eq_u32_e32 0, v1
	s_cbranch_execz .LBB6_4787
; %bb.4786:                             ;   in Loop: Header=BB6_3506 Depth=4
	v_clz_i32_u32_e32 v1, v2
	s_delay_alu instid0(VALU_DEP_1) | instskip(SKIP_1) | instid1(VALU_DEP_2)
	v_min_u32_e32 v1, 32, v1
	v_mov_b32_e32 v25, v21
	v_subrev_nc_u32_e32 v2, 29, v1
	v_sub_nc_u32_e32 v1, 30, v1
	s_delay_alu instid0(VALU_DEP_2) | instskip(NEXT) | instid1(VALU_DEP_1)
	v_lshlrev_b64_e32 v[2:3], v2, v[24:25]
	v_and_b32_e32 v2, 3, v2
.LBB6_4787:                             ;   in Loop: Header=BB6_3506 Depth=4
	s_or_b32 exec_lo, exec_lo, s74
	v_bfe_i32 v3, v24, 0, 16
                                        ; implicit-def: $vgpr20
	scratch_store_b64 off, v[20:21], s33 offset:236 ; 8-byte Folded Spill
	v_and_b32_e32 v3, 0x80000000, v3
	s_delay_alu instid0(VALU_DEP_1) | instskip(NEXT) | instid1(VALU_DEP_1)
	v_lshl_add_u32 v1, v1, 23, v3
	v_lshl_or_b32 v1, v2, 21, v1
                                        ; implicit-def: $vgpr2
	s_delay_alu instid0(VALU_DEP_1)
	v_add_nc_u32_e32 v1, 0x38000000, v1
.LBB6_4788:                             ;   in Loop: Header=BB6_3506 Depth=4
	s_wait_xcnt 0x0
	s_and_not1_saveexec_b32 s74, s13
	s_cbranch_execz .LBB6_4790
; %bb.4789:                             ;   in Loop: Header=BB6_3506 Depth=4
	v_cmp_eq_u32_e32 vcc_lo, 0, v2
	scratch_load_b64 v[2:3], off, s33 offset:236 th:TH_LOAD_LU ; 8-byte Folded Reload
	v_mov_b32_e32 v1, 0x7f800000
	s_wait_loadcnt 0x0
	v_cmp_lt_i16_e64 s13, -1, v2
	s_delay_alu instid0(VALU_DEP_1) | instskip(NEXT) | instid1(VALU_DEP_1)
	v_cndmask_b32_e64 v1, 0xff800000, v1, s13
	v_cndmask_b32_e32 v1, 0x7f800001, v1, vcc_lo
.LBB6_4790:                             ;   in Loop: Header=BB6_3506 Depth=4
	s_wait_xcnt 0x0
	s_or_b32 exec_lo, exec_lo, s74
.LBB6_4791:                             ;   in Loop: Header=BB6_3506 Depth=4
	s_delay_alu instid0(SALU_CYCLE_1)
	s_or_b32 exec_lo, exec_lo, s73
.LBB6_4792:                             ;   in Loop: Header=BB6_3506 Depth=4
	s_delay_alu instid0(SALU_CYCLE_1)
	s_or_b32 exec_lo, exec_lo, s72
	scratch_load_b64 v[2:3], off, s33 offset:228 ; 8-byte Folded Reload
	s_mov_b32 s13, exec_lo
	s_wait_loadcnt 0x0
	s_wait_xcnt 0x0
	v_cmpx_ne_u16_e32 0, v2
	s_cbranch_execz .LBB6_4802
; %bb.4793:                             ;   in Loop: Header=BB6_3506 Depth=4
	v_bfrev_b32_e32 v0, 1
	s_mov_b32 s72, exec_lo
	v_cmpx_ne_u16_e32 0xff80, v2
	s_cbranch_execz .LBB6_4801
; %bb.4794:                             ;   in Loop: Header=BB6_3506 Depth=4
	v_and_b32_e32 v0, 0x7c, v2
	v_and_b32_e32 v2, 3, v2
	s_delay_alu instid0(VALU_DEP_2) | instskip(SKIP_1) | instid1(SALU_CYCLE_1)
	v_cmp_ne_u32_e32 vcc_lo, 0x7c, v0
                                        ; implicit-def: $vgpr0
	s_and_saveexec_b32 s73, vcc_lo
	s_xor_b32 s73, exec_lo, s73
	s_cbranch_execz .LBB6_4798
; %bb.4795:                             ;   in Loop: Header=BB6_3506 Depth=4
	scratch_load_b64 v[24:25], off, s33 offset:228 ; 8-byte Folded Reload
	s_mov_b32 s74, exec_lo
	s_wait_loadcnt 0x0
	v_and_b32_e32 v0, 0xff, v24
	s_delay_alu instid0(VALU_DEP_1) | instskip(SKIP_1) | instid1(VALU_DEP_1)
	v_bfe_u32 v0, v0, 2, 5
	s_wait_xcnt 0x0
	v_cmpx_eq_u32_e32 0, v0
	s_cbranch_execz .LBB6_4797
; %bb.4796:                             ;   in Loop: Header=BB6_3506 Depth=4
	v_clz_i32_u32_e32 v0, v2
	s_delay_alu instid0(VALU_DEP_1) | instskip(SKIP_1) | instid1(VALU_DEP_2)
	v_min_u32_e32 v0, 32, v0
	v_mov_b32_e32 v25, v21
	v_subrev_nc_u32_e32 v2, 29, v0
	v_sub_nc_u32_e32 v0, 30, v0
	s_delay_alu instid0(VALU_DEP_2) | instskip(NEXT) | instid1(VALU_DEP_1)
	v_lshlrev_b64_e32 v[2:3], v2, v[24:25]
	v_and_b32_e32 v2, 3, v2
.LBB6_4797:                             ;   in Loop: Header=BB6_3506 Depth=4
	s_or_b32 exec_lo, exec_lo, s74
	v_bfe_i32 v3, v24, 0, 16
                                        ; implicit-def: $vgpr20
	scratch_store_b64 off, v[20:21], s33 offset:228 ; 8-byte Folded Spill
	v_and_b32_e32 v3, 0x80000000, v3
	s_delay_alu instid0(VALU_DEP_1) | instskip(NEXT) | instid1(VALU_DEP_1)
	v_lshl_add_u32 v0, v0, 23, v3
	v_lshl_or_b32 v0, v2, 21, v0
                                        ; implicit-def: $vgpr2
	s_delay_alu instid0(VALU_DEP_1)
	v_add_nc_u32_e32 v0, 0x38000000, v0
.LBB6_4798:                             ;   in Loop: Header=BB6_3506 Depth=4
	s_wait_xcnt 0x0
	s_and_not1_saveexec_b32 s73, s73
	s_cbranch_execz .LBB6_4800
; %bb.4799:                             ;   in Loop: Header=BB6_3506 Depth=4
	scratch_load_b64 v[24:25], off, s33 offset:228 th:TH_LOAD_LU ; 8-byte Folded Reload
	v_mov_b32_e32 v0, 0x7f800000
	s_wait_loadcnt 0x0
	v_cmp_lt_i16_e32 vcc_lo, -1, v24
	s_delay_alu instid0(VALU_DEP_2) | instskip(SKIP_1) | instid1(VALU_DEP_2)
	v_cndmask_b32_e32 v0, 0xff800000, v0, vcc_lo
	v_cmp_eq_u32_e32 vcc_lo, 0, v2
	v_cndmask_b32_e32 v0, 0x7f800001, v0, vcc_lo
.LBB6_4800:                             ;   in Loop: Header=BB6_3506 Depth=4
	s_wait_xcnt 0x0
	s_or_b32 exec_lo, exec_lo, s73
.LBB6_4801:                             ;   in Loop: Header=BB6_3506 Depth=4
	s_delay_alu instid0(SALU_CYCLE_1)
	s_or_b32 exec_lo, exec_lo, s72
.LBB6_4802:                             ;   in Loop: Header=BB6_3506 Depth=4
	s_delay_alu instid0(SALU_CYCLE_1) | instskip(SKIP_3) | instid1(VALU_DEP_2)
	s_or_b32 exec_lo, exec_lo, s13
	v_mul_f32_e32 v0, v1, v0
	v_mov_b32_e32 v3, v21
                                        ; implicit-def: $vgpr24
	s_mov_b32 s13, exec_lo
	v_and_b32_e32 v2, 0x7f800000, v0
	v_and_b32_e32 v20, 0x7fffff, v0
	s_delay_alu instid0(VALU_DEP_2)
	v_cmpx_ne_u64_e32 0x7f800000, v[2:3]
	s_xor_b32 s72, exec_lo, s13
	s_cbranch_execz .LBB6_4820
; %bb.4803:                             ;   in Loop: Header=BB6_3506 Depth=4
	v_dual_mov_b32 v3, v21 :: v_dual_lshrrev_b32 v1, 24, v0
	v_and_b32_e32 v2, 0x7fffffff, v0
                                        ; implicit-def: $vgpr24
	s_mov_b32 s13, exec_lo
	s_delay_alu instid0(VALU_DEP_2) | instskip(NEXT) | instid1(VALU_DEP_2)
	v_and_b32_e32 v25, 0x80, v1
	v_cmpx_gt_u64_e32 0x47600001, v[2:3]
	s_xor_b32 s73, exec_lo, s13
	s_cbranch_execz .LBB6_4817
; %bb.4804:                             ;   in Loop: Header=BB6_3506 Depth=4
	v_mov_b32_e32 v24, 0
	s_mov_b32 s74, exec_lo
	v_cmpx_ne_u32_e32 0, v0
	s_cbranch_execz .LBB6_4816
; %bb.4805:                             ;   in Loop: Header=BB6_3506 Depth=4
	v_bfe_u32 v24, v0, 23, 8
	v_or_b32_e32 v1, 0x800000, v20
	s_delay_alu instid0(VALU_DEP_2) | instskip(SKIP_2) | instid1(VALU_DEP_2)
	v_cmp_gt_u32_e64 s13, 0x72, v24
	v_sub_nc_u32_e32 v0, 0x71, v24
	v_cmp_eq_u32_e32 vcc_lo, 0, v24
	v_cndmask_b32_e64 v0, 0, v0, s13
	s_delay_alu instid0(VALU_DEP_1) | instskip(SKIP_1) | instid1(VALU_DEP_2)
	v_cndmask_b32_e64 v27, v0, 0x70, vcc_lo
	v_cndmask_b32_e32 v0, v1, v20, vcc_lo
	v_dual_mov_b32 v1, v21 :: v_dual_add_nc_u32 v2, 21, v27
	v_add_nc_u32_e32 v20, 20, v27
	s_delay_alu instid0(VALU_DEP_2) | instskip(NEXT) | instid1(VALU_DEP_2)
	v_lshlrev_b64_e64 v[2:3], v2, -1
	v_lshlrev_b64_e64 v[32:33], v20, 1
	s_delay_alu instid0(VALU_DEP_2) | instskip(SKIP_1) | instid1(VALU_DEP_4)
	v_bfi_b32 v2, v2, 0, v0
	v_lshrrev_b64 v[0:1], v27, v[0:1]
	v_bfi_b32 v3, v3, 0, 0
	s_delay_alu instid0(VALU_DEP_1) | instskip(NEXT) | instid1(VALU_DEP_3)
	v_cmp_eq_u64_e64 s13, v[2:3], v[32:33]
	v_mov_b64_e32 v[2:3], v[0:1]
	s_and_saveexec_b32 s75, s13
; %bb.4806:                             ;   in Loop: Header=BB6_3506 Depth=4
	v_bfe_u32 v2, v0, 21, 1
	v_mov_b32_e32 v3, v21
	s_delay_alu instid0(VALU_DEP_1) | instskip(NEXT) | instid1(VALU_DEP_1)
	v_add_nc_u64_e32 v[2:3], v[0:1], v[2:3]
	v_add_nc_u64_e32 v[2:3], -1, v[2:3]
; %bb.4807:                             ;   in Loop: Header=BB6_3506 Depth=4
	s_or_b32 exec_lo, exec_lo, s75
	v_add_nc_u32_e32 v1, 0xffffff81, v24
	s_delay_alu instid0(VALU_DEP_2) | instskip(SKIP_2) | instid1(VALU_DEP_3)
	v_and_b32_e32 v2, 0x1fffff, v2
	v_lshrrev_b32_e32 v3, 23, v0
	s_mov_b32 s13, exec_lo
	v_cndmask_b32_e64 v1, v1, 0xffffff82, vcc_lo
	s_delay_alu instid0(VALU_DEP_3) | instskip(NEXT) | instid1(VALU_DEP_2)
	v_add_nc_u32_e32 v20, v2, v0
                                        ; implicit-def: $vgpr2
	v_add3_u32 v24, v27, v1, v3
                                        ; implicit-def: $vgpr0_vgpr1
	s_delay_alu instid0(VALU_DEP_1) | instskip(NEXT) | instid1(VALU_DEP_1)
	v_add_nc_u32_e32 v3, 14, v24
	v_cmpx_ne_u32_e32 0, v3
	s_xor_b32 s13, exec_lo, s13
; %bb.4808:                             ;   in Loop: Header=BB6_3506 Depth=4
	v_cmp_lt_u64_e32 vcc_lo, 0xffffff, v[20:21]
	v_add_nc_u32_e32 v0, 15, v24
	s_delay_alu instid0(VALU_DEP_1) | instskip(SKIP_1) | instid1(VALU_DEP_1)
	v_cndmask_b32_e32 v2, v3, v0, vcc_lo
	v_cndmask_b32_e64 v0, 0, 1, vcc_lo
	v_lshrrev_b64 v[0:1], v0, v[20:21]
; %bb.4809:                             ;   in Loop: Header=BB6_3506 Depth=4
	s_and_not1_saveexec_b32 s13, s13
; %bb.4810:                             ;   in Loop: Header=BB6_3506 Depth=4
	v_mov_b64_e32 v[0:1], v[20:21]
	v_bfe_u32 v2, v20, 23, 1
; %bb.4811:                             ;   in Loop: Header=BB6_3506 Depth=4
	s_or_b32 exec_lo, exec_lo, s13
	s_delay_alu instid0(VALU_DEP_2) | instskip(NEXT) | instid1(VALU_DEP_2)
	v_lshrrev_b64 v[0:1], 21, v[0:1]
	v_cmp_gt_i32_e32 vcc_lo, 32, v2
	v_cmp_ne_u32_e64 s13, 0, v2
                                        ; implicit-def: $vgpr24
	s_delay_alu instid0(VALU_DEP_3) | instskip(NEXT) | instid1(VALU_DEP_1)
	v_dual_cndmask_b32 v1, 0, v1 :: v_dual_cndmask_b32 v0, 3, v0
	v_cmp_ne_u64_e32 vcc_lo, 0, v[0:1]
	s_or_b32 s13, s13, vcc_lo
	s_delay_alu instid0(SALU_CYCLE_1) | instskip(NEXT) | instid1(SALU_CYCLE_1)
	s_and_saveexec_b32 s75, s13
	s_xor_b32 s13, exec_lo, s75
; %bb.4812:                             ;   in Loop: Header=BB6_3506 Depth=4
	v_min_i32_e32 v1, 31, v2
	s_delay_alu instid0(VALU_DEP_1) | instskip(NEXT) | instid1(VALU_DEP_1)
	v_lshl_or_b32 v1, v1, 2, v25
                                        ; implicit-def: $vgpr25
	v_and_or_b32 v24, v0, 3, v1
; %bb.4813:                             ;   in Loop: Header=BB6_3506 Depth=4
	s_and_not1_saveexec_b32 s13, s13
; %bb.4814:                             ;   in Loop: Header=BB6_3506 Depth=4
	v_mov_b32_e32 v24, v25
; %bb.4815:                             ;   in Loop: Header=BB6_3506 Depth=4
	s_or_b32 exec_lo, exec_lo, s13
.LBB6_4816:                             ;   in Loop: Header=BB6_3506 Depth=4
	s_delay_alu instid0(SALU_CYCLE_1)
	s_or_b32 exec_lo, exec_lo, s74
                                        ; implicit-def: $vgpr25
.LBB6_4817:                             ;   in Loop: Header=BB6_3506 Depth=4
	s_and_not1_saveexec_b32 s13, s73
; %bb.4818:                             ;   in Loop: Header=BB6_3506 Depth=4
	v_or_b32_e32 v24, 0x7b, v25
; %bb.4819:                             ;   in Loop: Header=BB6_3506 Depth=4
	s_or_b32 exec_lo, exec_lo, s13
                                        ; implicit-def: $vgpr0
.LBB6_4820:                             ;   in Loop: Header=BB6_3506 Depth=4
	s_and_not1_saveexec_b32 s13, s72
	s_cbranch_execz .LBB6_4826
; %bb.4821:                             ;   in Loop: Header=BB6_3506 Depth=4
	s_mov_b32 s72, exec_lo
                                        ; implicit-def: $vgpr24
	v_cmpx_ne_u64_e32 0, v[20:21]
	s_xor_b32 s72, exec_lo, s72
; %bb.4822:                             ;   in Loop: Header=BB6_3506 Depth=4
	v_lshrrev_b32_e32 v0, 24, v0
	s_delay_alu instid0(VALU_DEP_1)
	v_or_b32_e32 v24, 0x7f, v0
                                        ; implicit-def: $vgpr0
; %bb.4823:                             ;   in Loop: Header=BB6_3506 Depth=4
	s_and_not1_saveexec_b32 s72, s72
; %bb.4824:                             ;   in Loop: Header=BB6_3506 Depth=4
	v_cmp_lt_i32_e32 vcc_lo, -1, v0
	v_cndmask_b32_e64 v24, -4, 0x7c, vcc_lo
; %bb.4825:                             ;   in Loop: Header=BB6_3506 Depth=4
	s_or_b32 exec_lo, exec_lo, s72
.LBB6_4826:                             ;   in Loop: Header=BB6_3506 Depth=4
	s_delay_alu instid0(SALU_CYCLE_1)
	s_or_b32 exec_lo, exec_lo, s13
	scratch_load_b64 v[2:3], off, s33 offset:220 ; 8-byte Folded Reload
	v_dual_mov_b32 v0, 0 :: v_dual_mov_b32 v1, 0
	s_mov_b32 s13, exec_lo
	s_wait_loadcnt 0x0
	s_wait_xcnt 0x0
	v_cmpx_ne_u16_e32 0, v2
	s_cbranch_execz .LBB6_4836
; %bb.4827:                             ;   in Loop: Header=BB6_3506 Depth=4
	v_bfrev_b32_e32 v1, 1
	s_mov_b32 s72, exec_lo
	v_cmpx_ne_u16_e32 0xff80, v2
	s_cbranch_execz .LBB6_4835
; %bb.4828:                             ;   in Loop: Header=BB6_3506 Depth=4
	v_and_b32_e32 v1, 0x7c, v2
	v_and_b32_e32 v2, 3, v2
	s_delay_alu instid0(VALU_DEP_2) | instskip(SKIP_1) | instid1(SALU_CYCLE_1)
	v_cmp_ne_u32_e32 vcc_lo, 0x7c, v1
                                        ; implicit-def: $vgpr1
	s_and_saveexec_b32 s73, vcc_lo
	s_xor_b32 s73, exec_lo, s73
	s_cbranch_execz .LBB6_4832
; %bb.4829:                             ;   in Loop: Header=BB6_3506 Depth=4
	scratch_load_b64 v[32:33], off, s33 offset:220 ; 8-byte Folded Reload
	s_mov_b32 s74, exec_lo
	s_wait_loadcnt 0x0
	v_and_b32_e32 v1, 0xff, v32
	s_delay_alu instid0(VALU_DEP_1) | instskip(SKIP_1) | instid1(VALU_DEP_1)
	v_bfe_u32 v1, v1, 2, 5
	s_wait_xcnt 0x0
	v_cmpx_eq_u32_e32 0, v1
	s_cbranch_execz .LBB6_4831
; %bb.4830:                             ;   in Loop: Header=BB6_3506 Depth=4
	v_clz_i32_u32_e32 v1, v2
	s_delay_alu instid0(VALU_DEP_1) | instskip(SKIP_1) | instid1(VALU_DEP_2)
	v_min_u32_e32 v1, 32, v1
	v_mov_b32_e32 v33, v21
	v_subrev_nc_u32_e32 v2, 29, v1
	v_sub_nc_u32_e32 v1, 30, v1
	s_delay_alu instid0(VALU_DEP_2) | instskip(NEXT) | instid1(VALU_DEP_1)
	v_lshlrev_b64_e32 v[2:3], v2, v[32:33]
	v_and_b32_e32 v2, 3, v2
.LBB6_4831:                             ;   in Loop: Header=BB6_3506 Depth=4
	s_or_b32 exec_lo, exec_lo, s74
	v_bfe_i32 v3, v32, 0, 16
                                        ; implicit-def: $vgpr20
	scratch_store_b64 off, v[20:21], s33 offset:220 ; 8-byte Folded Spill
	v_and_b32_e32 v3, 0x80000000, v3
	s_delay_alu instid0(VALU_DEP_1) | instskip(NEXT) | instid1(VALU_DEP_1)
	v_lshl_add_u32 v1, v1, 23, v3
	v_lshl_or_b32 v1, v2, 21, v1
                                        ; implicit-def: $vgpr2
	s_delay_alu instid0(VALU_DEP_1)
	v_add_nc_u32_e32 v1, 0x38000000, v1
.LBB6_4832:                             ;   in Loop: Header=BB6_3506 Depth=4
	s_wait_xcnt 0x0
	s_and_not1_saveexec_b32 s73, s73
	s_cbranch_execz .LBB6_4834
; %bb.4833:                             ;   in Loop: Header=BB6_3506 Depth=4
	scratch_load_b64 v[32:33], off, s33 offset:220 th:TH_LOAD_LU ; 8-byte Folded Reload
	v_mov_b32_e32 v1, 0x7f800000
	s_wait_loadcnt 0x0
	v_cmp_lt_i16_e32 vcc_lo, -1, v32
	s_delay_alu instid0(VALU_DEP_2) | instskip(SKIP_1) | instid1(VALU_DEP_2)
	v_cndmask_b32_e32 v1, 0xff800000, v1, vcc_lo
	v_cmp_eq_u32_e32 vcc_lo, 0, v2
	v_cndmask_b32_e32 v1, 0x7f800001, v1, vcc_lo
.LBB6_4834:                             ;   in Loop: Header=BB6_3506 Depth=4
	s_wait_xcnt 0x0
	s_or_b32 exec_lo, exec_lo, s73
.LBB6_4835:                             ;   in Loop: Header=BB6_3506 Depth=4
	s_delay_alu instid0(SALU_CYCLE_1)
	s_or_b32 exec_lo, exec_lo, s72
.LBB6_4836:                             ;   in Loop: Header=BB6_3506 Depth=4
	s_delay_alu instid0(SALU_CYCLE_1)
	s_or_b32 exec_lo, exec_lo, s13
	scratch_load_b64 v[2:3], off, s33 offset:212 ; 8-byte Folded Reload
	s_mov_b32 s13, exec_lo
	s_wait_loadcnt 0x0
	s_wait_xcnt 0x0
	v_cmpx_ne_u16_e32 0, v2
	s_cbranch_execz .LBB6_4846
; %bb.4837:                             ;   in Loop: Header=BB6_3506 Depth=4
	v_bfrev_b32_e32 v0, 1
	s_mov_b32 s72, exec_lo
	v_cmpx_ne_u16_e32 0xff80, v2
	s_cbranch_execz .LBB6_4845
; %bb.4838:                             ;   in Loop: Header=BB6_3506 Depth=4
	v_and_b32_e32 v0, 0x7c, v2
	v_and_b32_e32 v2, 3, v2
	s_delay_alu instid0(VALU_DEP_2) | instskip(SKIP_1) | instid1(SALU_CYCLE_1)
	v_cmp_ne_u32_e32 vcc_lo, 0x7c, v0
                                        ; implicit-def: $vgpr0
	s_and_saveexec_b32 s73, vcc_lo
	s_xor_b32 s73, exec_lo, s73
	s_cbranch_execz .LBB6_4842
; %bb.4839:                             ;   in Loop: Header=BB6_3506 Depth=4
	scratch_load_b64 v[32:33], off, s33 offset:212 ; 8-byte Folded Reload
	s_mov_b32 s74, exec_lo
	s_wait_loadcnt 0x0
	v_and_b32_e32 v0, 0xff, v32
	s_delay_alu instid0(VALU_DEP_1) | instskip(SKIP_1) | instid1(VALU_DEP_1)
	v_bfe_u32 v0, v0, 2, 5
	s_wait_xcnt 0x0
	v_cmpx_eq_u32_e32 0, v0
	s_cbranch_execz .LBB6_4841
; %bb.4840:                             ;   in Loop: Header=BB6_3506 Depth=4
	v_clz_i32_u32_e32 v0, v2
	s_delay_alu instid0(VALU_DEP_1) | instskip(SKIP_1) | instid1(VALU_DEP_2)
	v_min_u32_e32 v0, 32, v0
	v_mov_b32_e32 v33, v21
	v_subrev_nc_u32_e32 v2, 29, v0
	v_sub_nc_u32_e32 v0, 30, v0
	s_delay_alu instid0(VALU_DEP_2) | instskip(NEXT) | instid1(VALU_DEP_1)
	v_lshlrev_b64_e32 v[2:3], v2, v[32:33]
	v_and_b32_e32 v2, 3, v2
.LBB6_4841:                             ;   in Loop: Header=BB6_3506 Depth=4
	s_or_b32 exec_lo, exec_lo, s74
	v_bfe_i32 v3, v32, 0, 16
                                        ; implicit-def: $vgpr20
	scratch_store_b64 off, v[20:21], s33 offset:212 ; 8-byte Folded Spill
	v_and_b32_e32 v3, 0x80000000, v3
	s_delay_alu instid0(VALU_DEP_1) | instskip(NEXT) | instid1(VALU_DEP_1)
	v_lshl_add_u32 v0, v0, 23, v3
	v_lshl_or_b32 v0, v2, 21, v0
                                        ; implicit-def: $vgpr2
	s_delay_alu instid0(VALU_DEP_1)
	v_add_nc_u32_e32 v0, 0x38000000, v0
.LBB6_4842:                             ;   in Loop: Header=BB6_3506 Depth=4
	s_wait_xcnt 0x0
	s_and_not1_saveexec_b32 s73, s73
	s_cbranch_execz .LBB6_4844
; %bb.4843:                             ;   in Loop: Header=BB6_3506 Depth=4
	scratch_load_b64 v[32:33], off, s33 offset:212 th:TH_LOAD_LU ; 8-byte Folded Reload
	v_mov_b32_e32 v0, 0x7f800000
	s_wait_loadcnt 0x0
	v_cmp_lt_i16_e32 vcc_lo, -1, v32
	s_delay_alu instid0(VALU_DEP_2) | instskip(SKIP_1) | instid1(VALU_DEP_2)
	v_cndmask_b32_e32 v0, 0xff800000, v0, vcc_lo
	v_cmp_eq_u32_e32 vcc_lo, 0, v2
	v_cndmask_b32_e32 v0, 0x7f800001, v0, vcc_lo
.LBB6_4844:                             ;   in Loop: Header=BB6_3506 Depth=4
	s_wait_xcnt 0x0
	s_or_b32 exec_lo, exec_lo, s73
.LBB6_4845:                             ;   in Loop: Header=BB6_3506 Depth=4
	s_delay_alu instid0(SALU_CYCLE_1)
	s_or_b32 exec_lo, exec_lo, s72
.LBB6_4846:                             ;   in Loop: Header=BB6_3506 Depth=4
	s_delay_alu instid0(SALU_CYCLE_1) | instskip(SKIP_3) | instid1(VALU_DEP_2)
	s_or_b32 exec_lo, exec_lo, s13
	v_mul_f32_e32 v0, v1, v0
	v_mov_b32_e32 v3, v21
                                        ; implicit-def: $vgpr25
	s_mov_b32 s13, exec_lo
	v_and_b32_e32 v2, 0x7f800000, v0
	v_and_b32_e32 v20, 0x7fffff, v0
	s_delay_alu instid0(VALU_DEP_2)
	v_cmpx_ne_u64_e32 0x7f800000, v[2:3]
	s_xor_b32 s72, exec_lo, s13
	s_cbranch_execz .LBB6_4864
; %bb.4847:                             ;   in Loop: Header=BB6_3506 Depth=4
	v_dual_mov_b32 v3, v21 :: v_dual_lshrrev_b32 v1, 24, v0
	v_and_b32_e32 v2, 0x7fffffff, v0
                                        ; implicit-def: $vgpr25
	s_mov_b32 s13, exec_lo
	s_delay_alu instid0(VALU_DEP_2) | instskip(NEXT) | instid1(VALU_DEP_2)
	v_and_b32_e32 v27, 0x80, v1
	v_cmpx_gt_u64_e32 0x47600001, v[2:3]
	s_xor_b32 s73, exec_lo, s13
	s_cbranch_execz .LBB6_4861
; %bb.4848:                             ;   in Loop: Header=BB6_3506 Depth=4
	v_mov_b32_e32 v25, 0
	s_mov_b32 s74, exec_lo
	v_cmpx_ne_u32_e32 0, v0
	s_cbranch_execz .LBB6_4860
; %bb.4849:                             ;   in Loop: Header=BB6_3506 Depth=4
	v_bfe_u32 v25, v0, 23, 8
	v_or_b32_e32 v1, 0x800000, v20
	s_delay_alu instid0(VALU_DEP_2) | instskip(SKIP_2) | instid1(VALU_DEP_2)
	v_cmp_gt_u32_e64 s13, 0x72, v25
	v_sub_nc_u32_e32 v0, 0x71, v25
	v_cmp_eq_u32_e32 vcc_lo, 0, v25
	v_cndmask_b32_e64 v0, 0, v0, s13
	s_delay_alu instid0(VALU_DEP_1) | instskip(SKIP_1) | instid1(VALU_DEP_2)
	v_cndmask_b32_e64 v32, v0, 0x70, vcc_lo
	v_cndmask_b32_e32 v0, v1, v20, vcc_lo
	v_dual_mov_b32 v1, v21 :: v_dual_add_nc_u32 v2, 21, v32
	v_add_nc_u32_e32 v20, 20, v32
	s_delay_alu instid0(VALU_DEP_2) | instskip(NEXT) | instid1(VALU_DEP_2)
	v_lshlrev_b64_e64 v[2:3], v2, -1
	v_lshlrev_b64_e64 v[36:37], v20, 1
	s_delay_alu instid0(VALU_DEP_2) | instskip(SKIP_1) | instid1(VALU_DEP_4)
	v_bfi_b32 v2, v2, 0, v0
	v_lshrrev_b64 v[0:1], v32, v[0:1]
	v_bfi_b32 v3, v3, 0, 0
	s_delay_alu instid0(VALU_DEP_1) | instskip(NEXT) | instid1(VALU_DEP_3)
	v_cmp_eq_u64_e64 s13, v[2:3], v[36:37]
	v_mov_b64_e32 v[2:3], v[0:1]
	s_and_saveexec_b32 s75, s13
; %bb.4850:                             ;   in Loop: Header=BB6_3506 Depth=4
	v_bfe_u32 v2, v0, 21, 1
	v_mov_b32_e32 v3, v21
	s_delay_alu instid0(VALU_DEP_1) | instskip(NEXT) | instid1(VALU_DEP_1)
	v_add_nc_u64_e32 v[2:3], v[0:1], v[2:3]
	v_add_nc_u64_e32 v[2:3], -1, v[2:3]
; %bb.4851:                             ;   in Loop: Header=BB6_3506 Depth=4
	s_or_b32 exec_lo, exec_lo, s75
	v_add_nc_u32_e32 v1, 0xffffff81, v25
	s_delay_alu instid0(VALU_DEP_2) | instskip(SKIP_2) | instid1(VALU_DEP_3)
	v_and_b32_e32 v2, 0x1fffff, v2
	v_lshrrev_b32_e32 v3, 23, v0
	s_mov_b32 s13, exec_lo
	v_cndmask_b32_e64 v1, v1, 0xffffff82, vcc_lo
	s_delay_alu instid0(VALU_DEP_3) | instskip(NEXT) | instid1(VALU_DEP_2)
	v_add_nc_u32_e32 v20, v2, v0
                                        ; implicit-def: $vgpr2
	v_add3_u32 v25, v32, v1, v3
                                        ; implicit-def: $vgpr0_vgpr1
	s_delay_alu instid0(VALU_DEP_1) | instskip(NEXT) | instid1(VALU_DEP_1)
	v_add_nc_u32_e32 v3, 14, v25
	v_cmpx_ne_u32_e32 0, v3
	s_xor_b32 s13, exec_lo, s13
; %bb.4852:                             ;   in Loop: Header=BB6_3506 Depth=4
	v_cmp_lt_u64_e32 vcc_lo, 0xffffff, v[20:21]
	v_add_nc_u32_e32 v0, 15, v25
	s_delay_alu instid0(VALU_DEP_1) | instskip(SKIP_1) | instid1(VALU_DEP_1)
	v_cndmask_b32_e32 v2, v3, v0, vcc_lo
	v_cndmask_b32_e64 v0, 0, 1, vcc_lo
	v_lshrrev_b64 v[0:1], v0, v[20:21]
; %bb.4853:                             ;   in Loop: Header=BB6_3506 Depth=4
	s_and_not1_saveexec_b32 s13, s13
; %bb.4854:                             ;   in Loop: Header=BB6_3506 Depth=4
	v_mov_b64_e32 v[0:1], v[20:21]
	v_bfe_u32 v2, v20, 23, 1
; %bb.4855:                             ;   in Loop: Header=BB6_3506 Depth=4
	s_or_b32 exec_lo, exec_lo, s13
	s_delay_alu instid0(VALU_DEP_2) | instskip(NEXT) | instid1(VALU_DEP_2)
	v_lshrrev_b64 v[0:1], 21, v[0:1]
	v_cmp_gt_i32_e32 vcc_lo, 32, v2
	v_cmp_ne_u32_e64 s13, 0, v2
                                        ; implicit-def: $vgpr25
	s_delay_alu instid0(VALU_DEP_3) | instskip(NEXT) | instid1(VALU_DEP_1)
	v_dual_cndmask_b32 v1, 0, v1 :: v_dual_cndmask_b32 v0, 3, v0
	v_cmp_ne_u64_e32 vcc_lo, 0, v[0:1]
	s_or_b32 s13, s13, vcc_lo
	s_delay_alu instid0(SALU_CYCLE_1) | instskip(NEXT) | instid1(SALU_CYCLE_1)
	s_and_saveexec_b32 s75, s13
	s_xor_b32 s13, exec_lo, s75
; %bb.4856:                             ;   in Loop: Header=BB6_3506 Depth=4
	v_min_i32_e32 v1, 31, v2
	s_delay_alu instid0(VALU_DEP_1) | instskip(NEXT) | instid1(VALU_DEP_1)
	v_lshl_or_b32 v1, v1, 2, v27
                                        ; implicit-def: $vgpr27
	v_and_or_b32 v25, v0, 3, v1
; %bb.4857:                             ;   in Loop: Header=BB6_3506 Depth=4
	s_and_not1_saveexec_b32 s13, s13
; %bb.4858:                             ;   in Loop: Header=BB6_3506 Depth=4
	v_mov_b32_e32 v25, v27
; %bb.4859:                             ;   in Loop: Header=BB6_3506 Depth=4
	s_or_b32 exec_lo, exec_lo, s13
.LBB6_4860:                             ;   in Loop: Header=BB6_3506 Depth=4
	s_delay_alu instid0(SALU_CYCLE_1)
	s_or_b32 exec_lo, exec_lo, s74
                                        ; implicit-def: $vgpr27
.LBB6_4861:                             ;   in Loop: Header=BB6_3506 Depth=4
	s_and_not1_saveexec_b32 s13, s73
; %bb.4862:                             ;   in Loop: Header=BB6_3506 Depth=4
	v_or_b32_e32 v25, 0x7b, v27
; %bb.4863:                             ;   in Loop: Header=BB6_3506 Depth=4
	s_or_b32 exec_lo, exec_lo, s13
                                        ; implicit-def: $vgpr0
.LBB6_4864:                             ;   in Loop: Header=BB6_3506 Depth=4
	s_and_not1_saveexec_b32 s13, s72
	s_cbranch_execz .LBB6_4870
; %bb.4865:                             ;   in Loop: Header=BB6_3506 Depth=4
	s_mov_b32 s72, exec_lo
                                        ; implicit-def: $vgpr25
	v_cmpx_ne_u64_e32 0, v[20:21]
	s_xor_b32 s72, exec_lo, s72
; %bb.4866:                             ;   in Loop: Header=BB6_3506 Depth=4
	v_lshrrev_b32_e32 v0, 24, v0
	s_delay_alu instid0(VALU_DEP_1)
	v_or_b32_e32 v25, 0x7f, v0
                                        ; implicit-def: $vgpr0
; %bb.4867:                             ;   in Loop: Header=BB6_3506 Depth=4
	s_and_not1_saveexec_b32 s72, s72
; %bb.4868:                             ;   in Loop: Header=BB6_3506 Depth=4
	v_cmp_lt_i32_e32 vcc_lo, -1, v0
	v_cndmask_b32_e64 v25, -4, 0x7c, vcc_lo
; %bb.4869:                             ;   in Loop: Header=BB6_3506 Depth=4
	s_or_b32 exec_lo, exec_lo, s72
.LBB6_4870:                             ;   in Loop: Header=BB6_3506 Depth=4
	s_delay_alu instid0(SALU_CYCLE_1)
	s_or_b32 exec_lo, exec_lo, s13
	scratch_load_b64 v[2:3], off, s33 offset:204 ; 8-byte Folded Reload
	v_dual_mov_b32 v0, 0 :: v_dual_mov_b32 v1, 0
	s_mov_b32 s13, exec_lo
	s_wait_loadcnt 0x0
	s_wait_xcnt 0x0
	v_cmpx_ne_u16_e32 0, v2
	s_cbranch_execz .LBB6_4880
; %bb.4871:                             ;   in Loop: Header=BB6_3506 Depth=4
	v_bfrev_b32_e32 v1, 1
	s_mov_b32 s72, exec_lo
	v_cmpx_ne_u16_e32 0xff80, v2
	s_cbranch_execz .LBB6_4879
; %bb.4872:                             ;   in Loop: Header=BB6_3506 Depth=4
	v_and_b32_e32 v1, 0x7c, v2
	v_and_b32_e32 v2, 3, v2
	s_delay_alu instid0(VALU_DEP_2) | instskip(SKIP_1) | instid1(SALU_CYCLE_1)
	v_cmp_ne_u32_e32 vcc_lo, 0x7c, v1
                                        ; implicit-def: $vgpr1
	s_and_saveexec_b32 s73, vcc_lo
	s_xor_b32 s73, exec_lo, s73
	s_cbranch_execz .LBB6_4876
; %bb.4873:                             ;   in Loop: Header=BB6_3506 Depth=4
	scratch_load_b64 v[32:33], off, s33 offset:204 ; 8-byte Folded Reload
	s_mov_b32 s74, exec_lo
	s_wait_loadcnt 0x0
	v_and_b32_e32 v1, 0xff, v32
	s_delay_alu instid0(VALU_DEP_1) | instskip(SKIP_1) | instid1(VALU_DEP_1)
	v_bfe_u32 v1, v1, 2, 5
	s_wait_xcnt 0x0
	v_cmpx_eq_u32_e32 0, v1
	s_cbranch_execz .LBB6_4875
; %bb.4874:                             ;   in Loop: Header=BB6_3506 Depth=4
	v_clz_i32_u32_e32 v1, v2
	s_delay_alu instid0(VALU_DEP_1) | instskip(SKIP_1) | instid1(VALU_DEP_2)
	v_min_u32_e32 v1, 32, v1
	v_mov_b32_e32 v33, v21
	v_subrev_nc_u32_e32 v2, 29, v1
	v_sub_nc_u32_e32 v1, 30, v1
	s_delay_alu instid0(VALU_DEP_2) | instskip(NEXT) | instid1(VALU_DEP_1)
	v_lshlrev_b64_e32 v[2:3], v2, v[32:33]
	v_and_b32_e32 v2, 3, v2
.LBB6_4875:                             ;   in Loop: Header=BB6_3506 Depth=4
	s_or_b32 exec_lo, exec_lo, s74
	v_bfe_i32 v3, v32, 0, 16
                                        ; implicit-def: $vgpr20
	scratch_store_b64 off, v[20:21], s33 offset:204 ; 8-byte Folded Spill
	v_and_b32_e32 v3, 0x80000000, v3
	s_delay_alu instid0(VALU_DEP_1) | instskip(NEXT) | instid1(VALU_DEP_1)
	v_lshl_add_u32 v1, v1, 23, v3
	v_lshl_or_b32 v1, v2, 21, v1
                                        ; implicit-def: $vgpr2
	s_delay_alu instid0(VALU_DEP_1)
	v_add_nc_u32_e32 v1, 0x38000000, v1
.LBB6_4876:                             ;   in Loop: Header=BB6_3506 Depth=4
	s_wait_xcnt 0x0
	s_and_not1_saveexec_b32 s73, s73
	s_cbranch_execz .LBB6_4878
; %bb.4877:                             ;   in Loop: Header=BB6_3506 Depth=4
	scratch_load_b64 v[32:33], off, s33 offset:204 th:TH_LOAD_LU ; 8-byte Folded Reload
	v_mov_b32_e32 v1, 0x7f800000
	s_wait_loadcnt 0x0
	v_cmp_lt_i16_e32 vcc_lo, -1, v32
	s_delay_alu instid0(VALU_DEP_2) | instskip(SKIP_1) | instid1(VALU_DEP_2)
	v_cndmask_b32_e32 v1, 0xff800000, v1, vcc_lo
	v_cmp_eq_u32_e32 vcc_lo, 0, v2
	v_cndmask_b32_e32 v1, 0x7f800001, v1, vcc_lo
.LBB6_4878:                             ;   in Loop: Header=BB6_3506 Depth=4
	s_wait_xcnt 0x0
	s_or_b32 exec_lo, exec_lo, s73
.LBB6_4879:                             ;   in Loop: Header=BB6_3506 Depth=4
	s_delay_alu instid0(SALU_CYCLE_1)
	s_or_b32 exec_lo, exec_lo, s72
.LBB6_4880:                             ;   in Loop: Header=BB6_3506 Depth=4
	s_delay_alu instid0(SALU_CYCLE_1)
	s_or_b32 exec_lo, exec_lo, s13
	scratch_load_b64 v[2:3], off, s33 offset:196 ; 8-byte Folded Reload
	s_mov_b32 s13, exec_lo
	s_wait_loadcnt 0x0
	s_wait_xcnt 0x0
	v_cmpx_ne_u16_e32 0, v2
	s_cbranch_execz .LBB6_4890
; %bb.4881:                             ;   in Loop: Header=BB6_3506 Depth=4
	v_bfrev_b32_e32 v0, 1
	s_mov_b32 s72, exec_lo
	v_cmpx_ne_u16_e32 0xff80, v2
	s_cbranch_execz .LBB6_4889
; %bb.4882:                             ;   in Loop: Header=BB6_3506 Depth=4
	v_and_b32_e32 v0, 0x7c, v2
	v_and_b32_e32 v2, 3, v2
	s_delay_alu instid0(VALU_DEP_2) | instskip(SKIP_1) | instid1(SALU_CYCLE_1)
	v_cmp_ne_u32_e32 vcc_lo, 0x7c, v0
                                        ; implicit-def: $vgpr0
	s_and_saveexec_b32 s73, vcc_lo
	s_xor_b32 s73, exec_lo, s73
	s_cbranch_execz .LBB6_4886
; %bb.4883:                             ;   in Loop: Header=BB6_3506 Depth=4
	scratch_load_b64 v[32:33], off, s33 offset:196 ; 8-byte Folded Reload
	s_mov_b32 s74, exec_lo
	s_wait_loadcnt 0x0
	v_and_b32_e32 v0, 0xff, v32
	s_delay_alu instid0(VALU_DEP_1) | instskip(SKIP_1) | instid1(VALU_DEP_1)
	v_bfe_u32 v0, v0, 2, 5
	s_wait_xcnt 0x0
	v_cmpx_eq_u32_e32 0, v0
	s_cbranch_execz .LBB6_4885
; %bb.4884:                             ;   in Loop: Header=BB6_3506 Depth=4
	v_clz_i32_u32_e32 v0, v2
	s_delay_alu instid0(VALU_DEP_1) | instskip(SKIP_1) | instid1(VALU_DEP_2)
	v_min_u32_e32 v0, 32, v0
	v_mov_b32_e32 v33, v21
	v_subrev_nc_u32_e32 v2, 29, v0
	v_sub_nc_u32_e32 v0, 30, v0
	s_delay_alu instid0(VALU_DEP_2) | instskip(NEXT) | instid1(VALU_DEP_1)
	v_lshlrev_b64_e32 v[2:3], v2, v[32:33]
	v_and_b32_e32 v2, 3, v2
.LBB6_4885:                             ;   in Loop: Header=BB6_3506 Depth=4
	s_or_b32 exec_lo, exec_lo, s74
	v_bfe_i32 v3, v32, 0, 16
                                        ; implicit-def: $vgpr20
	scratch_store_b64 off, v[20:21], s33 offset:196 ; 8-byte Folded Spill
	v_and_b32_e32 v3, 0x80000000, v3
	s_delay_alu instid0(VALU_DEP_1) | instskip(NEXT) | instid1(VALU_DEP_1)
	v_lshl_add_u32 v0, v0, 23, v3
	v_lshl_or_b32 v0, v2, 21, v0
                                        ; implicit-def: $vgpr2
	s_delay_alu instid0(VALU_DEP_1)
	v_add_nc_u32_e32 v0, 0x38000000, v0
.LBB6_4886:                             ;   in Loop: Header=BB6_3506 Depth=4
	s_wait_xcnt 0x0
	s_and_not1_saveexec_b32 s73, s73
	s_cbranch_execz .LBB6_4888
; %bb.4887:                             ;   in Loop: Header=BB6_3506 Depth=4
	scratch_load_b64 v[32:33], off, s33 offset:196 th:TH_LOAD_LU ; 8-byte Folded Reload
	v_mov_b32_e32 v0, 0x7f800000
	s_wait_loadcnt 0x0
	v_cmp_lt_i16_e32 vcc_lo, -1, v32
	s_delay_alu instid0(VALU_DEP_2) | instskip(SKIP_1) | instid1(VALU_DEP_2)
	v_cndmask_b32_e32 v0, 0xff800000, v0, vcc_lo
	v_cmp_eq_u32_e32 vcc_lo, 0, v2
	v_cndmask_b32_e32 v0, 0x7f800001, v0, vcc_lo
.LBB6_4888:                             ;   in Loop: Header=BB6_3506 Depth=4
	s_wait_xcnt 0x0
	s_or_b32 exec_lo, exec_lo, s73
.LBB6_4889:                             ;   in Loop: Header=BB6_3506 Depth=4
	s_delay_alu instid0(SALU_CYCLE_1)
	s_or_b32 exec_lo, exec_lo, s72
.LBB6_4890:                             ;   in Loop: Header=BB6_3506 Depth=4
	s_delay_alu instid0(SALU_CYCLE_1) | instskip(SKIP_3) | instid1(VALU_DEP_2)
	s_or_b32 exec_lo, exec_lo, s13
	v_mul_f32_e32 v0, v1, v0
	v_mov_b32_e32 v3, v21
                                        ; implicit-def: $vgpr1
	s_mov_b32 s13, exec_lo
	v_and_b32_e32 v2, 0x7f800000, v0
	v_and_b32_e32 v20, 0x7fffff, v0
	s_delay_alu instid0(VALU_DEP_2)
	v_cmpx_ne_u64_e32 0x7f800000, v[2:3]
	s_xor_b32 s72, exec_lo, s13
	s_cbranch_execz .LBB6_4908
; %bb.4891:                             ;   in Loop: Header=BB6_3506 Depth=4
	v_dual_mov_b32 v3, v21 :: v_dual_lshrrev_b32 v1, 24, v0
	v_and_b32_e32 v2, 0x7fffffff, v0
	s_mov_b32 s13, exec_lo
	s_delay_alu instid0(VALU_DEP_2) | instskip(NEXT) | instid1(VALU_DEP_2)
	v_and_b32_e32 v27, 0x80, v1
                                        ; implicit-def: $vgpr1
	v_cmpx_gt_u64_e32 0x47600001, v[2:3]
	s_xor_b32 s73, exec_lo, s13
	s_cbranch_execz .LBB6_4905
; %bb.4892:                             ;   in Loop: Header=BB6_3506 Depth=4
	v_mov_b32_e32 v1, 0
	s_mov_b32 s74, exec_lo
	v_cmpx_ne_u32_e32 0, v0
	s_cbranch_execz .LBB6_4904
; %bb.4893:                             ;   in Loop: Header=BB6_3506 Depth=4
	v_bfe_u32 v32, v0, 23, 8
	v_or_b32_e32 v1, 0x800000, v20
	s_delay_alu instid0(VALU_DEP_2) | instskip(SKIP_2) | instid1(VALU_DEP_2)
	v_cmp_gt_u32_e64 s13, 0x72, v32
	v_sub_nc_u32_e32 v0, 0x71, v32
	v_cmp_eq_u32_e32 vcc_lo, 0, v32
	v_cndmask_b32_e64 v0, 0, v0, s13
	s_delay_alu instid0(VALU_DEP_1) | instskip(SKIP_1) | instid1(VALU_DEP_2)
	v_cndmask_b32_e64 v33, v0, 0x70, vcc_lo
	v_cndmask_b32_e32 v0, v1, v20, vcc_lo
	v_dual_mov_b32 v1, v21 :: v_dual_add_nc_u32 v2, 21, v33
	v_add_nc_u32_e32 v20, 20, v33
	s_delay_alu instid0(VALU_DEP_2) | instskip(NEXT) | instid1(VALU_DEP_2)
	v_lshlrev_b64_e64 v[2:3], v2, -1
	v_lshlrev_b64_e64 v[36:37], v20, 1
	s_delay_alu instid0(VALU_DEP_2) | instskip(SKIP_1) | instid1(VALU_DEP_4)
	v_bfi_b32 v2, v2, 0, v0
	v_lshrrev_b64 v[0:1], v33, v[0:1]
	v_bfi_b32 v3, v3, 0, 0
	s_delay_alu instid0(VALU_DEP_1) | instskip(NEXT) | instid1(VALU_DEP_3)
	v_cmp_eq_u64_e64 s13, v[2:3], v[36:37]
	v_mov_b64_e32 v[2:3], v[0:1]
	s_and_saveexec_b32 s75, s13
; %bb.4894:                             ;   in Loop: Header=BB6_3506 Depth=4
	v_bfe_u32 v2, v0, 21, 1
	v_mov_b32_e32 v3, v21
	s_delay_alu instid0(VALU_DEP_1) | instskip(NEXT) | instid1(VALU_DEP_1)
	v_add_nc_u64_e32 v[2:3], v[0:1], v[2:3]
	v_add_nc_u64_e32 v[2:3], -1, v[2:3]
; %bb.4895:                             ;   in Loop: Header=BB6_3506 Depth=4
	s_or_b32 exec_lo, exec_lo, s75
	v_add_nc_u32_e32 v1, 0xffffff81, v32
	s_delay_alu instid0(VALU_DEP_2) | instskip(SKIP_2) | instid1(VALU_DEP_3)
	v_and_b32_e32 v2, 0x1fffff, v2
	v_lshrrev_b32_e32 v3, 23, v0
	s_mov_b32 s13, exec_lo
	v_cndmask_b32_e64 v1, v1, 0xffffff82, vcc_lo
	s_delay_alu instid0(VALU_DEP_3) | instskip(NEXT) | instid1(VALU_DEP_2)
	v_add_nc_u32_e32 v20, v2, v0
                                        ; implicit-def: $vgpr2
	v_add3_u32 v32, v33, v1, v3
                                        ; implicit-def: $vgpr0_vgpr1
	s_delay_alu instid0(VALU_DEP_1) | instskip(NEXT) | instid1(VALU_DEP_1)
	v_add_nc_u32_e32 v3, 14, v32
	v_cmpx_ne_u32_e32 0, v3
	s_xor_b32 s13, exec_lo, s13
; %bb.4896:                             ;   in Loop: Header=BB6_3506 Depth=4
	v_cmp_lt_u64_e32 vcc_lo, 0xffffff, v[20:21]
	v_add_nc_u32_e32 v0, 15, v32
	s_delay_alu instid0(VALU_DEP_1) | instskip(SKIP_1) | instid1(VALU_DEP_1)
	v_cndmask_b32_e32 v2, v3, v0, vcc_lo
	v_cndmask_b32_e64 v0, 0, 1, vcc_lo
	v_lshrrev_b64 v[0:1], v0, v[20:21]
; %bb.4897:                             ;   in Loop: Header=BB6_3506 Depth=4
	s_and_not1_saveexec_b32 s13, s13
; %bb.4898:                             ;   in Loop: Header=BB6_3506 Depth=4
	v_mov_b64_e32 v[0:1], v[20:21]
	v_bfe_u32 v2, v20, 23, 1
; %bb.4899:                             ;   in Loop: Header=BB6_3506 Depth=4
	s_or_b32 exec_lo, exec_lo, s13
	s_delay_alu instid0(VALU_DEP_2) | instskip(NEXT) | instid1(VALU_DEP_2)
	v_lshrrev_b64 v[0:1], 21, v[0:1]
	v_cmp_gt_i32_e32 vcc_lo, 32, v2
	v_cmp_ne_u32_e64 s13, 0, v2
	s_delay_alu instid0(VALU_DEP_3) | instskip(NEXT) | instid1(VALU_DEP_1)
	v_dual_cndmask_b32 v1, 0, v1 :: v_dual_cndmask_b32 v0, 3, v0
	v_cmp_ne_u64_e32 vcc_lo, 0, v[0:1]
                                        ; implicit-def: $vgpr1
	s_or_b32 s13, s13, vcc_lo
	s_delay_alu instid0(SALU_CYCLE_1) | instskip(NEXT) | instid1(SALU_CYCLE_1)
	s_and_saveexec_b32 s75, s13
	s_xor_b32 s13, exec_lo, s75
; %bb.4900:                             ;   in Loop: Header=BB6_3506 Depth=4
	v_min_i32_e32 v1, 31, v2
	s_delay_alu instid0(VALU_DEP_1) | instskip(NEXT) | instid1(VALU_DEP_1)
	v_lshl_or_b32 v1, v1, 2, v27
                                        ; implicit-def: $vgpr27
	v_and_or_b32 v1, v0, 3, v1
; %bb.4901:                             ;   in Loop: Header=BB6_3506 Depth=4
	s_and_not1_saveexec_b32 s13, s13
; %bb.4902:                             ;   in Loop: Header=BB6_3506 Depth=4
	v_mov_b32_e32 v1, v27
; %bb.4903:                             ;   in Loop: Header=BB6_3506 Depth=4
	s_or_b32 exec_lo, exec_lo, s13
.LBB6_4904:                             ;   in Loop: Header=BB6_3506 Depth=4
	s_delay_alu instid0(SALU_CYCLE_1)
	s_or_b32 exec_lo, exec_lo, s74
                                        ; implicit-def: $vgpr27
.LBB6_4905:                             ;   in Loop: Header=BB6_3506 Depth=4
	s_and_not1_saveexec_b32 s13, s73
; %bb.4906:                             ;   in Loop: Header=BB6_3506 Depth=4
	v_or_b32_e32 v1, 0x7b, v27
; %bb.4907:                             ;   in Loop: Header=BB6_3506 Depth=4
	s_or_b32 exec_lo, exec_lo, s13
                                        ; implicit-def: $vgpr0
.LBB6_4908:                             ;   in Loop: Header=BB6_3506 Depth=4
	s_and_not1_saveexec_b32 s13, s72
	s_cbranch_execz .LBB6_3505
; %bb.4909:                             ;   in Loop: Header=BB6_3506 Depth=4
	s_mov_b32 s72, exec_lo
                                        ; implicit-def: $vgpr1
	v_cmpx_ne_u64_e32 0, v[20:21]
	s_xor_b32 s72, exec_lo, s72
; %bb.4910:                             ;   in Loop: Header=BB6_3506 Depth=4
	v_lshrrev_b32_e32 v0, 24, v0
	s_delay_alu instid0(VALU_DEP_1)
	v_or_b32_e32 v1, 0x7f, v0
                                        ; implicit-def: $vgpr0
; %bb.4911:                             ;   in Loop: Header=BB6_3506 Depth=4
	s_and_not1_saveexec_b32 s72, s72
	s_cbranch_execz .LBB6_3504
; %bb.4912:                             ;   in Loop: Header=BB6_3506 Depth=4
	v_cmp_lt_i32_e32 vcc_lo, -1, v0
	v_cndmask_b32_e64 v1, -4, 0x7c, vcc_lo
	s_branch .LBB6_3504
.LBB6_4913:                             ;   in Loop: Header=BB6_274 Depth=3
	s_or_b32 exec_lo, exec_lo, s63
	s_clause 0x6
	scratch_load_b32 v80, off, s33 offset:364
	scratch_load_b32 v81, off, s33 offset:268
	scratch_load_b128 v[82:85], off, s33 offset:368
	scratch_load_b64 v[86:87], off, s33 offset:384
	scratch_load_b64 v[96:97], off, s33 offset:392
	;; [unrolled: 1-line block ×4, first 2 shown]
	s_wait_loadcnt 0x4
	s_clause 0x1a
	scratch_load_b64 v[84:85], off, s33 offset:272
	scratch_load_b64 v[102:103], off, s33 offset:280
	;; [unrolled: 1-line block ×11, first 2 shown]
	scratch_load_b32 v41, off, s33 offset:464
	scratch_load_b64 v[74:75], off, s33 offset:468
	scratch_load_b64 v[76:77], off, s33 offset:476
	;; [unrolled: 1-line block ×5, first 2 shown]
	scratch_load_b32 v106, off, s33 offset:512
	scratch_load_b64 v[108:109], off, s33 offset:260
	scratch_load_b64 v[110:111], off, s33 offset:296
	;; [unrolled: 1-line block ×3, first 2 shown]
	scratch_load_b32 v107, off, s33 offset:304
	scratch_load_b32 v8, off, s33 offset:312
	;; [unrolled: 1-line block ×6, first 2 shown]
	v_mov_b64_e32 v[116:117], 0
	v_dual_mov_b32 v118, 1 :: v_dual_mov_b32 v119, 0x90
	v_mov_b32_e32 v40, 0x88
.LBB6_4914:                             ;   in Loop: Header=BB6_274 Depth=3
	s_wait_xcnt 0x0
	s_or_b32 exec_lo, exec_lo, s62
	s_wait_loadcnt 0x0
	v_lshlrev_b32_e32 v0, 10, v2
	s_delay_alu instid0(VALU_DEP_1)
	v_cmp_ne_u32_e32 vcc_lo, v4, v0
	s_and_b32 exec_lo, exec_lo, vcc_lo
	s_cbranch_execz .LBB6_4962
; %bb.4915:                             ;   in Loop: Header=BB6_274 Depth=3
	v_dual_add_nc_u32 v1, v5, v1 :: v_dual_lshlrev_b32 v2, 5, v126
	s_delay_alu instid0(VALU_DEP_1) | instskip(NEXT) | instid1(VALU_DEP_1)
	v_and_b32_e32 v1, 0xffffffe0, v1
	v_sub_nc_u32_e32 v1, v5, v1
	s_delay_alu instid0(VALU_DEP_1) | instskip(NEXT) | instid1(VALU_DEP_1)
	v_sub_nc_u32_e32 v1, v1, v2
	v_add_nc_u32_e32 v0, v0, v1
	s_delay_alu instid0(VALU_DEP_1) | instskip(NEXT) | instid1(VALU_DEP_1)
	v_sub_nc_u32_e32 v10, v4, v0
	v_cmp_lt_i32_e32 vcc_lo, 0, v10
	s_and_b32 exec_lo, exec_lo, vcc_lo
	s_cbranch_execz .LBB6_4962
; %bb.4916:                             ;   in Loop: Header=BB6_274 Depth=3
	s_trap 2
	ds_load_b128 v[2:5], v0
	ds_load_b64 v[6:7], v0
	v_add_nc_u32_e32 v8, v0, v8
	s_mov_b32 s62, 0
	s_delay_alu instid0(VALU_DEP_1) | instskip(SKIP_1) | instid1(VALU_DEP_1)
	v_ashrrev_i32_e32 v9, 31, v8
	s_wait_dscnt 0x1
	v_add_nc_u64_e32 v[0:1], v[2:3], v[8:9]
	v_add_nc_u64_e32 v[2:3], v[4:5], v[8:9]
	s_wait_dscnt 0x0
	v_add_nc_u64_e32 v[4:5], v[6:7], v[8:9]
	s_branch .LBB6_4919
.LBB6_4917:                             ;   in Loop: Header=BB6_4919 Depth=4
	s_or_b32 exec_lo, exec_lo, s63
.LBB6_4918:                             ;   in Loop: Header=BB6_4919 Depth=4
	s_delay_alu instid0(SALU_CYCLE_1)
	s_or_b32 exec_lo, exec_lo, s13
	v_sub_nc_u32_e32 v10, v10, v114
	flat_store_b8 v[4:5], v7 th:TH_STORE_NT
	v_add_nc_u64_e32 v[0:1], v[0:1], v[114:115]
	v_add_nc_u64_e32 v[2:3], v[2:3], v[114:115]
	s_wait_xcnt 0x0
	v_add_nc_u64_e32 v[4:5], v[4:5], v[114:115]
	v_cmp_gt_i32_e32 vcc_lo, 1, v10
	s_or_b32 s62, vcc_lo, s62
	s_delay_alu instid0(SALU_CYCLE_1)
	s_and_not1_b32 exec_lo, exec_lo, s62
	s_cbranch_execz .LBB6_4962
.LBB6_4919:                             ;   Parent Loop BB6_47 Depth=1
                                        ;     Parent Loop BB6_271 Depth=2
                                        ;       Parent Loop BB6_274 Depth=3
                                        ; =>      This Inner Loop Header: Depth=4
	flat_load_i8 v8, v[0:1] th:TH_LOAD_NT
	flat_load_i8 v6, v[2:3] th:TH_LOAD_NT
	v_dual_mov_b32 v7, 0 :: v_dual_mov_b32 v9, 0
	s_mov_b32 s13, exec_lo
	s_wait_loadcnt_dscnt 0x101
	s_wait_xcnt 0x0
	v_cmpx_ne_u16_e32 0, v8
	s_cbranch_execz .LBB6_4929
; %bb.4920:                             ;   in Loop: Header=BB6_4919 Depth=4
	v_bfrev_b32_e32 v9, 1
	s_mov_b32 s63, exec_lo
	v_cmpx_ne_u16_e32 0xff80, v8
	s_cbranch_execz .LBB6_4928
; %bb.4921:                             ;   in Loop: Header=BB6_4919 Depth=4
	v_and_b32_e32 v9, 0x7c, v8
	v_and_b32_e32 v11, 3, v8
	s_delay_alu instid0(VALU_DEP_2) | instskip(SKIP_1) | instid1(SALU_CYCLE_1)
	v_cmp_ne_u32_e32 vcc_lo, 0x7c, v9
                                        ; implicit-def: $vgpr9
	s_and_saveexec_b32 s72, vcc_lo
	s_xor_b32 s72, exec_lo, s72
	s_cbranch_execz .LBB6_4925
; %bb.4922:                             ;   in Loop: Header=BB6_4919 Depth=4
	v_and_b32_e32 v9, 0xff, v8
	s_mov_b32 s73, exec_lo
	s_delay_alu instid0(VALU_DEP_1) | instskip(NEXT) | instid1(VALU_DEP_1)
	v_bfe_u32 v9, v9, 2, 5
	v_cmpx_eq_u32_e32 0, v9
; %bb.4923:                             ;   in Loop: Header=BB6_4919 Depth=4
	v_clz_i32_u32_e32 v9, v11
	s_delay_alu instid0(VALU_DEP_1) | instskip(SKIP_1) | instid1(VALU_DEP_2)
	v_min_u32_e32 v11, 32, v9
	v_mov_b32_e32 v9, v21
	v_subrev_nc_u32_e32 v12, 29, v11
	s_delay_alu instid0(VALU_DEP_1) | instskip(NEXT) | instid1(VALU_DEP_1)
	v_lshlrev_b64_e32 v[12:13], v12, v[8:9]
	v_dual_sub_nc_u32 v9, 30, v11 :: v_dual_bitop2_b32 v11, 3, v12 bitop3:0x40
; %bb.4924:                             ;   in Loop: Header=BB6_4919 Depth=4
	s_or_b32 exec_lo, exec_lo, s73
	v_bfe_i32 v8, v8, 0, 16
	s_delay_alu instid0(VALU_DEP_1) | instskip(NEXT) | instid1(VALU_DEP_1)
	v_and_b32_e32 v8, 0x80000000, v8
	v_lshl_add_u32 v8, v9, 23, v8
	s_delay_alu instid0(VALU_DEP_1) | instskip(NEXT) | instid1(VALU_DEP_1)
	v_lshl_or_b32 v8, v11, 21, v8
                                        ; implicit-def: $vgpr11
	v_add_nc_u32_e32 v9, 0x38000000, v8
                                        ; implicit-def: $vgpr8
.LBB6_4925:                             ;   in Loop: Header=BB6_4919 Depth=4
	s_and_not1_saveexec_b32 s72, s72
; %bb.4926:                             ;   in Loop: Header=BB6_4919 Depth=4
	v_cmp_lt_i16_e32 vcc_lo, -1, v8
	v_mov_b32_e32 v8, 0x7f800000
	s_delay_alu instid0(VALU_DEP_1) | instskip(SKIP_1) | instid1(VALU_DEP_2)
	v_cndmask_b32_e32 v8, 0xff800000, v8, vcc_lo
	v_cmp_eq_u32_e32 vcc_lo, 0, v11
	v_cndmask_b32_e32 v9, 0x7f800001, v8, vcc_lo
; %bb.4927:                             ;   in Loop: Header=BB6_4919 Depth=4
	s_or_b32 exec_lo, exec_lo, s72
.LBB6_4928:                             ;   in Loop: Header=BB6_4919 Depth=4
	s_delay_alu instid0(SALU_CYCLE_1)
	s_or_b32 exec_lo, exec_lo, s63
.LBB6_4929:                             ;   in Loop: Header=BB6_4919 Depth=4
	s_delay_alu instid0(SALU_CYCLE_1) | instskip(NEXT) | instid1(SALU_CYCLE_1)
	s_or_b32 exec_lo, exec_lo, s13
	s_mov_b32 s13, exec_lo
	s_wait_loadcnt_dscnt 0x0
	v_cmpx_ne_u16_e32 0, v6
	s_cbranch_execz .LBB6_4939
; %bb.4930:                             ;   in Loop: Header=BB6_4919 Depth=4
	v_bfrev_b32_e32 v7, 1
	s_mov_b32 s63, exec_lo
	v_cmpx_ne_u16_e32 0xff80, v6
	s_cbranch_execz .LBB6_4938
; %bb.4931:                             ;   in Loop: Header=BB6_4919 Depth=4
	v_and_b32_e32 v7, 0x7c, v6
	v_and_b32_e32 v8, 3, v6
	s_delay_alu instid0(VALU_DEP_2) | instskip(SKIP_1) | instid1(SALU_CYCLE_1)
	v_cmp_ne_u32_e32 vcc_lo, 0x7c, v7
                                        ; implicit-def: $vgpr7
	s_and_saveexec_b32 s72, vcc_lo
	s_xor_b32 s72, exec_lo, s72
	s_cbranch_execz .LBB6_4935
; %bb.4932:                             ;   in Loop: Header=BB6_4919 Depth=4
	v_and_b32_e32 v7, 0xff, v6
	s_mov_b32 s73, exec_lo
	s_delay_alu instid0(VALU_DEP_1) | instskip(NEXT) | instid1(VALU_DEP_1)
	v_bfe_u32 v7, v7, 2, 5
	v_cmpx_eq_u32_e32 0, v7
	s_cbranch_execz .LBB6_4934
; %bb.4933:                             ;   in Loop: Header=BB6_4919 Depth=4
	v_clz_i32_u32_e32 v7, v8
	s_delay_alu instid0(VALU_DEP_1) | instskip(SKIP_1) | instid1(VALU_DEP_2)
	v_min_u32_e32 v8, 32, v7
	v_mov_b32_e32 v7, v21
	v_subrev_nc_u32_e32 v11, 29, v8
	s_delay_alu instid0(VALU_DEP_1) | instskip(SKIP_1) | instid1(VALU_DEP_2)
	v_lshlrev_b64_e32 v[12:13], v11, v[6:7]
	v_sub_nc_u32_e32 v7, 30, v8
	v_and_b32_e32 v8, 3, v12
.LBB6_4934:                             ;   in Loop: Header=BB6_4919 Depth=4
	s_or_b32 exec_lo, exec_lo, s73
	v_bfe_i32 v6, v6, 0, 16
	s_delay_alu instid0(VALU_DEP_1) | instskip(NEXT) | instid1(VALU_DEP_1)
	v_and_b32_e32 v6, 0x80000000, v6
	v_lshl_add_u32 v6, v7, 23, v6
	s_delay_alu instid0(VALU_DEP_1) | instskip(NEXT) | instid1(VALU_DEP_1)
	v_lshl_or_b32 v6, v8, 21, v6
                                        ; implicit-def: $vgpr8
	v_add_nc_u32_e32 v7, 0x38000000, v6
                                        ; implicit-def: $vgpr6
.LBB6_4935:                             ;   in Loop: Header=BB6_4919 Depth=4
	s_and_not1_saveexec_b32 s72, s72
; %bb.4936:                             ;   in Loop: Header=BB6_4919 Depth=4
	v_cmp_lt_i16_e32 vcc_lo, -1, v6
	v_mov_b32_e32 v6, 0x7f800000
	s_delay_alu instid0(VALU_DEP_1) | instskip(SKIP_1) | instid1(VALU_DEP_2)
	v_cndmask_b32_e32 v6, 0xff800000, v6, vcc_lo
	v_cmp_eq_u32_e32 vcc_lo, 0, v8
	v_cndmask_b32_e32 v7, 0x7f800001, v6, vcc_lo
; %bb.4937:                             ;   in Loop: Header=BB6_4919 Depth=4
	s_or_b32 exec_lo, exec_lo, s72
.LBB6_4938:                             ;   in Loop: Header=BB6_4919 Depth=4
	s_delay_alu instid0(SALU_CYCLE_1)
	s_or_b32 exec_lo, exec_lo, s63
.LBB6_4939:                             ;   in Loop: Header=BB6_4919 Depth=4
	s_delay_alu instid0(SALU_CYCLE_1) | instskip(NEXT) | instid1(VALU_DEP_1)
	s_or_b32 exec_lo, exec_lo, s13
	v_mul_f32_e32 v6, v9, v7
	v_mov_b32_e32 v9, v21
                                        ; implicit-def: $vgpr7
	s_mov_b32 s13, exec_lo
	s_delay_alu instid0(VALU_DEP_2) | instskip(SKIP_1) | instid1(VALU_DEP_2)
	v_and_b32_e32 v8, 0x7f800000, v6
	v_and_b32_e32 v20, 0x7fffff, v6
	v_cmpx_ne_u64_e32 0x7f800000, v[8:9]
	s_xor_b32 s63, exec_lo, s13
	s_cbranch_execz .LBB6_4957
; %bb.4940:                             ;   in Loop: Header=BB6_4919 Depth=4
	v_dual_mov_b32 v9, v21 :: v_dual_lshrrev_b32 v7, 24, v6
	v_and_b32_e32 v8, 0x7fffffff, v6
	s_mov_b32 s13, exec_lo
	s_delay_alu instid0(VALU_DEP_2) | instskip(NEXT) | instid1(VALU_DEP_2)
	v_and_b32_e32 v11, 0x80, v7
                                        ; implicit-def: $vgpr7
	v_cmpx_gt_u64_e32 0x47600001, v[8:9]
	s_xor_b32 s72, exec_lo, s13
	s_cbranch_execz .LBB6_4954
; %bb.4941:                             ;   in Loop: Header=BB6_4919 Depth=4
	v_mov_b32_e32 v7, 0
	s_mov_b32 s73, exec_lo
	v_cmpx_ne_u32_e32 0, v6
	s_cbranch_execz .LBB6_4953
; %bb.4942:                             ;   in Loop: Header=BB6_4919 Depth=4
	v_bfe_u32 v12, v6, 23, 8
	v_or_b32_e32 v8, 0x800000, v20
	s_mov_b32 s74, exec_lo
	s_delay_alu instid0(VALU_DEP_2) | instskip(SKIP_1) | instid1(VALU_DEP_2)
	v_dual_mov_b32 v9, v21 :: v_dual_sub_nc_u32 v6, 0x71, v12
	v_cmp_gt_u32_e32 vcc_lo, 0x72, v12
	v_cndmask_b32_e32 v6, 0, v6, vcc_lo
	v_cmp_eq_u32_e32 vcc_lo, 0, v12
	s_delay_alu instid0(VALU_DEP_2) | instskip(NEXT) | instid1(VALU_DEP_1)
	v_cndmask_b32_e64 v13, v6, 0x70, vcc_lo
	v_dual_cndmask_b32 v8, v8, v20, vcc_lo :: v_dual_add_nc_u32 v6, 21, v13
	v_add_nc_u32_e32 v14, 20, v13
	s_delay_alu instid0(VALU_DEP_2) | instskip(NEXT) | instid1(VALU_DEP_2)
	v_lshlrev_b64_e64 v[6:7], v6, -1
	v_lshlrev_b64_e64 v[14:15], v14, 1
	s_delay_alu instid0(VALU_DEP_2) | instskip(NEXT) | instid1(VALU_DEP_3)
	v_bfi_b32 v17, v7, 0, 0
	v_bfi_b32 v16, v6, 0, v8
	v_lshrrev_b64 v[6:7], v13, v[8:9]
	s_delay_alu instid0(VALU_DEP_1) | instskip(NEXT) | instid1(VALU_DEP_3)
	v_mov_b64_e32 v[8:9], v[6:7]
	v_cmpx_eq_u64_e64 v[16:17], v[14:15]
; %bb.4943:                             ;   in Loop: Header=BB6_4919 Depth=4
	v_bfe_u32 v8, v6, 21, 1
	v_mov_b32_e32 v9, v21
	s_delay_alu instid0(VALU_DEP_1) | instskip(NEXT) | instid1(VALU_DEP_1)
	v_add_nc_u64_e32 v[8:9], v[6:7], v[8:9]
	v_add_nc_u64_e32 v[8:9], -1, v[8:9]
; %bb.4944:                             ;   in Loop: Header=BB6_4919 Depth=4
	s_or_b32 exec_lo, exec_lo, s74
	v_add_nc_u32_e32 v7, 0xffffff81, v12
	s_delay_alu instid0(VALU_DEP_2) | instskip(SKIP_2) | instid1(VALU_DEP_3)
	v_and_b32_e32 v8, 0x1fffff, v8
	v_lshrrev_b32_e32 v9, 23, v6
	s_mov_b32 s13, exec_lo
	v_cndmask_b32_e64 v7, v7, 0xffffff82, vcc_lo
	s_delay_alu instid0(VALU_DEP_3) | instskip(NEXT) | instid1(VALU_DEP_2)
	v_add_nc_u32_e32 v20, v8, v6
                                        ; implicit-def: $vgpr8
	v_add3_u32 v9, v13, v7, v9
                                        ; implicit-def: $vgpr6_vgpr7
	s_delay_alu instid0(VALU_DEP_1) | instskip(NEXT) | instid1(VALU_DEP_1)
	v_add_nc_u32_e32 v12, 14, v9
	v_cmpx_ne_u32_e32 0, v12
	s_xor_b32 s13, exec_lo, s13
; %bb.4945:                             ;   in Loop: Header=BB6_4919 Depth=4
	v_cmp_lt_u64_e32 vcc_lo, 0xffffff, v[20:21]
	v_add_nc_u32_e32 v6, 15, v9
	s_delay_alu instid0(VALU_DEP_1) | instskip(SKIP_1) | instid1(VALU_DEP_1)
	v_cndmask_b32_e32 v8, v12, v6, vcc_lo
	v_cndmask_b32_e64 v6, 0, 1, vcc_lo
	v_lshrrev_b64 v[6:7], v6, v[20:21]
; %bb.4946:                             ;   in Loop: Header=BB6_4919 Depth=4
	s_and_not1_saveexec_b32 s13, s13
; %bb.4947:                             ;   in Loop: Header=BB6_4919 Depth=4
	v_mov_b64_e32 v[6:7], v[20:21]
	v_bfe_u32 v8, v20, 23, 1
; %bb.4948:                             ;   in Loop: Header=BB6_4919 Depth=4
	s_or_b32 exec_lo, exec_lo, s13
	s_delay_alu instid0(VALU_DEP_2) | instskip(NEXT) | instid1(VALU_DEP_2)
	v_lshrrev_b64 v[6:7], 21, v[6:7]
	v_cmp_gt_i32_e32 vcc_lo, 32, v8
	v_cmp_ne_u32_e64 s13, 0, v8
	s_delay_alu instid0(VALU_DEP_3) | instskip(NEXT) | instid1(VALU_DEP_1)
	v_dual_cndmask_b32 v7, 0, v7 :: v_dual_cndmask_b32 v6, 3, v6
	v_cmp_ne_u64_e32 vcc_lo, 0, v[6:7]
                                        ; implicit-def: $vgpr7
	s_or_b32 s13, s13, vcc_lo
	s_delay_alu instid0(SALU_CYCLE_1) | instskip(NEXT) | instid1(SALU_CYCLE_1)
	s_and_saveexec_b32 s74, s13
	s_xor_b32 s13, exec_lo, s74
; %bb.4949:                             ;   in Loop: Header=BB6_4919 Depth=4
	v_min_i32_e32 v7, 31, v8
	s_delay_alu instid0(VALU_DEP_1) | instskip(NEXT) | instid1(VALU_DEP_1)
	v_lshl_or_b32 v7, v7, 2, v11
                                        ; implicit-def: $vgpr11
	v_and_or_b32 v7, v6, 3, v7
; %bb.4950:                             ;   in Loop: Header=BB6_4919 Depth=4
	s_and_not1_saveexec_b32 s13, s13
; %bb.4951:                             ;   in Loop: Header=BB6_4919 Depth=4
	v_mov_b32_e32 v7, v11
; %bb.4952:                             ;   in Loop: Header=BB6_4919 Depth=4
	s_or_b32 exec_lo, exec_lo, s13
.LBB6_4953:                             ;   in Loop: Header=BB6_4919 Depth=4
	s_delay_alu instid0(SALU_CYCLE_1)
	s_or_b32 exec_lo, exec_lo, s73
                                        ; implicit-def: $vgpr11
.LBB6_4954:                             ;   in Loop: Header=BB6_4919 Depth=4
	s_and_not1_saveexec_b32 s13, s72
; %bb.4955:                             ;   in Loop: Header=BB6_4919 Depth=4
	v_or_b32_e32 v7, 0x7b, v11
; %bb.4956:                             ;   in Loop: Header=BB6_4919 Depth=4
	s_or_b32 exec_lo, exec_lo, s13
                                        ; implicit-def: $vgpr6
.LBB6_4957:                             ;   in Loop: Header=BB6_4919 Depth=4
	s_and_not1_saveexec_b32 s13, s63
	s_cbranch_execz .LBB6_4918
; %bb.4958:                             ;   in Loop: Header=BB6_4919 Depth=4
	s_mov_b32 s63, exec_lo
                                        ; implicit-def: $vgpr7
	v_cmpx_ne_u64_e32 0, v[20:21]
	s_xor_b32 s63, exec_lo, s63
; %bb.4959:                             ;   in Loop: Header=BB6_4919 Depth=4
	v_lshrrev_b32_e32 v6, 24, v6
	s_delay_alu instid0(VALU_DEP_1)
	v_or_b32_e32 v7, 0x7f, v6
                                        ; implicit-def: $vgpr6
; %bb.4960:                             ;   in Loop: Header=BB6_4919 Depth=4
	s_and_not1_saveexec_b32 s63, s63
	s_cbranch_execz .LBB6_4917
; %bb.4961:                             ;   in Loop: Header=BB6_4919 Depth=4
	v_cmp_lt_i32_e32 vcc_lo, -1, v6
	v_cndmask_b32_e64 v7, -4, 0x7c, vcc_lo
	s_branch .LBB6_4917
.LBB6_4962:                             ;   in Loop: Header=BB6_274 Depth=3
	s_or_b32 exec_lo, exec_lo, s14
	v_cmp_lt_i32_e64 s13, 0, v107
	s_and_saveexec_b32 s14, s2
	s_cbranch_execnz .LBB6_4963
; %bb.15053:                            ;   in Loop: Header=BB6_274 Depth=3
	s_add_pc_i64 .LBB6_349-.Lpost_addpc36
.Lpost_addpc36:
.LBB6_4963:                             ;   in Loop: Header=BB6_274 Depth=3
	s_and_saveexec_b32 s62, s3
	s_delay_alu instid0(SALU_CYCLE_1)
	s_xor_b32 s62, exec_lo, s62
	s_cbranch_execz .LBB6_4978
; %bb.4964:                             ;   in Loop: Header=BB6_274 Depth=3
	s_and_saveexec_b32 s63, s6
	s_cbranch_execz .LBB6_4977
; %bb.4965:                             ;   in Loop: Header=BB6_274 Depth=3
	s_mov_b32 s73, exec_lo
	s_mov_b32 s72, exec_lo
	v_mbcnt_lo_u32_b32 v0, s73, 0
	global_wb scope:SCOPE_DEV
	s_wait_storecnt 0x0
	s_wait_loadcnt_dscnt 0x0
	global_inv scope:SCOPE_DEV
	v_cmpx_eq_u32_e32 0, v0
	s_cbranch_execz .LBB6_4967
; %bb.4966:                             ;   in Loop: Header=BB6_274 Depth=3
	s_bcnt1_i32_b32 s73, s73
	s_delay_alu instid0(SALU_CYCLE_1)
	v_dual_mov_b32 v1, v21 :: v_dual_mov_b32 v0, s73
	s_wait_loadcnt 0x0
	ds_add_u64 v0, v[0:1]
	s_trap 2
.LBB6_4967:                             ;   in Loop: Header=BB6_274 Depth=3
	s_or_b32 exec_lo, exec_lo, s72
	s_trap 2
	ds_load_b64 v[0:1], v0
	s_wait_dscnt 0x0
	v_add_nc_u64_e32 v[84:85], v[84:85], v[26:27]
	s_mov_b32 s72, exec_lo
	s_delay_alu instid0(VALU_DEP_1)
	v_cmpx_lt_u64_e64 v[0:1], v[84:85]
	s_cbranch_execz .LBB6_4976
; %bb.4968:                             ;   in Loop: Header=BB6_274 Depth=3
	s_mov_b32 s73, 0
	s_mov_b32 s76, 0
                                        ; implicit-def: $sgpr74
                                        ; implicit-def: $sgpr75
	s_branch .LBB6_4970
.LBB6_4969:                             ;   in Loop: Header=BB6_4970 Depth=4
	s_or_b32 exec_lo, exec_lo, s78
	s_delay_alu instid0(SALU_CYCLE_1) | instskip(NEXT) | instid1(SALU_CYCLE_1)
	s_and_b32 s77, exec_lo, s79
	s_or_b32 s73, s77, s73
	s_and_not1_b32 s74, s74, exec_lo
	s_and_b32 s77, s75, exec_lo
	s_delay_alu instid0(SALU_CYCLE_1)
	s_or_b32 s74, s74, s77
	s_and_not1_b32 exec_lo, exec_lo, s73
	s_cbranch_execz .LBB6_4974
.LBB6_4970:                             ;   Parent Loop BB6_47 Depth=1
                                        ;     Parent Loop BB6_271 Depth=2
                                        ;       Parent Loop BB6_274 Depth=3
                                        ; =>      This Inner Loop Header: Depth=4
	s_add_co_i32 s76, s76, 1
	s_delay_alu instid0(SALU_CYCLE_1) | instskip(SKIP_1) | instid1(SALU_CYCLE_1)
	s_cmp_lg_u32 s76, 0x2710
	s_cselect_b32 s77, -1, 0
	s_and_b32 vcc_lo, exec_lo, s77
	s_cbranch_vccz .LBB6_4972
; %bb.4971:                             ;   in Loop: Header=BB6_4970 Depth=4
	s_mov_b32 s79, -1
	s_or_b32 s75, s75, exec_lo
	s_and_saveexec_b32 s78, s77
	s_cbranch_execz .LBB6_4969
	s_branch .LBB6_4973
.LBB6_4972:                             ;   in Loop: Header=BB6_4970 Depth=4
	s_trap 2
	ds_load_b64 v[0:1], v0
	s_and_not1_b32 s77, s77, exec_lo
	s_mov_b32 s76, 0
	s_wait_loadcnt_dscnt 0x0
	flat_load_b32 v0, v[0:1] scope:SCOPE_SYS
	s_wait_loadcnt_dscnt 0x0
	global_inv scope:SCOPE_SYS
	v_cmp_eq_u32_e32 vcc_lo, 0, v0
	s_and_b32 s78, vcc_lo, exec_lo
	s_delay_alu instid0(SALU_CYCLE_1)
	s_or_b32 s77, s77, s78
	s_mov_b32 s79, -1
	s_or_b32 s75, s75, exec_lo
	s_wait_xcnt 0x0
	s_and_saveexec_b32 s78, s77
	s_cbranch_execz .LBB6_4969
.LBB6_4973:                             ;   in Loop: Header=BB6_4970 Depth=4
	s_sleep 1
	s_trap 2
	ds_load_b64 v[0:1], v0
	s_wait_dscnt 0x0
	s_and_not1_b32 s75, s75, exec_lo
	v_cmp_ge_u64_e32 vcc_lo, v[0:1], v[84:85]
	s_or_not1_b32 s79, vcc_lo, exec_lo
	s_branch .LBB6_4969
.LBB6_4974:                             ;   in Loop: Header=BB6_274 Depth=3
	s_or_b32 exec_lo, exec_lo, s73
	s_and_saveexec_b32 s73, s74
	s_delay_alu instid0(SALU_CYCLE_1)
	s_xor_b32 s73, exec_lo, s73
	s_cbranch_execz .LBB6_4976
; %bb.4975:                             ;   in Loop: Header=BB6_274 Depth=3
	ds_store_b32 v0, v118
	s_trap 2
.LBB6_4976:                             ;   in Loop: Header=BB6_274 Depth=3
	s_or_b32 exec_lo, exec_lo, s72
	;;#ASMSTART
	s_wakeup
	;;#ASMEND
.LBB6_4977:                             ;   in Loop: Header=BB6_274 Depth=3
	s_or_b32 exec_lo, exec_lo, s63
.LBB6_4978:                             ;   in Loop: Header=BB6_274 Depth=3
	s_and_not1_saveexec_b32 s62, s62
	s_cbranch_execz .LBB6_4980
; %bb.4979:                             ;   in Loop: Header=BB6_274 Depth=3
	global_wb scope:SCOPE_DEV
	s_wait_storecnt 0x0
	s_wait_loadcnt_dscnt 0x0
	global_inv scope:SCOPE_DEV
	s_barrier_signal -1
	s_barrier_wait -1
.LBB6_4980:                             ;   in Loop: Header=BB6_274 Depth=3
	s_or_b32 exec_lo, exec_lo, s62
	s_delay_alu instid0(SALU_CYCLE_1) | instskip(SKIP_1) | instid1(SALU_CYCLE_1)
	s_or_b32 exec_lo, exec_lo, s14
                                        ; implicit-def: $vgpr0
	s_and_saveexec_b32 s14, s10
	s_xor_b32 s14, exec_lo, s14
	s_cbranch_execz .LBB6_4981
; %bb.15055:                            ;   in Loop: Header=BB6_274 Depth=3
	s_add_pc_i64 .LBB6_350-.Lpost_addpc37
.Lpost_addpc37:
.LBB6_4981:                             ;   in Loop: Header=BB6_274 Depth=3
	s_and_not1_saveexec_b32 s13, s14
	s_cbranch_execz .LBB6_5000
.LBB6_4982:                             ;   in Loop: Header=BB6_274 Depth=3
	s_and_saveexec_b32 s14, s3
	s_delay_alu instid0(SALU_CYCLE_1)
	s_xor_b32 s14, exec_lo, s14
	s_cbranch_execz .LBB6_4997
; %bb.4983:                             ;   in Loop: Header=BB6_274 Depth=3
	s_and_saveexec_b32 s62, s6
	s_cbranch_execz .LBB6_4996
; %bb.4984:                             ;   in Loop: Header=BB6_274 Depth=3
	s_mov_b32 s72, exec_lo
	s_mov_b32 s63, exec_lo
	v_mbcnt_lo_u32_b32 v0, s72, 0
	;;#ASMSTART
	s_waitcnt lgkmcnt(0) vmcnt(0)
	;;#ASMEND
	s_delay_alu instid0(VALU_DEP_1)
	v_cmpx_eq_u32_e32 0, v0
	s_cbranch_execz .LBB6_4986
; %bb.4985:                             ;   in Loop: Header=BB6_274 Depth=3
	s_bcnt1_i32_b32 s72, s72
	s_delay_alu instid0(SALU_CYCLE_1)
	v_dual_mov_b32 v1, v21 :: v_dual_mov_b32 v0, s72
	s_wait_storecnt 0x0
	s_wait_loadcnt_dscnt 0x0
	ds_add_u64 v0, v[0:1]
	s_trap 2
.LBB6_4986:                             ;   in Loop: Header=BB6_274 Depth=3
	s_or_b32 exec_lo, exec_lo, s63
	s_trap 2
	ds_load_b64 v[0:1], v0
	s_wait_loadcnt_dscnt 0x0
	v_add_nc_u64_e32 v[84:85], v[84:85], v[26:27]
	s_mov_b32 s63, exec_lo
	s_delay_alu instid0(VALU_DEP_1)
	v_cmpx_lt_u64_e64 v[0:1], v[84:85]
	s_cbranch_execz .LBB6_4995
; %bb.4987:                             ;   in Loop: Header=BB6_274 Depth=3
	s_mov_b32 s72, 0
	s_mov_b32 s75, 0
                                        ; implicit-def: $sgpr73
                                        ; implicit-def: $sgpr74
	s_branch .LBB6_4989
.LBB6_4988:                             ;   in Loop: Header=BB6_4989 Depth=4
	s_or_b32 exec_lo, exec_lo, s77
	s_delay_alu instid0(SALU_CYCLE_1) | instskip(NEXT) | instid1(SALU_CYCLE_1)
	s_and_b32 s76, exec_lo, s78
	s_or_b32 s72, s76, s72
	s_and_not1_b32 s73, s73, exec_lo
	s_and_b32 s76, s74, exec_lo
	s_delay_alu instid0(SALU_CYCLE_1)
	s_or_b32 s73, s73, s76
	s_and_not1_b32 exec_lo, exec_lo, s72
	s_cbranch_execz .LBB6_4993
.LBB6_4989:                             ;   Parent Loop BB6_47 Depth=1
                                        ;     Parent Loop BB6_271 Depth=2
                                        ;       Parent Loop BB6_274 Depth=3
                                        ; =>      This Inner Loop Header: Depth=4
	s_add_co_i32 s75, s75, 1
	s_delay_alu instid0(SALU_CYCLE_1) | instskip(SKIP_1) | instid1(SALU_CYCLE_1)
	s_cmp_lg_u32 s75, 0x2710
	s_cselect_b32 s76, -1, 0
	s_and_b32 vcc_lo, exec_lo, s76
	s_cbranch_vccz .LBB6_4991
; %bb.4990:                             ;   in Loop: Header=BB6_4989 Depth=4
	s_mov_b32 s78, -1
	s_or_b32 s74, s74, exec_lo
	s_and_saveexec_b32 s77, s76
	s_cbranch_execz .LBB6_4988
	s_branch .LBB6_4992
.LBB6_4991:                             ;   in Loop: Header=BB6_4989 Depth=4
	s_trap 2
	ds_load_b64 v[0:1], v0
	s_and_not1_b32 s76, s76, exec_lo
	s_mov_b32 s75, 0
	s_wait_storecnt_dscnt 0x0
	flat_load_b32 v0, v[0:1] scope:SCOPE_SYS
	s_wait_loadcnt_dscnt 0x0
	global_inv scope:SCOPE_SYS
	v_cmp_eq_u32_e32 vcc_lo, 0, v0
	s_and_b32 s77, vcc_lo, exec_lo
	s_delay_alu instid0(SALU_CYCLE_1)
	s_or_b32 s76, s76, s77
	s_mov_b32 s78, -1
	s_or_b32 s74, s74, exec_lo
	s_wait_xcnt 0x0
	s_and_saveexec_b32 s77, s76
	s_cbranch_execz .LBB6_4988
.LBB6_4992:                             ;   in Loop: Header=BB6_4989 Depth=4
	s_sleep 1
	s_trap 2
	ds_load_b64 v[0:1], v0
	s_wait_dscnt 0x0
	s_and_not1_b32 s74, s74, exec_lo
	v_cmp_ge_u64_e32 vcc_lo, v[0:1], v[84:85]
	s_or_not1_b32 s78, vcc_lo, exec_lo
	s_branch .LBB6_4988
.LBB6_4993:                             ;   in Loop: Header=BB6_274 Depth=3
	s_or_b32 exec_lo, exec_lo, s72
	s_and_saveexec_b32 s72, s73
	s_delay_alu instid0(SALU_CYCLE_1)
	s_xor_b32 s72, exec_lo, s72
	s_cbranch_execz .LBB6_4995
; %bb.4994:                             ;   in Loop: Header=BB6_274 Depth=3
	ds_store_b32 v0, v118
	s_trap 2
.LBB6_4995:                             ;   in Loop: Header=BB6_274 Depth=3
	s_or_b32 exec_lo, exec_lo, s63
	;;#ASMSTART
	s_wakeup
	;;#ASMEND
.LBB6_4996:                             ;   in Loop: Header=BB6_274 Depth=3
	s_or_b32 exec_lo, exec_lo, s62
.LBB6_4997:                             ;   in Loop: Header=BB6_274 Depth=3
	s_and_not1_saveexec_b32 s14, s14
	s_cbranch_execz .LBB6_4999
; %bb.4998:                             ;   in Loop: Header=BB6_274 Depth=3
	;;#ASMSTART
	s_waitcnt lgkmcnt(0) vmcnt(0)
	;;#ASMEND
	s_barrier_signal -1
	s_barrier_wait -1
.LBB6_4999:                             ;   in Loop: Header=BB6_274 Depth=3
	s_or_b32 exec_lo, exec_lo, s14
	v_and_b32_e32 v0, 16, v81
.LBB6_5000:                             ;   in Loop: Header=BB6_274 Depth=3
	s_or_b32 exec_lo, exec_lo, s13
	s_delay_alu instid0(VALU_DEP_1) | instskip(SKIP_1) | instid1(SALU_CYCLE_1)
	v_cmp_ne_u32_e32 vcc_lo, 0, v0
	s_xor_b32 s13, s4, -1
	s_and_b32 s14, vcc_lo, s13
	s_delay_alu instid0(SALU_CYCLE_1)
	s_and_saveexec_b32 s13, s14
	s_cbranch_execz .LBB6_5002
; %bb.5001:                             ;   in Loop: Header=BB6_274 Depth=3
	global_wb scope:SCOPE_SYS
	s_wait_storecnt 0x0
	s_wait_loadcnt_dscnt 0x0
	flat_store_b32 v[100:101], v118 scope:SCOPE_SYS
.LBB6_5002:                             ;   in Loop: Header=BB6_274 Depth=3
	s_wait_xcnt 0x0
	s_or_b32 exec_lo, exec_lo, s13
	v_and_b32_e32 v0, 48, v81
	s_mov_b32 s13, exec_lo
	s_delay_alu instid0(VALU_DEP_1)
	v_cmpx_ne_u32_e32 0, v0
	s_cbranch_execnz .LBB6_5003
; %bb.15057:                            ;   in Loop: Header=BB6_274 Depth=3
	s_add_pc_i64 .LBB6_273-.Lpost_addpc38
.Lpost_addpc38:
.LBB6_5003:                             ;   in Loop: Header=BB6_274 Depth=3
	v_add_nc_u64_e32 v[94:95], 2, v[94:95]
	global_wb scope:SCOPE_SYS
	s_wait_storecnt 0x0
	s_wait_loadcnt_dscnt 0x0
	flat_store_b64 v[86:87], v[94:95] scope:SCOPE_SYS
; %bb.15025:                            ;   in Loop: Header=BB6_274 Depth=3
	s_add_pc_i64 .LBB6_273-.Lpost_addpc22
.Lpost_addpc22:
.LBB6_5004:                             ;   in Loop: Header=BB6_271 Depth=2
	s_or_b32 exec_lo, exec_lo, s29
.LBB6_5005:                             ;   in Loop: Header=BB6_271 Depth=2
	s_delay_alu instid0(SALU_CYCLE_1) | instskip(NEXT) | instid1(SALU_CYCLE_1)
	s_or_b32 exec_lo, exec_lo, s18
	s_mov_b32 s14, exec_lo
	v_cmpx_gt_i32_e32 2, v0
	s_cbranch_execnz .LBB6_5006
; %bb.15059:                            ;   in Loop: Header=BB6_271 Depth=2
	s_add_pc_i64 .LBB6_270-.Lpost_addpc39
.Lpost_addpc39:
.LBB6_5006:                             ;   in Loop: Header=BB6_271 Depth=2
	v_cmp_eq_u32_e64 s29, 0, v0
	s_mov_b32 s18, 0
	s_branch .LBB6_5008
.LBB6_5007:                             ;   in Loop: Header=BB6_5008 Depth=3
	s_wait_xcnt 0x0
	s_or_b32 exec_lo, exec_lo, s13
	v_add_nc_u32_e32 v110, v108, v110
	s_mov_b32 s29, 0
	s_and_not1_b32 exec_lo, exec_lo, s18
	s_cbranch_execnz .LBB6_5008
; %bb.15061:                            ;   in Loop: Header=BB6_271 Depth=2
	s_add_pc_i64 .LBB6_269-.Lpost_addpc40
.Lpost_addpc40:
.LBB6_5008:                             ;   Parent Loop BB6_47 Depth=1
                                        ;     Parent Loop BB6_271 Depth=2
                                        ; =>    This Loop Header: Depth=3
                                        ;         Child Loop BB6_5014 Depth 4
                                        ;         Child Loop BB6_5042 Depth 4
	;; [unrolled: 1-line block ×3, first 2 shown]
	s_delay_alu instid0(VALU_DEP_1) | instskip(SKIP_1) | instid1(VALU_DEP_1)
	v_dual_sub_nc_u32 v0, v106, v110 :: v_dual_bitop2_b32 v1, 12, v81 bitop3:0x40
	s_mov_b32 s42, exec_lo
	v_min_i32_e32 v108, v108, v0
	s_delay_alu instid0(VALU_DEP_2)
	v_cmpx_ne_u32_e32 0, v1
	s_cbranch_execz .LBB6_5034
; %bb.5009:                             ;   in Loop: Header=BB6_5008 Depth=3
	v_dual_mov_b32 v3, v21 :: v_dual_bitop2_b32 v2, 8, v81 bitop3:0x40
	v_add_nc_u64_e32 v[0:1], 2, v[94:95]
	s_mov_b32 s43, exec_lo
	s_wait_loadcnt_dscnt 0x1
	s_delay_alu instid0(VALU_DEP_2) | instskip(NEXT) | instid1(VALU_DEP_1)
	v_add_nc_u64_e32 v[4:5], v[102:103], v[2:3]
	v_cmpx_lt_u64_e64 v[4:5], v[0:1]
	s_cbranch_execz .LBB6_5021
; %bb.5010:                             ;   in Loop: Header=BB6_5008 Depth=3
	v_and_b32_e32 v4, 64, v81
	s_mov_b32 s62, 0
	s_mov_b32 s74, 0
                                        ; implicit-def: $sgpr63
                                        ; implicit-def: $sgpr72
                                        ; implicit-def: $sgpr73
	s_delay_alu instid0(VALU_DEP_1)
	v_cmp_eq_u32_e32 vcc_lo, 0, v4
	s_branch .LBB6_5014
.LBB6_5011:                             ;   in Loop: Header=BB6_5014 Depth=4
	s_wait_loadcnt_dscnt 0x0
	v_add_nc_u64_e32 v[6:7], v[102:103], v[2:3]
	s_or_b32 s77, s77, exec_lo
	s_delay_alu instid0(VALU_DEP_1)
	v_cmp_ge_u64_e64 s13, v[6:7], v[0:1]
	s_or_not1_b32 s76, s13, exec_lo
.LBB6_5012:                             ;   in Loop: Header=BB6_5014 Depth=4
	s_or_b32 exec_lo, exec_lo, s79
	s_delay_alu instid0(SALU_CYCLE_1)
	s_and_not1_b32 s13, s73, exec_lo
	s_and_b32 s73, s77, exec_lo
	s_and_not1_b32 s72, s72, exec_lo
	s_and_b32 s76, s76, exec_lo
	s_or_b32 s73, s13, s73
	s_or_b32 s72, s72, s76
.LBB6_5013:                             ;   in Loop: Header=BB6_5014 Depth=4
	s_or_b32 exec_lo, exec_lo, s75
	s_delay_alu instid0(SALU_CYCLE_1) | instskip(NEXT) | instid1(SALU_CYCLE_1)
	s_and_b32 s13, exec_lo, s72
	s_or_b32 s62, s13, s62
	s_and_not1_b32 s13, s63, exec_lo
	s_and_b32 s63, s73, exec_lo
	s_delay_alu instid0(SALU_CYCLE_1)
	s_or_b32 s63, s13, s63
	s_and_not1_b32 exec_lo, exec_lo, s62
	s_cbranch_execz .LBB6_5018
.LBB6_5014:                             ;   Parent Loop BB6_47 Depth=1
                                        ;     Parent Loop BB6_271 Depth=2
                                        ;       Parent Loop BB6_5008 Depth=3
                                        ; =>      This Inner Loop Header: Depth=4
	s_sleep 1
	s_wait_loadcnt_dscnt 0x0
	flat_load_b64 v[102:103], v[86:87] scope:SCOPE_SYS
	s_or_b32 s73, s73, exec_lo
	s_or_b32 s72, s72, exec_lo
                                        ; implicit-def: $vgpr4
	s_wait_xcnt 0x0
	s_and_saveexec_b32 s75, vcc_lo
	s_cbranch_execz .LBB6_5013
; %bb.5015:                             ;   in Loop: Header=BB6_5014 Depth=4
	s_cmp_lt_i32 s74, 0x270f
	s_mov_b32 s76, -1
	s_cselect_b32 s78, -1, 0
	s_cmp_gt_i32 s74, 0x270e
	s_cbranch_scc0 .LBB6_5017
; %bb.5016:                             ;   in Loop: Header=BB6_5014 Depth=4
	s_trap 2
	ds_load_b64 v[4:5], v0
	s_and_not1_b32 s74, s78, exec_lo
	s_mov_b32 s77, 0
	s_wait_storecnt 0x0
	s_wait_loadcnt_dscnt 0x0
	flat_load_b32 v4, v[4:5] scope:SCOPE_SYS
	s_wait_loadcnt_dscnt 0x0
	global_inv scope:SCOPE_SYS
	v_cmp_eq_u32_e64 s13, 0, v4
	s_and_b32 s13, s13, exec_lo
	s_delay_alu instid0(SALU_CYCLE_1)
	s_or_b32 s78, s74, s13
	s_mov_b32 s74, 0
	s_wait_xcnt 0x0
	s_and_saveexec_b32 s79, s78
	s_cbranch_execz .LBB6_5012
	s_branch .LBB6_5011
.LBB6_5017:                             ;   in Loop: Header=BB6_5014 Depth=4
	s_add_co_i32 s74, s74, 1
	s_mov_b32 s77, -1
                                        ; implicit-def: $vgpr4
	s_and_saveexec_b32 s79, s78
	s_cbranch_execz .LBB6_5012
	s_branch .LBB6_5011
.LBB6_5018:                             ;   in Loop: Header=BB6_5008 Depth=3
	s_or_b32 exec_lo, exec_lo, s62
	s_xor_b32 s13, s63, -1
	s_delay_alu instid0(SALU_CYCLE_1) | instskip(NEXT) | instid1(SALU_CYCLE_1)
	s_and_saveexec_b32 s62, s13
	s_xor_b32 s13, exec_lo, s62
	s_cbranch_execz .LBB6_5020
; %bb.5019:                             ;   in Loop: Header=BB6_5008 Depth=3
	v_or_b32_e32 v81, 64, v81
	s_wait_storecnt 0x0
	s_wait_loadcnt_dscnt 0x0
	ds_store_b32 v0, v4
	s_trap 2
.LBB6_5020:                             ;   in Loop: Header=BB6_5008 Depth=3
	s_or_b32 exec_lo, exec_lo, s13
.LBB6_5021:                             ;   in Loop: Header=BB6_5008 Depth=3
	s_delay_alu instid0(SALU_CYCLE_1) | instskip(SKIP_3) | instid1(VALU_DEP_1)
	s_or_b32 exec_lo, exec_lo, s43
	v_and_b32_e32 v3, 0x108, v81
	s_mov_b32 s13, exec_lo
	;;#ASMSTART
	s_wakeup
	;;#ASMEND
                                        ; implicit-def: $vgpr4_vgpr5
	v_cmpx_ne_u32_e32 0x108, v3
	s_xor_b32 s13, exec_lo, s13
; %bb.5022:                             ;   in Loop: Header=BB6_5008 Depth=3
	v_dual_mov_b32 v5, v21 :: v_dual_bitop2_b32 v4, 7, v94 bitop3:0x40
                                        ; implicit-def: $vgpr94_vgpr95
; %bb.5023:                             ;   in Loop: Header=BB6_5008 Depth=3
	s_and_not1_saveexec_b32 s13, s13
	s_cbranch_execz .LBB6_5025
; %bb.5024:                             ;   in Loop: Header=BB6_5008 Depth=3
	v_dual_ashrrev_i32 v109, 31, v108 :: v_dual_bitop2_b32 v4, 7, v94 bitop3:0x40
	v_mov_b32_e32 v5, v21
	s_delay_alu instid0(VALU_DEP_2)
	v_mad_nc_u64_u32 v[6:7], v4, 24, v[82:83]
	flat_store_b64 v[6:7], v[108:109] offset:8
.LBB6_5025:                             ;   in Loop: Header=BB6_5008 Depth=3
	s_wait_xcnt 0x0
	s_or_b32 exec_lo, exec_lo, s13
	v_and_b32_e32 v3, 0x100, v81
	s_mov_b32 s13, -1
	s_mov_b32 s43, exec_lo
                                        ; implicit-def: $vgpr6_vgpr7
	s_delay_alu instid0(VALU_DEP_1)
	v_cmpx_ne_u32_e32 0, v3
	s_cbranch_execz .LBB6_5029
; %bb.5026:                             ;   in Loop: Header=BB6_5008 Depth=3
	v_mad_nc_u64_u32 v[8:9], v4, 24, v[82:83]
	s_mov_b32 s62, exec_lo
                                        ; implicit-def: $vgpr6_vgpr7
	s_delay_alu instid0(VALU_DEP_1)
	v_mad_u32 v9, v5, 24, v9
	flat_load_b32 v3, v[8:9]
	s_wait_loadcnt_dscnt 0x0
	v_cmp_ne_u32_e32 vcc_lo, 1, v3
	s_wait_xcnt 0x0
	v_cmpx_eq_u32_e32 1, v3
	s_cbranch_execz .LBB6_5028
; %bb.5027:                             ;   in Loop: Header=BB6_5008 Depth=3
	flat_load_b32 v6, v[8:9] offset:4 scope:SCOPE_SYS
	s_wait_loadcnt_dscnt 0x0
	v_ashrrev_i32_e32 v7, 31, v6
.LBB6_5028:                             ;   in Loop: Header=BB6_5008 Depth=3
	s_wait_xcnt 0x0
	s_or_b32 exec_lo, exec_lo, s62
	s_delay_alu instid0(SALU_CYCLE_1)
	s_or_not1_b32 s13, vcc_lo, exec_lo
.LBB6_5029:                             ;   in Loop: Header=BB6_5008 Depth=3
	s_or_b32 exec_lo, exec_lo, s43
	s_and_saveexec_b32 s43, s13
; %bb.5030:                             ;   in Loop: Header=BB6_5008 Depth=3
	v_mul_u64_e32 v[6:7], v[4:5], v[96:97]
; %bb.5031:                             ;   in Loop: Header=BB6_5008 Depth=3
	s_or_b32 exec_lo, exec_lo, s43
	v_cmp_eq_u32_e32 vcc_lo, 0, v2
	s_delay_alu instid0(VALU_DEP_2) | instskip(SKIP_3) | instid1(VALU_DEP_1)
	v_add_nc_u64_e32 v[2:3], v[98:99], v[6:7]
	v_and_b32_e32 v5, 0x2000, v81
	s_mov_b32 s13, exec_lo
	v_cndmask_b32_e32 v4, 0xc8, v119, vcc_lo
	v_add_nc_u32_e32 v4, v0, v4
	ds_store_b64 v4, v[2:3] offset:584
	v_cmpx_ne_u32_e32 0, v5
	s_cbranch_execz .LBB6_5033
; %bb.5032:                             ;   in Loop: Header=BB6_5008 Depth=3
	ds_load_b64 v[2:3], v0 offset:872
	s_wait_dscnt 0x0
	v_add_nc_u64_e32 v[2:3], 1, v[2:3]
	ds_store_b64 v0, v[2:3] offset:872
.LBB6_5033:                             ;   in Loop: Header=BB6_5008 Depth=3
	s_or_b32 exec_lo, exec_lo, s13
	v_mov_b64_e32 v[94:95], v[0:1]
.LBB6_5034:                             ;   in Loop: Header=BB6_5008 Depth=3
	s_or_b32 exec_lo, exec_lo, s42
	s_xor_b32 s13, s29, -1
	s_delay_alu instid0(SALU_CYCLE_1) | instskip(NEXT) | instid1(SALU_CYCLE_1)
	s_and_b32 s13, exec_lo, s13
	s_or_b32 s18, s13, s18
	s_and_saveexec_b32 s13, s2
	s_cbranch_execz .LBB6_5053
; %bb.5035:                             ;   in Loop: Header=BB6_5008 Depth=3
	s_and_saveexec_b32 s29, s3
	s_delay_alu instid0(SALU_CYCLE_1)
	s_xor_b32 s29, exec_lo, s29
	s_cbranch_execz .LBB6_5050
; %bb.5036:                             ;   in Loop: Header=BB6_5008 Depth=3
	s_and_saveexec_b32 s42, s6
	s_cbranch_execz .LBB6_5049
; %bb.5037:                             ;   in Loop: Header=BB6_5008 Depth=3
	s_mov_b32 s62, exec_lo
	s_mov_b32 s43, exec_lo
	v_mbcnt_lo_u32_b32 v0, s62, 0
	global_wb scope:SCOPE_DEV
	s_wait_storecnt 0x0
	s_wait_loadcnt_dscnt 0x0
	global_inv scope:SCOPE_DEV
	v_cmpx_eq_u32_e32 0, v0
	s_cbranch_execz .LBB6_5039
; %bb.5038:                             ;   in Loop: Header=BB6_5008 Depth=3
	s_bcnt1_i32_b32 s62, s62
	s_delay_alu instid0(SALU_CYCLE_1)
	v_dual_mov_b32 v1, v21 :: v_dual_mov_b32 v0, s62
	s_wait_loadcnt 0x0
	ds_add_u64 v0, v[0:1]
	s_trap 2
.LBB6_5039:                             ;   in Loop: Header=BB6_5008 Depth=3
	s_or_b32 exec_lo, exec_lo, s43
	s_trap 2
	ds_load_b64 v[0:1], v0
	s_wait_dscnt 0x0
	v_add_nc_u64_e32 v[84:85], v[84:85], v[26:27]
	s_mov_b32 s43, exec_lo
	s_delay_alu instid0(VALU_DEP_1)
	v_cmpx_lt_u64_e64 v[0:1], v[84:85]
	s_cbranch_execz .LBB6_5048
; %bb.5040:                             ;   in Loop: Header=BB6_5008 Depth=3
	s_mov_b32 s62, 0
	s_mov_b32 s73, 0
                                        ; implicit-def: $sgpr63
                                        ; implicit-def: $sgpr72
	s_branch .LBB6_5042
.LBB6_5041:                             ;   in Loop: Header=BB6_5042 Depth=4
	s_or_b32 exec_lo, exec_lo, s75
	s_delay_alu instid0(SALU_CYCLE_1) | instskip(NEXT) | instid1(SALU_CYCLE_1)
	s_and_b32 s74, exec_lo, s76
	s_or_b32 s62, s74, s62
	s_and_not1_b32 s63, s63, exec_lo
	s_and_b32 s74, s72, exec_lo
	s_delay_alu instid0(SALU_CYCLE_1)
	s_or_b32 s63, s63, s74
	s_and_not1_b32 exec_lo, exec_lo, s62
	s_cbranch_execz .LBB6_5046
.LBB6_5042:                             ;   Parent Loop BB6_47 Depth=1
                                        ;     Parent Loop BB6_271 Depth=2
                                        ;       Parent Loop BB6_5008 Depth=3
                                        ; =>      This Inner Loop Header: Depth=4
	s_add_co_i32 s73, s73, 1
	s_delay_alu instid0(SALU_CYCLE_1) | instskip(SKIP_1) | instid1(SALU_CYCLE_1)
	s_cmp_lg_u32 s73, 0x2710
	s_cselect_b32 s74, -1, 0
	s_and_b32 vcc_lo, exec_lo, s74
	s_cbranch_vccz .LBB6_5044
; %bb.5043:                             ;   in Loop: Header=BB6_5042 Depth=4
	s_mov_b32 s76, -1
	s_or_b32 s72, s72, exec_lo
	s_and_saveexec_b32 s75, s74
	s_cbranch_execz .LBB6_5041
	s_branch .LBB6_5045
.LBB6_5044:                             ;   in Loop: Header=BB6_5042 Depth=4
	s_trap 2
	ds_load_b64 v[0:1], v0
	s_and_not1_b32 s74, s74, exec_lo
	s_mov_b32 s73, 0
	s_wait_loadcnt_dscnt 0x0
	flat_load_b32 v0, v[0:1] scope:SCOPE_SYS
	s_wait_loadcnt_dscnt 0x0
	global_inv scope:SCOPE_SYS
	v_cmp_eq_u32_e32 vcc_lo, 0, v0
	s_and_b32 s75, vcc_lo, exec_lo
	s_delay_alu instid0(SALU_CYCLE_1)
	s_or_b32 s74, s74, s75
	s_mov_b32 s76, -1
	s_or_b32 s72, s72, exec_lo
	s_wait_xcnt 0x0
	s_and_saveexec_b32 s75, s74
	s_cbranch_execz .LBB6_5041
.LBB6_5045:                             ;   in Loop: Header=BB6_5042 Depth=4
	s_sleep 1
	s_trap 2
	ds_load_b64 v[0:1], v0
	s_wait_dscnt 0x0
	s_and_not1_b32 s72, s72, exec_lo
	v_cmp_ge_u64_e32 vcc_lo, v[0:1], v[84:85]
	s_or_not1_b32 s76, vcc_lo, exec_lo
	s_branch .LBB6_5041
.LBB6_5046:                             ;   in Loop: Header=BB6_5008 Depth=3
	s_or_b32 exec_lo, exec_lo, s62
	s_and_saveexec_b32 s62, s63
	s_delay_alu instid0(SALU_CYCLE_1)
	s_xor_b32 s62, exec_lo, s62
	s_cbranch_execz .LBB6_5048
; %bb.5047:                             ;   in Loop: Header=BB6_5008 Depth=3
	ds_store_b32 v0, v118
	s_trap 2
.LBB6_5048:                             ;   in Loop: Header=BB6_5008 Depth=3
	s_or_b32 exec_lo, exec_lo, s43
	;;#ASMSTART
	s_wakeup
	;;#ASMEND
.LBB6_5049:                             ;   in Loop: Header=BB6_5008 Depth=3
	s_or_b32 exec_lo, exec_lo, s42
.LBB6_5050:                             ;   in Loop: Header=BB6_5008 Depth=3
	s_and_not1_saveexec_b32 s29, s29
	s_cbranch_execz .LBB6_5052
; %bb.5051:                             ;   in Loop: Header=BB6_5008 Depth=3
	global_wb scope:SCOPE_DEV
	s_wait_storecnt 0x0
	s_wait_loadcnt_dscnt 0x0
	global_inv scope:SCOPE_DEV
	s_barrier_signal -1
	s_barrier_wait -1
.LBB6_5052:                             ;   in Loop: Header=BB6_5008 Depth=3
	s_or_b32 exec_lo, exec_lo, s29
.LBB6_5053:                             ;   in Loop: Header=BB6_5008 Depth=3
	s_delay_alu instid0(SALU_CYCLE_1) | instskip(SKIP_1) | instid1(SALU_CYCLE_1)
	s_or_b32 exec_lo, exec_lo, s13
                                        ; implicit-def: $vgpr0
	s_and_saveexec_b32 s13, s57
	s_xor_b32 s13, exec_lo, s13
	s_cbranch_execz .LBB6_5065
; %bb.5054:                             ;   in Loop: Header=BB6_5008 Depth=3
	s_and_saveexec_b32 s29, s3
	s_delay_alu instid0(SALU_CYCLE_1)
	s_xor_b32 s29, exec_lo, s29
	s_cbranch_execz .LBB6_5070
; %bb.5055:                             ;   in Loop: Header=BB6_5008 Depth=3
	s_and_saveexec_b32 s42, s6
	s_cbranch_execz .LBB6_5069
; %bb.5056:                             ;   in Loop: Header=BB6_5008 Depth=3
	s_mov_b32 s62, exec_lo
	s_mov_b32 s43, exec_lo
	v_mbcnt_lo_u32_b32 v0, s62, 0
	;;#ASMSTART
	s_waitcnt lgkmcnt(0) vmcnt(0)
	;;#ASMEND
	s_delay_alu instid0(VALU_DEP_1)
	v_cmpx_eq_u32_e32 0, v0
	s_cbranch_execz .LBB6_5058
; %bb.5057:                             ;   in Loop: Header=BB6_5008 Depth=3
	s_bcnt1_i32_b32 s62, s62
	s_delay_alu instid0(SALU_CYCLE_1)
	v_dual_mov_b32 v1, v21 :: v_dual_mov_b32 v0, s62
	s_wait_storecnt 0x0
	s_wait_loadcnt_dscnt 0x0
	ds_add_u64 v0, v[0:1]
	s_trap 2
.LBB6_5058:                             ;   in Loop: Header=BB6_5008 Depth=3
	s_or_b32 exec_lo, exec_lo, s43
	s_trap 2
	ds_load_b64 v[0:1], v0
	s_wait_loadcnt_dscnt 0x0
	v_add_nc_u64_e32 v[84:85], v[84:85], v[26:27]
	s_mov_b32 s43, exec_lo
	s_delay_alu instid0(VALU_DEP_1)
	v_cmpx_lt_u64_e64 v[0:1], v[84:85]
	s_cbranch_execz .LBB6_5068
; %bb.5059:                             ;   in Loop: Header=BB6_5008 Depth=3
	s_mov_b32 s62, 0
	s_mov_b32 s73, 0
                                        ; implicit-def: $sgpr63
                                        ; implicit-def: $sgpr72
	s_branch .LBB6_5061
.LBB6_5060:                             ;   in Loop: Header=BB6_5061 Depth=4
	s_or_b32 exec_lo, exec_lo, s75
	s_delay_alu instid0(SALU_CYCLE_1) | instskip(NEXT) | instid1(SALU_CYCLE_1)
	s_and_b32 s74, exec_lo, s76
	s_or_b32 s62, s74, s62
	s_and_not1_b32 s63, s63, exec_lo
	s_and_b32 s74, s72, exec_lo
	s_delay_alu instid0(SALU_CYCLE_1)
	s_or_b32 s63, s63, s74
	s_and_not1_b32 exec_lo, exec_lo, s62
	s_cbranch_execz .LBB6_5066
.LBB6_5061:                             ;   Parent Loop BB6_47 Depth=1
                                        ;     Parent Loop BB6_271 Depth=2
                                        ;       Parent Loop BB6_5008 Depth=3
                                        ; =>      This Inner Loop Header: Depth=4
	s_add_co_i32 s73, s73, 1
	s_delay_alu instid0(SALU_CYCLE_1) | instskip(SKIP_1) | instid1(SALU_CYCLE_1)
	s_cmp_lg_u32 s73, 0x2710
	s_cselect_b32 s74, -1, 0
	s_and_b32 vcc_lo, exec_lo, s74
	s_cbranch_vccz .LBB6_5063
; %bb.5062:                             ;   in Loop: Header=BB6_5061 Depth=4
	s_mov_b32 s76, -1
	s_or_b32 s72, s72, exec_lo
	s_and_saveexec_b32 s75, s74
	s_cbranch_execz .LBB6_5060
	s_branch .LBB6_5064
.LBB6_5063:                             ;   in Loop: Header=BB6_5061 Depth=4
	s_trap 2
	ds_load_b64 v[0:1], v0
	s_and_not1_b32 s74, s74, exec_lo
	s_mov_b32 s73, 0
	s_wait_storecnt_dscnt 0x0
	flat_load_b32 v0, v[0:1] scope:SCOPE_SYS
	s_wait_loadcnt_dscnt 0x0
	global_inv scope:SCOPE_SYS
	v_cmp_eq_u32_e32 vcc_lo, 0, v0
	s_and_b32 s75, vcc_lo, exec_lo
	s_delay_alu instid0(SALU_CYCLE_1)
	s_or_b32 s74, s74, s75
	s_mov_b32 s76, -1
	s_or_b32 s72, s72, exec_lo
	s_wait_xcnt 0x0
	s_and_saveexec_b32 s75, s74
	s_cbranch_execz .LBB6_5060
.LBB6_5064:                             ;   in Loop: Header=BB6_5061 Depth=4
	s_sleep 1
	s_trap 2
	ds_load_b64 v[0:1], v0
	s_wait_dscnt 0x0
	s_and_not1_b32 s72, s72, exec_lo
	v_cmp_ge_u64_e32 vcc_lo, v[0:1], v[84:85]
	s_or_not1_b32 s76, vcc_lo, exec_lo
	s_branch .LBB6_5060
.LBB6_5065:                             ;   in Loop: Header=BB6_5008 Depth=3
	s_and_not1_saveexec_b32 s29, s13
	s_cbranch_execnz .LBB6_5073
	s_branch .LBB6_5076
.LBB6_5066:                             ;   in Loop: Header=BB6_5008 Depth=3
	s_or_b32 exec_lo, exec_lo, s62
	s_and_saveexec_b32 s62, s63
	s_delay_alu instid0(SALU_CYCLE_1)
	s_xor_b32 s62, exec_lo, s62
	s_cbranch_execz .LBB6_5068
; %bb.5067:                             ;   in Loop: Header=BB6_5008 Depth=3
	ds_store_b32 v0, v118
	s_trap 2
.LBB6_5068:                             ;   in Loop: Header=BB6_5008 Depth=3
	s_or_b32 exec_lo, exec_lo, s43
	;;#ASMSTART
	s_wakeup
	;;#ASMEND
.LBB6_5069:                             ;   in Loop: Header=BB6_5008 Depth=3
	s_or_b32 exec_lo, exec_lo, s42
.LBB6_5070:                             ;   in Loop: Header=BB6_5008 Depth=3
	s_and_not1_saveexec_b32 s29, s29
	s_cbranch_execz .LBB6_5072
; %bb.5071:                             ;   in Loop: Header=BB6_5008 Depth=3
	;;#ASMSTART
	s_waitcnt lgkmcnt(0) vmcnt(0)
	;;#ASMEND
	s_barrier_signal -1
	s_barrier_wait -1
.LBB6_5072:                             ;   in Loop: Header=BB6_5008 Depth=3
	s_or_b32 exec_lo, exec_lo, s29
	v_and_b32_e32 v0, 16, v81
	s_and_not1_saveexec_b32 s29, s13
	s_cbranch_execz .LBB6_5076
.LBB6_5073:                             ;   in Loop: Header=BB6_5008 Depth=3
	s_trap 2
	ds_load_b32 v0, v0
	v_cmp_lt_i32_e32 vcc_lo, 0, v108
	s_wait_dscnt 0x0
	v_readfirstlane_b32 s13, v0
	v_and_b32_e32 v0, 16, v81
	s_cmp_eq_u32 s13, 0
	s_delay_alu instid0(VALU_DEP_1) | instskip(SKIP_3) | instid1(SALU_CYCLE_1)
	v_cmp_ne_u32_e64 s13, 0, v0
	s_cselect_b32 s42, -1, 0
	v_and_b32_e32 v0, 16, v81
	s_and_b32 s42, vcc_lo, s42
	s_and_b32 s42, s13, s42
	s_delay_alu instid0(SALU_CYCLE_1)
	s_and_saveexec_b32 s13, s42
	s_cbranch_execz .LBB6_5075
; %bb.5074:                             ;   in Loop: Header=BB6_5008 Depth=3
	v_mov_b32_e32 v0, 1
	global_wb scope:SCOPE_SYS
	s_wait_loadcnt 0x0
	s_wait_storecnt 0x0
	global_inv scope:SCOPE_SYS
.LBB6_5075:                             ;   in Loop: Header=BB6_5008 Depth=3
	s_or_b32 exec_lo, exec_lo, s13
.LBB6_5076:                             ;   in Loop: Header=BB6_5008 Depth=3
	s_delay_alu instid0(SALU_CYCLE_1) | instskip(NEXT) | instid1(VALU_DEP_1)
	s_or_b32 exec_lo, exec_lo, s29
	v_cmp_ne_u32_e32 vcc_lo, 0, v0
	s_xor_b32 s13, s4, -1
	s_delay_alu instid0(SALU_CYCLE_1) | instskip(NEXT) | instid1(SALU_CYCLE_1)
	s_and_b32 s29, vcc_lo, s13
	s_and_saveexec_b32 s13, s29
	s_cbranch_execz .LBB6_5078
; %bb.5077:                             ;   in Loop: Header=BB6_5008 Depth=3
	global_wb scope:SCOPE_SYS
	s_wait_storecnt 0x0
	s_wait_loadcnt_dscnt 0x0
	flat_store_b32 v[100:101], v118 scope:SCOPE_SYS
.LBB6_5078:                             ;   in Loop: Header=BB6_5008 Depth=3
	s_wait_xcnt 0x0
	s_or_b32 exec_lo, exec_lo, s13
	v_and_b32_e32 v0, 48, v81
	s_mov_b32 s13, exec_lo
	s_delay_alu instid0(VALU_DEP_1)
	v_cmpx_ne_u32_e32 0, v0
	s_cbranch_execz .LBB6_5007
; %bb.5079:                             ;   in Loop: Header=BB6_5008 Depth=3
	v_add_nc_u64_e32 v[94:95], 2, v[94:95]
	global_wb scope:SCOPE_SYS
	s_wait_storecnt 0x0
	s_wait_loadcnt_dscnt 0x0
	flat_store_b64 v[86:87], v[94:95] scope:SCOPE_SYS
	s_branch .LBB6_5007
.LBB6_5080:                             ;   in Loop: Header=BB6_47 Depth=1
	s_clause 0x1
	scratch_load_b64 v[4:5], off, s33 offset:504
	scratch_load_b64 v[2:3], off, s33 offset:496
	v_mov_b32_e32 v106, 0
	s_wait_loadcnt 0x1
	v_mul_u64_e32 v[0:1], s[16:17], v[4:5]
	s_wait_loadcnt 0x0
	s_delay_alu instid0(VALU_DEP_1) | instskip(NEXT) | instid1(VALU_DEP_1)
	v_sub_nc_u64_e32 v[2:3], v[2:3], v[0:1]
	v_min_i64 v[4:5], v[4:5], v[2:3]
	s_delay_alu instid0(VALU_DEP_1) | instskip(SKIP_1) | instid1(VALU_DEP_2)
	v_max_i32_e32 v88, 0, v4
	v_cmp_lt_i32_e32 vcc_lo, 0, v4
	v_add_nc_u32_e32 v2, 31, v88
	s_and_b32 s13, s59, vcc_lo
	s_delay_alu instid0(VALU_DEP_1) | instskip(NEXT) | instid1(VALU_DEP_1)
	v_lshrrev_b32_e32 v2, 1, v2
	v_and_b32_e32 v3, 0x3ffffff0, v2
	s_delay_alu instid0(VALU_DEP_1)
	v_dual_mov_b32 v2, 0 :: v_dual_max_i32 v90, s47, v3
	s_wait_xcnt 0x0
	s_and_saveexec_b32 s18, s13
	s_cbranch_execnz .LBB6_5081
; %bb.15063:                            ;   in Loop: Header=BB6_47 Depth=1
	s_add_pc_i64 .LBB6_14437-.Lpost_addpc41
.Lpost_addpc41:
.LBB6_5081:                             ;   in Loop: Header=BB6_47 Depth=1
	v_add_nc_u64_e32 v[108:109], v[0:1], v[104:105]
	v_mov_b32_e32 v106, 0
	s_mov_b32 s63, 1
	s_mov_b32 s62, -1
	s_mov_b32 s29, 0
	s_clause 0x1
	scratch_store_b32 off, v88, s33 offset:336
	scratch_store_b64 off, v[108:109], s33 offset:340
	s_branch .LBB6_5083
.LBB6_5082:                             ;   in Loop: Header=BB6_5083 Depth=2
	s_wait_xcnt 0x0
	s_or_b32 exec_lo, exec_lo, s13
	v_dual_add_nc_u32 v106, v90, v106 :: v_dual_mov_b32 v2, s63
	s_xor_b32 s13, s62, -1
	s_mov_b32 s62, 0
	s_mov_b32 s63, 2
	s_delay_alu instid0(VALU_DEP_1) | instskip(SKIP_1) | instid1(SALU_CYCLE_1)
	v_cmp_ge_i32_e32 vcc_lo, v106, v88
	s_or_b32 s13, s13, vcc_lo
	s_and_b32 s13, exec_lo, s13
	s_delay_alu instid0(SALU_CYCLE_1) | instskip(NEXT) | instid1(SALU_CYCLE_1)
	s_or_b32 s29, s13, s29
	s_and_not1_b32 exec_lo, exec_lo, s29
	s_cbranch_execnz .LBB6_5083
; %bb.15065:                            ;   in Loop: Header=BB6_47 Depth=1
	s_add_pc_i64 .LBB6_14436-.Lpost_addpc42
.Lpost_addpc42:
.LBB6_5083:                             ;   Parent Loop BB6_47 Depth=1
                                        ; =>  This Loop Header: Depth=2
                                        ;       Child Loop BB6_5091 Depth 3
                                        ;       Child Loop BB6_5119 Depth 3
	;; [unrolled: 1-line block ×5, first 2 shown]
                                        ;         Child Loop BB6_8283 Depth 4
                                        ;       Child Loop BB6_8318 Depth 3
                                        ;       Child Loop BB6_9729 Depth 3
                                        ;         Child Loop BB6_9774 Depth 4
                                        ;       Child Loop BB6_9788 Depth 3
                                        ;       Child Loop BB6_12353 Depth 3
	;; [unrolled: 1-line block ×6, first 2 shown]
	s_wait_xcnt 0x0
	s_and_saveexec_b32 s13, s0
	s_cbranch_execz .LBB6_5085
; %bb.5084:                             ;   in Loop: Header=BB6_5083 Depth=2
	s_trap 2
	ds_load_b64 v[4:5], v0
	ds_load_2addr_b64 v[0:3], v0 offset1:1
	s_wait_dscnt 0x1
	v_add_nc_u64_e32 v[6:7], v[4:5], v[108:109]
	v_cmp_ne_u64_e32 vcc_lo, 0, v[4:5]
	v_ashrrev_i32_e32 v107, 31, v106
	s_wait_dscnt 0x0
	v_add_nc_u64_e32 v[0:1], v[0:1], v[108:109]
	v_add_nc_u64_e32 v[2:3], v[2:3], v[108:109]
	s_delay_alu instid0(VALU_DEP_3) | instskip(NEXT) | instid1(VALU_DEP_1)
	v_add_nc_u64_e32 v[6:7], v[6:7], v[106:107]
	v_cndmask_b32_e32 v5, 0, v7, vcc_lo
	s_delay_alu instid0(VALU_DEP_4) | instskip(NEXT) | instid1(VALU_DEP_4)
	v_add_nc_u64_e32 v[0:1], v[0:1], v[106:107]
	v_add_nc_u64_e32 v[2:3], v[2:3], v[106:107]
	s_delay_alu instid0(VALU_DEP_4)
	v_cndmask_b32_e32 v4, 0, v6, vcc_lo
	ds_store_b64 v0, v[0:1]
	ds_store_b64 v0, v[2:3]
	;; [unrolled: 1-line block ×3, first 2 shown]
.LBB6_5085:                             ;   in Loop: Header=BB6_5083 Depth=2
	s_or_b32 exec_lo, exec_lo, s13
	v_dual_sub_nc_u32 v0, v88, v106 :: v_dual_bitop2_b32 v1, 12, v81 bitop3:0x40
	s_mov_b32 s14, exec_lo
	s_delay_alu instid0(VALU_DEP_1) | instskip(NEXT) | instid1(VALU_DEP_2)
	v_min_i32_e32 v90, v90, v0
	v_cmpx_ne_u32_e32 0, v1
	s_cbranch_execz .LBB6_5111
; %bb.5086:                             ;   in Loop: Header=BB6_5083 Depth=2
	v_dual_mov_b32 v3, v21 :: v_dual_bitop2_b32 v2, 8, v81 bitop3:0x40
	v_add_nc_u64_e32 v[0:1], 2, v[94:95]
	s_mov_b32 s15, exec_lo
	s_wait_loadcnt_dscnt 0x1
	s_delay_alu instid0(VALU_DEP_2) | instskip(NEXT) | instid1(VALU_DEP_1)
	v_add_nc_u64_e32 v[4:5], v[102:103], v[2:3]
	v_cmpx_lt_u64_e64 v[4:5], v[0:1]
	s_cbranch_execz .LBB6_5098
; %bb.5087:                             ;   in Loop: Header=BB6_5083 Depth=2
	v_and_b32_e32 v4, 64, v81
	s_mov_b32 s42, 0
	s_mov_b32 s74, 0
                                        ; implicit-def: $sgpr43
                                        ; implicit-def: $sgpr72
                                        ; implicit-def: $sgpr73
	s_delay_alu instid0(VALU_DEP_1)
	v_cmp_eq_u32_e32 vcc_lo, 0, v4
	s_branch .LBB6_5091
.LBB6_5088:                             ;   in Loop: Header=BB6_5091 Depth=3
	s_wait_loadcnt_dscnt 0x0
	v_add_nc_u64_e32 v[6:7], v[102:103], v[2:3]
	s_or_b32 s77, s77, exec_lo
	s_delay_alu instid0(VALU_DEP_1)
	v_cmp_ge_u64_e64 s13, v[6:7], v[0:1]
	s_or_not1_b32 s76, s13, exec_lo
.LBB6_5089:                             ;   in Loop: Header=BB6_5091 Depth=3
	s_or_b32 exec_lo, exec_lo, s79
	s_delay_alu instid0(SALU_CYCLE_1)
	s_and_not1_b32 s13, s73, exec_lo
	s_and_b32 s73, s77, exec_lo
	s_and_not1_b32 s72, s72, exec_lo
	s_and_b32 s76, s76, exec_lo
	s_or_b32 s73, s13, s73
	s_or_b32 s72, s72, s76
.LBB6_5090:                             ;   in Loop: Header=BB6_5091 Depth=3
	s_or_b32 exec_lo, exec_lo, s75
	s_delay_alu instid0(SALU_CYCLE_1) | instskip(NEXT) | instid1(SALU_CYCLE_1)
	s_and_b32 s13, exec_lo, s72
	s_or_b32 s42, s13, s42
	s_and_not1_b32 s13, s43, exec_lo
	s_and_b32 s43, s73, exec_lo
	s_delay_alu instid0(SALU_CYCLE_1)
	s_or_b32 s43, s13, s43
	s_and_not1_b32 exec_lo, exec_lo, s42
	s_cbranch_execz .LBB6_5095
.LBB6_5091:                             ;   Parent Loop BB6_47 Depth=1
                                        ;     Parent Loop BB6_5083 Depth=2
                                        ; =>    This Inner Loop Header: Depth=3
	s_sleep 1
	s_wait_loadcnt_dscnt 0x0
	flat_load_b64 v[102:103], v[86:87] scope:SCOPE_SYS
	s_or_b32 s73, s73, exec_lo
	s_or_b32 s72, s72, exec_lo
                                        ; implicit-def: $vgpr4
	s_wait_xcnt 0x0
	s_and_saveexec_b32 s75, vcc_lo
	s_cbranch_execz .LBB6_5090
; %bb.5092:                             ;   in Loop: Header=BB6_5091 Depth=3
	s_cmp_lt_i32 s74, 0x270f
	s_mov_b32 s76, -1
	s_cselect_b32 s78, -1, 0
	s_cmp_gt_i32 s74, 0x270e
	s_cbranch_scc0 .LBB6_5094
; %bb.5093:                             ;   in Loop: Header=BB6_5091 Depth=3
	s_trap 2
	ds_load_b64 v[4:5], v0
	s_and_not1_b32 s74, s78, exec_lo
	s_mov_b32 s77, 0
	s_wait_storecnt 0x0
	s_wait_loadcnt_dscnt 0x0
	flat_load_b32 v4, v[4:5] scope:SCOPE_SYS
	s_wait_loadcnt_dscnt 0x0
	global_inv scope:SCOPE_SYS
	v_cmp_eq_u32_e64 s13, 0, v4
	s_and_b32 s13, s13, exec_lo
	s_delay_alu instid0(SALU_CYCLE_1)
	s_or_b32 s78, s74, s13
	s_mov_b32 s74, 0
	s_wait_xcnt 0x0
	s_and_saveexec_b32 s79, s78
	s_cbranch_execz .LBB6_5089
	s_branch .LBB6_5088
.LBB6_5094:                             ;   in Loop: Header=BB6_5091 Depth=3
	s_add_co_i32 s74, s74, 1
	s_mov_b32 s77, -1
                                        ; implicit-def: $vgpr4
	s_and_saveexec_b32 s79, s78
	s_cbranch_execz .LBB6_5089
	s_branch .LBB6_5088
.LBB6_5095:                             ;   in Loop: Header=BB6_5083 Depth=2
	s_or_b32 exec_lo, exec_lo, s42
	s_xor_b32 s13, s43, -1
	s_delay_alu instid0(SALU_CYCLE_1) | instskip(NEXT) | instid1(SALU_CYCLE_1)
	s_and_saveexec_b32 s42, s13
	s_xor_b32 s13, exec_lo, s42
	s_cbranch_execz .LBB6_5097
; %bb.5096:                             ;   in Loop: Header=BB6_5083 Depth=2
	v_or_b32_e32 v81, 64, v81
	s_wait_storecnt 0x0
	s_wait_loadcnt_dscnt 0x0
	ds_store_b32 v0, v4
	s_trap 2
.LBB6_5097:                             ;   in Loop: Header=BB6_5083 Depth=2
	s_or_b32 exec_lo, exec_lo, s13
.LBB6_5098:                             ;   in Loop: Header=BB6_5083 Depth=2
	s_delay_alu instid0(SALU_CYCLE_1) | instskip(SKIP_3) | instid1(VALU_DEP_1)
	s_or_b32 exec_lo, exec_lo, s15
	v_and_b32_e32 v3, 0x108, v81
	s_mov_b32 s13, exec_lo
	;;#ASMSTART
	s_wakeup
	;;#ASMEND
                                        ; implicit-def: $vgpr4_vgpr5
	v_cmpx_ne_u32_e32 0x108, v3
	s_xor_b32 s13, exec_lo, s13
; %bb.5099:                             ;   in Loop: Header=BB6_5083 Depth=2
	v_dual_mov_b32 v5, v21 :: v_dual_bitop2_b32 v4, 7, v94 bitop3:0x40
                                        ; implicit-def: $vgpr94_vgpr95
; %bb.5100:                             ;   in Loop: Header=BB6_5083 Depth=2
	s_and_not1_saveexec_b32 s13, s13
	s_cbranch_execz .LBB6_5102
; %bb.5101:                             ;   in Loop: Header=BB6_5083 Depth=2
	v_dual_mov_b32 v5, v21 :: v_dual_bitop2_b32 v4, 7, v94 bitop3:0x40
	v_ashrrev_i32_e32 v91, 31, v90
	s_delay_alu instid0(VALU_DEP_2)
	v_mad_nc_u64_u32 v[6:7], v4, 24, v[82:83]
	flat_store_b64 v[6:7], v[90:91] offset:8
.LBB6_5102:                             ;   in Loop: Header=BB6_5083 Depth=2
	s_wait_xcnt 0x0
	s_or_b32 exec_lo, exec_lo, s13
	v_and_b32_e32 v3, 0x100, v81
	s_mov_b32 s13, -1
	s_mov_b32 s15, exec_lo
                                        ; implicit-def: $vgpr6_vgpr7
	s_delay_alu instid0(VALU_DEP_1)
	v_cmpx_ne_u32_e32 0, v3
	s_cbranch_execz .LBB6_5106
; %bb.5103:                             ;   in Loop: Header=BB6_5083 Depth=2
	v_mad_nc_u64_u32 v[8:9], v4, 24, v[82:83]
	s_mov_b32 s42, exec_lo
                                        ; implicit-def: $vgpr6_vgpr7
	s_delay_alu instid0(VALU_DEP_1)
	v_mad_u32 v9, v5, 24, v9
	flat_load_b32 v3, v[8:9]
	s_wait_loadcnt_dscnt 0x0
	v_cmp_ne_u32_e32 vcc_lo, 1, v3
	s_wait_xcnt 0x0
	v_cmpx_eq_u32_e32 1, v3
	s_cbranch_execz .LBB6_5105
; %bb.5104:                             ;   in Loop: Header=BB6_5083 Depth=2
	flat_load_b32 v6, v[8:9] offset:4 scope:SCOPE_SYS
	s_wait_loadcnt_dscnt 0x0
	v_ashrrev_i32_e32 v7, 31, v6
.LBB6_5105:                             ;   in Loop: Header=BB6_5083 Depth=2
	s_wait_xcnt 0x0
	s_or_b32 exec_lo, exec_lo, s42
	s_delay_alu instid0(SALU_CYCLE_1)
	s_or_not1_b32 s13, vcc_lo, exec_lo
.LBB6_5106:                             ;   in Loop: Header=BB6_5083 Depth=2
	s_or_b32 exec_lo, exec_lo, s15
	s_and_saveexec_b32 s15, s13
; %bb.5107:                             ;   in Loop: Header=BB6_5083 Depth=2
	v_mul_u64_e32 v[6:7], v[4:5], v[96:97]
; %bb.5108:                             ;   in Loop: Header=BB6_5083 Depth=2
	s_or_b32 exec_lo, exec_lo, s15
	v_cmp_eq_u32_e32 vcc_lo, 0, v2
	s_delay_alu instid0(VALU_DEP_2) | instskip(SKIP_3) | instid1(VALU_DEP_1)
	v_add_nc_u64_e32 v[2:3], v[98:99], v[6:7]
	v_and_b32_e32 v5, 0x2000, v81
	s_mov_b32 s13, exec_lo
	v_cndmask_b32_e32 v4, 0xd0, v119, vcc_lo
	v_add_nc_u32_e32 v4, v0, v4
	ds_store_b64 v4, v[2:3] offset:584
	v_cmpx_ne_u32_e32 0, v5
	s_cbranch_execz .LBB6_5110
; %bb.5109:                             ;   in Loop: Header=BB6_5083 Depth=2
	ds_load_b64 v[2:3], v0 offset:872
	s_wait_dscnt 0x0
	v_add_nc_u64_e32 v[2:3], 1, v[2:3]
	ds_store_b64 v0, v[2:3] offset:872
.LBB6_5110:                             ;   in Loop: Header=BB6_5083 Depth=2
	s_or_b32 exec_lo, exec_lo, s13
	v_mov_b64_e32 v[94:95], v[0:1]
.LBB6_5111:                             ;   in Loop: Header=BB6_5083 Depth=2
	s_or_b32 exec_lo, exec_lo, s14
	s_and_saveexec_b32 s13, s2
	s_cbranch_execz .LBB6_5130
; %bb.5112:                             ;   in Loop: Header=BB6_5083 Depth=2
	s_and_saveexec_b32 s14, s3
	s_delay_alu instid0(SALU_CYCLE_1)
	s_xor_b32 s14, exec_lo, s14
	s_cbranch_execz .LBB6_5127
; %bb.5113:                             ;   in Loop: Header=BB6_5083 Depth=2
	s_and_saveexec_b32 s15, s6
	s_cbranch_execz .LBB6_5126
; %bb.5114:                             ;   in Loop: Header=BB6_5083 Depth=2
	s_mov_b32 s43, exec_lo
	s_mov_b32 s42, exec_lo
	v_mbcnt_lo_u32_b32 v0, s43, 0
	global_wb scope:SCOPE_DEV
	s_wait_storecnt 0x0
	s_wait_loadcnt_dscnt 0x0
	global_inv scope:SCOPE_DEV
	v_cmpx_eq_u32_e32 0, v0
	s_cbranch_execz .LBB6_5116
; %bb.5115:                             ;   in Loop: Header=BB6_5083 Depth=2
	s_bcnt1_i32_b32 s43, s43
	s_delay_alu instid0(SALU_CYCLE_1)
	v_dual_mov_b32 v1, v21 :: v_dual_mov_b32 v0, s43
	s_wait_loadcnt 0x0
	ds_add_u64 v0, v[0:1]
	s_trap 2
.LBB6_5116:                             ;   in Loop: Header=BB6_5083 Depth=2
	s_or_b32 exec_lo, exec_lo, s42
	s_trap 2
	ds_load_b64 v[0:1], v0
	s_wait_dscnt 0x0
	v_add_nc_u64_e32 v[84:85], v[84:85], v[26:27]
	s_mov_b32 s42, exec_lo
	s_delay_alu instid0(VALU_DEP_1)
	v_cmpx_lt_u64_e64 v[0:1], v[84:85]
	s_cbranch_execz .LBB6_5125
; %bb.5117:                             ;   in Loop: Header=BB6_5083 Depth=2
	s_mov_b32 s43, 0
	s_mov_b32 s74, 0
                                        ; implicit-def: $sgpr72
                                        ; implicit-def: $sgpr73
	s_branch .LBB6_5119
.LBB6_5118:                             ;   in Loop: Header=BB6_5119 Depth=3
	s_or_b32 exec_lo, exec_lo, s76
	s_delay_alu instid0(SALU_CYCLE_1) | instskip(NEXT) | instid1(SALU_CYCLE_1)
	s_and_b32 s75, exec_lo, s77
	s_or_b32 s43, s75, s43
	s_and_not1_b32 s72, s72, exec_lo
	s_and_b32 s75, s73, exec_lo
	s_delay_alu instid0(SALU_CYCLE_1)
	s_or_b32 s72, s72, s75
	s_and_not1_b32 exec_lo, exec_lo, s43
	s_cbranch_execz .LBB6_5123
.LBB6_5119:                             ;   Parent Loop BB6_47 Depth=1
                                        ;     Parent Loop BB6_5083 Depth=2
                                        ; =>    This Inner Loop Header: Depth=3
	s_add_co_i32 s74, s74, 1
	s_delay_alu instid0(SALU_CYCLE_1) | instskip(SKIP_1) | instid1(SALU_CYCLE_1)
	s_cmp_lg_u32 s74, 0x2710
	s_cselect_b32 s75, -1, 0
	s_and_b32 vcc_lo, exec_lo, s75
	s_cbranch_vccz .LBB6_5121
; %bb.5120:                             ;   in Loop: Header=BB6_5119 Depth=3
	s_mov_b32 s77, -1
	s_or_b32 s73, s73, exec_lo
	s_and_saveexec_b32 s76, s75
	s_cbranch_execz .LBB6_5118
	s_branch .LBB6_5122
.LBB6_5121:                             ;   in Loop: Header=BB6_5119 Depth=3
	s_trap 2
	ds_load_b64 v[0:1], v0
	s_and_not1_b32 s75, s75, exec_lo
	s_mov_b32 s74, 0
	s_wait_loadcnt_dscnt 0x0
	flat_load_b32 v0, v[0:1] scope:SCOPE_SYS
	s_wait_loadcnt_dscnt 0x0
	global_inv scope:SCOPE_SYS
	v_cmp_eq_u32_e32 vcc_lo, 0, v0
	s_and_b32 s76, vcc_lo, exec_lo
	s_delay_alu instid0(SALU_CYCLE_1)
	s_or_b32 s75, s75, s76
	s_mov_b32 s77, -1
	s_or_b32 s73, s73, exec_lo
	s_wait_xcnt 0x0
	s_and_saveexec_b32 s76, s75
	s_cbranch_execz .LBB6_5118
.LBB6_5122:                             ;   in Loop: Header=BB6_5119 Depth=3
	s_sleep 1
	s_trap 2
	ds_load_b64 v[0:1], v0
	s_wait_dscnt 0x0
	s_and_not1_b32 s73, s73, exec_lo
	v_cmp_ge_u64_e32 vcc_lo, v[0:1], v[84:85]
	s_or_not1_b32 s77, vcc_lo, exec_lo
	s_branch .LBB6_5118
.LBB6_5123:                             ;   in Loop: Header=BB6_5083 Depth=2
	s_or_b32 exec_lo, exec_lo, s43
	s_and_saveexec_b32 s43, s72
	s_delay_alu instid0(SALU_CYCLE_1)
	s_xor_b32 s43, exec_lo, s43
	s_cbranch_execz .LBB6_5125
; %bb.5124:                             ;   in Loop: Header=BB6_5083 Depth=2
	ds_store_b32 v0, v118
	s_trap 2
.LBB6_5125:                             ;   in Loop: Header=BB6_5083 Depth=2
	s_or_b32 exec_lo, exec_lo, s42
	;;#ASMSTART
	s_wakeup
	;;#ASMEND
.LBB6_5126:                             ;   in Loop: Header=BB6_5083 Depth=2
	s_or_b32 exec_lo, exec_lo, s15
.LBB6_5127:                             ;   in Loop: Header=BB6_5083 Depth=2
	s_and_not1_saveexec_b32 s14, s14
	s_cbranch_execz .LBB6_5129
; %bb.5128:                             ;   in Loop: Header=BB6_5083 Depth=2
	global_wb scope:SCOPE_DEV
	s_wait_storecnt 0x0
	s_wait_loadcnt_dscnt 0x0
	global_inv scope:SCOPE_DEV
	s_barrier_signal -1
	s_barrier_wait -1
.LBB6_5129:                             ;   in Loop: Header=BB6_5083 Depth=2
	s_or_b32 exec_lo, exec_lo, s14
.LBB6_5130:                             ;   in Loop: Header=BB6_5083 Depth=2
	s_delay_alu instid0(SALU_CYCLE_1) | instskip(SKIP_4) | instid1(VALU_DEP_1)
	s_or_b32 exec_lo, exec_lo, s13
	s_trap 2
	ds_load_b32 v0, v0
	v_and_b32_e32 v1, 0x4000, v81
	s_xor_b32 s13, s1, -1
	v_cmp_ne_u32_e32 vcc_lo, 0, v1
	s_and_b32 s14, s13, vcc_lo
	s_delay_alu instid0(SALU_CYCLE_1)
	s_and_saveexec_b32 s13, s14
	s_cbranch_execz .LBB6_5149
; %bb.5131:                             ;   in Loop: Header=BB6_5083 Depth=2
	s_and_saveexec_b32 s14, s3
	s_delay_alu instid0(SALU_CYCLE_1)
	s_xor_b32 s14, exec_lo, s14
	s_cbranch_execz .LBB6_5146
; %bb.5132:                             ;   in Loop: Header=BB6_5083 Depth=2
	s_and_saveexec_b32 s15, s6
	s_cbranch_execz .LBB6_5145
; %bb.5133:                             ;   in Loop: Header=BB6_5083 Depth=2
	s_mov_b32 s43, exec_lo
	s_mov_b32 s42, exec_lo
	v_mbcnt_lo_u32_b32 v1, s43, 0
	global_wb scope:SCOPE_DEV
	s_wait_storecnt 0x0
	s_wait_loadcnt_dscnt 0x0
	global_inv scope:SCOPE_DEV
	v_cmpx_eq_u32_e32 0, v1
	s_cbranch_execz .LBB6_5135
; %bb.5134:                             ;   in Loop: Header=BB6_5083 Depth=2
	s_bcnt1_i32_b32 s43, s43
	s_delay_alu instid0(SALU_CYCLE_1)
	v_dual_mov_b32 v3, v21 :: v_dual_mov_b32 v2, s43
	s_wait_loadcnt 0x0
	ds_add_u64 v0, v[2:3]
	s_trap 2
.LBB6_5135:                             ;   in Loop: Header=BB6_5083 Depth=2
	s_or_b32 exec_lo, exec_lo, s42
	s_trap 2
	ds_load_b64 v[2:3], v0
	s_wait_dscnt 0x0
	v_add_nc_u64_e32 v[84:85], v[84:85], v[26:27]
	s_mov_b32 s42, exec_lo
	s_delay_alu instid0(VALU_DEP_1)
	v_cmpx_lt_u64_e64 v[2:3], v[84:85]
	s_cbranch_execz .LBB6_5144
; %bb.5136:                             ;   in Loop: Header=BB6_5083 Depth=2
	s_mov_b32 s43, 0
	s_mov_b32 s74, 0
                                        ; implicit-def: $sgpr72
                                        ; implicit-def: $sgpr73
	s_branch .LBB6_5138
.LBB6_5137:                             ;   in Loop: Header=BB6_5138 Depth=3
	s_or_b32 exec_lo, exec_lo, s76
	s_delay_alu instid0(SALU_CYCLE_1) | instskip(NEXT) | instid1(SALU_CYCLE_1)
	s_and_b32 s75, exec_lo, s77
	s_or_b32 s43, s75, s43
	s_and_not1_b32 s72, s72, exec_lo
	s_and_b32 s75, s73, exec_lo
	s_delay_alu instid0(SALU_CYCLE_1)
	s_or_b32 s72, s72, s75
	s_and_not1_b32 exec_lo, exec_lo, s43
	s_cbranch_execz .LBB6_5142
.LBB6_5138:                             ;   Parent Loop BB6_47 Depth=1
                                        ;     Parent Loop BB6_5083 Depth=2
                                        ; =>    This Inner Loop Header: Depth=3
	s_add_co_i32 s74, s74, 1
	s_delay_alu instid0(SALU_CYCLE_1) | instskip(SKIP_1) | instid1(SALU_CYCLE_1)
	s_cmp_lg_u32 s74, 0x2710
	s_cselect_b32 s75, -1, 0
	s_and_b32 vcc_lo, exec_lo, s75
	s_cbranch_vccz .LBB6_5140
; %bb.5139:                             ;   in Loop: Header=BB6_5138 Depth=3
	s_mov_b32 s77, -1
	s_or_b32 s73, s73, exec_lo
	s_and_saveexec_b32 s76, s75
	s_cbranch_execz .LBB6_5137
	s_branch .LBB6_5141
.LBB6_5140:                             ;   in Loop: Header=BB6_5138 Depth=3
	s_trap 2
	ds_load_b64 v[2:3], v0
	s_and_not1_b32 s75, s75, exec_lo
	s_mov_b32 s74, 0
	s_wait_loadcnt_dscnt 0x0
	flat_load_b32 v1, v[2:3] scope:SCOPE_SYS
	s_wait_loadcnt_dscnt 0x0
	global_inv scope:SCOPE_SYS
	v_cmp_eq_u32_e32 vcc_lo, 0, v1
	s_and_b32 s76, vcc_lo, exec_lo
	s_delay_alu instid0(SALU_CYCLE_1)
	s_or_b32 s75, s75, s76
	s_mov_b32 s77, -1
	s_or_b32 s73, s73, exec_lo
	s_wait_xcnt 0x0
	s_and_saveexec_b32 s76, s75
	s_cbranch_execz .LBB6_5137
.LBB6_5141:                             ;   in Loop: Header=BB6_5138 Depth=3
	s_sleep 1
	s_trap 2
	ds_load_b64 v[2:3], v0
	s_wait_dscnt 0x0
	s_and_not1_b32 s73, s73, exec_lo
	v_cmp_ge_u64_e32 vcc_lo, v[2:3], v[84:85]
	s_or_not1_b32 s77, vcc_lo, exec_lo
	s_branch .LBB6_5137
.LBB6_5142:                             ;   in Loop: Header=BB6_5083 Depth=2
	s_or_b32 exec_lo, exec_lo, s43
	s_and_saveexec_b32 s43, s72
	s_delay_alu instid0(SALU_CYCLE_1)
	s_xor_b32 s43, exec_lo, s43
	s_cbranch_execz .LBB6_5144
; %bb.5143:                             ;   in Loop: Header=BB6_5083 Depth=2
	ds_store_b32 v0, v118
	s_trap 2
.LBB6_5144:                             ;   in Loop: Header=BB6_5083 Depth=2
	s_or_b32 exec_lo, exec_lo, s42
	;;#ASMSTART
	s_wakeup
	;;#ASMEND
.LBB6_5145:                             ;   in Loop: Header=BB6_5083 Depth=2
	s_or_b32 exec_lo, exec_lo, s15
.LBB6_5146:                             ;   in Loop: Header=BB6_5083 Depth=2
	s_and_not1_saveexec_b32 s14, s14
	s_cbranch_execz .LBB6_5148
; %bb.5147:                             ;   in Loop: Header=BB6_5083 Depth=2
	global_wb scope:SCOPE_DEV
	s_wait_storecnt 0x0
	s_wait_loadcnt_dscnt 0x0
	global_inv scope:SCOPE_DEV
	s_barrier_signal -1
	s_barrier_wait -1
.LBB6_5148:                             ;   in Loop: Header=BB6_5083 Depth=2
	s_or_b32 exec_lo, exec_lo, s14
.LBB6_5149:                             ;   in Loop: Header=BB6_5083 Depth=2
	s_delay_alu instid0(SALU_CYCLE_1)
	s_or_b32 exec_lo, exec_lo, s13
	s_trap 2
	s_wait_dscnt 0x0
	ds_load_b64 v[48:49], v0
	s_wait_dscnt 0x0
	v_cmp_eq_u64_e32 vcc_lo, 0, v[48:49]
	s_cbranch_vccnz .LBB6_5158
; %bb.5150:                             ;   in Loop: Header=BB6_5083 Depth=2
	s_trap 2
	ds_load_b64 v[2:3], v0
	s_wait_dscnt 0x0
	v_cmp_eq_u64_e32 vcc_lo, 0, v[2:3]
	scratch_store_b64 off, v[2:3], s33 offset:304 ; 8-byte Folded Spill
	s_cbranch_vccnz .LBB6_5158
; %bb.5151:                             ;   in Loop: Header=BB6_5083 Depth=2
	s_trap 2
	ds_load_b64 v[92:93], v0
	v_cmp_eq_u32_e64 s13, 0, v0
	s_delay_alu instid0(VALU_DEP_1)
	v_cndmask_b32_e64 v0, 0, v90, s13
	s_mov_b32 s13, -1
	scratch_store_b32 off, v0, s33 offset:296 ; 4-byte Folded Spill
	s_wait_dscnt 0x0
	v_cmp_ne_u64_e32 vcc_lo, 0, v[92:93]
	s_cbranch_vccnz .LBB6_5152
; %bb.15067:                            ;   in Loop: Header=BB6_5083 Depth=2
	s_add_pc_i64 .LBB6_9777-.Lpost_addpc43
.Lpost_addpc43:
.LBB6_5152:                             ;   in Loop: Header=BB6_5083 Depth=2
	s_wait_xcnt 0x0
	s_and_saveexec_b32 s14, s12
	s_cbranch_execz .LBB6_5154
; %bb.5153:                             ;   in Loop: Header=BB6_5083 Depth=2
	ds_load_b32 v0, v0 offset:720
	s_wait_dscnt 0x0
	v_and_b32_e32 v0, 15, v0
	s_delay_alu instid0(VALU_DEP_1)
	v_cmp_eq_u32_e32 vcc_lo, 0, v0
	s_or_not1_b32 s13, vcc_lo, exec_lo
.LBB6_5154:                             ;   in Loop: Header=BB6_5083 Depth=2
	s_or_b32 exec_lo, exec_lo, s14
	s_and_saveexec_b32 s14, s12
	s_cbranch_execz .LBB6_5156
; %bb.5155:                             ;   in Loop: Header=BB6_5083 Depth=2
	ds_load_b32 v0, v0 offset:784
	s_wait_dscnt 0x0
	v_and_b32_e32 v0, 15, v0
	s_delay_alu instid0(VALU_DEP_1) | instskip(SKIP_3) | instid1(SALU_CYCLE_1)
	v_cmp_eq_u32_e32 vcc_lo, 0, v0
	s_and_b32 s15, s13, vcc_lo
	s_and_not1_b32 s13, s13, exec_lo
	s_and_b32 s15, s15, exec_lo
	s_or_b32 s13, s13, s15
.LBB6_5156:                             ;   in Loop: Header=BB6_5083 Depth=2
	s_or_b32 exec_lo, exec_lo, s14
	scratch_load_b32 v20, off, s33 offset:296 ; 4-byte Folded Reload
	s_xor_b32 s13, s13, -1
	v_dual_mov_b32 v6, 0 :: v_dual_mov_b32 v4, v80
	v_cndmask_b32_e64 v0, 0, 1, s13
	s_mov_b32 s13, -1
	scratch_store_b64 off, v[48:49], s33 offset:312 ; 8-byte Folded Spill
	v_cmp_ne_u32_e32 vcc_lo, 0, v0
	v_mov_b32_e32 v0, v41
	s_cbranch_vccz .LBB6_5163
; %bb.5157:                             ;   in Loop: Header=BB6_5083 Depth=2
	s_wait_xcnt 0x0
	s_and_saveexec_b32 s15, s13
	s_cbranch_execnz .LBB6_8314
; %bb.15069:                            ;   in Loop: Header=BB6_5083 Depth=2
	s_add_pc_i64 .LBB6_9776-.Lpost_addpc44
.Lpost_addpc44:
.LBB6_5158:                             ;   in Loop: Header=BB6_5083 Depth=2
	s_mov_b32 s13, 0
	s_wait_xcnt 0x0
	s_and_saveexec_b32 s14, s2
	s_cbranch_execz .LBB6_5159
; %bb.15071:                            ;   in Loop: Header=BB6_5083 Depth=2
	s_add_pc_i64 .LBB6_14395-.Lpost_addpc45
.Lpost_addpc45:
.LBB6_5159:                             ;   in Loop: Header=BB6_5083 Depth=2
	s_or_b32 exec_lo, exec_lo, s14
                                        ; implicit-def: $vgpr0
	s_and_saveexec_b32 s14, s10
	s_delay_alu instid0(SALU_CYCLE_1)
	s_xor_b32 s14, exec_lo, s14
	s_cbranch_execnz .LBB6_5160
; %bb.15073:                            ;   in Loop: Header=BB6_5083 Depth=2
	s_add_pc_i64 .LBB6_14413-.Lpost_addpc46
.Lpost_addpc46:
.LBB6_5160:                             ;   in Loop: Header=BB6_5083 Depth=2
	v_and_b32_e32 v0, 16, v81
	s_delay_alu instid0(VALU_DEP_1) | instskip(SKIP_2) | instid1(SALU_CYCLE_1)
	v_cmp_ne_u32_e32 vcc_lo, 0, v0
	v_and_b32_e32 v0, 16, v81
	s_and_b32 s15, vcc_lo, s13
	s_and_saveexec_b32 s13, s15
	s_cbranch_execz .LBB6_5162
; %bb.5161:                             ;   in Loop: Header=BB6_5083 Depth=2
	v_mov_b32_e32 v0, 1
	global_wb scope:SCOPE_SYS
	s_wait_storecnt 0x0
	s_wait_loadcnt_dscnt 0x0
	global_inv scope:SCOPE_SYS
.LBB6_5162:                             ;   in Loop: Header=BB6_5083 Depth=2
	s_or_b32 exec_lo, exec_lo, s13
	s_and_not1_saveexec_b32 s13, s14
	s_cbranch_execnz .LBB6_15027
; %bb.15075:                            ;   in Loop: Header=BB6_5083 Depth=2
	s_add_pc_i64 .LBB6_14432-.Lpost_addpc47
.Lpost_addpc47:
.LBB6_15027:                            ;   in Loop: Header=BB6_5083 Depth=2
	s_add_pc_i64 .LBB6_14414-.Lpost_addpc23
.Lpost_addpc23:
.LBB6_5163:                             ;   in Loop: Header=BB6_5083 Depth=2
	scratch_load_b32 v1, off, s33 offset:296 ; 4-byte Folded Reload
	s_mov_b32 s14, exec_lo
	s_wait_loadcnt 0x0
	v_ashrrev_i32_e32 v0, 31, v1
	s_delay_alu instid0(VALU_DEP_1) | instskip(NEXT) | instid1(VALU_DEP_1)
	v_lshrrev_b32_e32 v0, 21, v0
	v_add_nc_u32_e32 v0, v1, v0
	s_delay_alu instid0(VALU_DEP_1) | instskip(NEXT) | instid1(VALU_DEP_1)
	v_ashrrev_i32_e32 v29, 11, v0
	v_sub_nc_u32_e32 v28, v29, v41
	s_wait_xcnt 0x0
	s_delay_alu instid0(VALU_DEP_1)
	v_cmpx_lt_i32_e32 0, v28
	s_cbranch_execz .LBB6_7727
; %bb.5164:                             ;   in Loop: Header=BB6_5083 Depth=2
	s_trap 2
	ds_load_b64 v[0:1], v0
	s_clause 0x1
	scratch_load_b64 v[2:3], off, s33 offset:524
	scratch_load_b64 v[4:5], off, s33 offset:304
	v_mov_b64_e32 v[56:57], v[94:95]
	v_dual_mov_b32 v110, v106 :: v_dual_mov_b32 v118, v81
	v_mov_b64_e32 v[42:43], v[102:103]
	v_mov_b64_e32 v[40:41], v[84:85]
	s_mov_b32 s15, 0
	s_wait_loadcnt 0x1
	v_add_nc_u64_e32 v[104:105], v[92:93], v[2:3]
	s_wait_loadcnt 0x0
	v_add_nc_u64_e32 v[94:95], v[4:5], v[2:3]
	scratch_load_b64 v[4:5], off, s33 offset:312 ; 8-byte Folded Reload
	s_wait_dscnt 0x0
	v_add_nc_u64_e32 v[108:109], v[0:1], v[2:3]
	s_wait_loadcnt 0x0
	v_add_nc_u64_e32 v[106:107], v[4:5], v[2:3]
	s_branch .LBB6_5167
.LBB6_5165:                             ;   in Loop: Header=BB6_5167 Depth=3
	s_or_b32 exec_lo, exec_lo, s42
.LBB6_5166:                             ;   in Loop: Header=BB6_5167 Depth=3
	s_delay_alu instid0(SALU_CYCLE_1)
	s_or_b32 exec_lo, exec_lo, s13
	v_lshl_or_b32 v0, v23, 8, v22
	v_dual_lshlrev_b32 v1, 16, v18 :: v_dual_lshlrev_b32 v3, 24, v19
	v_lshl_or_b32 v5, v34, 8, v27
	v_dual_lshlrev_b32 v10, 16, v35 :: v_dual_lshlrev_b32 v11, 24, v96
	v_dual_lshlrev_b32 v16, 24, v16 :: v_dual_lshlrev_b32 v18, 16, v97
	s_delay_alu instid0(VALU_DEP_4)
	v_or3_b32 v115, v0, v1, v3
	v_lshlrev_b32_e32 v0, 24, v84
	v_lshl_or_b32 v1, v86, 8, v85
	v_lshlrev_b32_e32 v3, 16, v87
	v_lshl_or_b32 v14, v15, 8, v14
	v_lshl_or_b32 v15, v71, 8, v70
	v_dual_lshlrev_b32 v19, 16, v80 :: v_dual_lshlrev_b32 v27, 16, v51
	v_dual_lshlrev_b32 v22, 24, v24 :: v_dual_lshlrev_b32 v34, 24, v69
	v_lshl_or_b32 v24, v50, 8, v39
	v_or3_b32 v114, v5, v10, v0
	v_or3_b32 v116, v1, v3, v11
	v_lshl_or_b32 v0, v32, 8, v25
	v_dual_lshlrev_b32 v1, 16, v33 :: v_dual_lshlrev_b32 v5, 24, v26
	v_dual_lshlrev_b32 v3, 24, v81 :: v_dual_lshlrev_b32 v10, 16, v20
	v_or3_b32 v117, v14, v18, v16
	v_or3_b32 v23, v15, v19, v22
	v_lshl_or_b32 v11, v83, 8, v82
	v_lshl_or_b32 v14, v55, 8, v54
	v_dual_lshlrev_b32 v15, 16, v64 :: v_dual_lshlrev_b32 v20, 24, v53
	v_lshlrev_b32_e32 v16, 24, v36
	v_lshl_or_b32 v18, v31, 8, v30
	v_dual_lshlrev_b32 v19, 16, v52 :: v_dual_lshlrev_b32 v30, 24, v65
	v_or3_b32 v22, v24, v27, v34
	v_lshl_or_b32 v26, v48, 8, v37
	v_lshlrev_b32_e32 v27, 16, v49
	v_or3_b32 v24, v0, v1, v3
	v_dual_lshlrev_b32 v0, 24, v38 :: v_dual_lshlrev_b32 v1, 16, v68
	v_lshl_or_b32 v3, v67, 8, v66
	v_or3_b32 v25, v11, v10, v5
	v_or3_b32 v15, v14, v15, v16
	;; [unrolled: 1-line block ×3, first 2 shown]
	v_lshl_or_b32 v5, v13, 8, v12
	v_dual_lshlrev_b32 v10, 16, v101 :: v_dual_lshlrev_b32 v8, 24, v8
	v_lshl_or_b32 v11, v98, 8, v17
	v_dual_lshlrev_b32 v12, 16, v99 :: v_dual_lshlrev_b32 v13, 24, v100
	;; [unrolled: 2-line block ×3, first 2 shown]
	v_dual_lshlrev_b32 v20, 24, v2 :: v_dual_lshlrev_b32 v4, 16, v4
	v_lshl_or_b32 v6, v7, 8, v6
	v_or3_b32 v16, v26, v27, v30
	v_or3_b32 v17, v3, v1, v0
	;; [unrolled: 1-line block ×6, first 2 shown]
	s_clause 0x3
	global_store_b128 v[94:95], v[14:17], off th:TH_STORE_NT
	global_store_b128 v[94:95], v[22:25], off offset:512 th:TH_STORE_NT
	global_store_b128 v[94:95], v[114:117], off offset:1024 th:TH_STORE_NT
	;; [unrolled: 1-line block ×3, first 2 shown]
	s_clause 0x1
	global_store_b128 v[104:105], v[14:17], off th:TH_STORE_NT
	global_store_b128 v[104:105], v[22:25], off offset:512 th:TH_STORE_NT
	scratch_load_b64 v[4:5], off, s33 offset:188 ; 8-byte Folded Reload
	s_clause 0x1
	global_store_b128 v[104:105], v[114:117], off offset:1024 th:TH_STORE_NT
	global_store_b128 v[104:105], v[0:3], off offset:1536 th:TH_STORE_NT
	scratch_load_b64 v[0:1], off, s33 offset:252 ; 8-byte Folded Reload
	s_wait_loadcnt 0x1
	v_sub_nc_u32_e32 v28, v28, v4
	s_wait_loadcnt 0x0
	v_add_nc_u64_e32 v[106:107], v[106:107], v[0:1]
	v_add_nc_u64_e32 v[108:109], v[108:109], v[0:1]
	;; [unrolled: 1-line block ×3, first 2 shown]
	v_cmp_gt_i32_e32 vcc_lo, 1, v28
	v_add_nc_u64_e32 v[104:105], v[104:105], v[0:1]
	s_or_b32 s15, vcc_lo, s15
	s_wait_xcnt 0x0
	s_and_not1_b32 exec_lo, exec_lo, s15
	s_cbranch_execz .LBB6_7726
.LBB6_5167:                             ;   Parent Loop BB6_47 Depth=1
                                        ;     Parent Loop BB6_5083 Depth=2
                                        ; =>    This Inner Loop Header: Depth=3
	s_clause 0x3
	global_load_b128 v[48:51], v[106:107], off th:TH_LOAD_NT
	global_load_b128 v[32:35], v[106:107], off offset:512 th:TH_LOAD_NT
	global_load_b128 v[14:17], v[106:107], off offset:1024 th:TH_LOAD_NT
	;; [unrolled: 1-line block ×3, first 2 shown]
	s_clause 0x3
	global_load_b128 v[36:39], v[108:109], off th:TH_LOAD_NT
	global_load_b128 v[24:27], v[108:109], off offset:512 th:TH_LOAD_NT
	global_load_b128 v[4:7], v[108:109], off offset:1024 th:TH_LOAD_NT
	global_load_b128 v[8:11], v[108:109], off offset:1536 th:TH_LOAD_NT
	v_mov_b32_e32 v12, 0
	s_wait_loadcnt 0x7
	v_and_b32_e32 v13, 0xff, v48
	s_delay_alu instid0(VALU_DEP_1)
	v_cmp_ne_u16_e32 vcc_lo, 0, v13
	v_mov_b32_e32 v13, 0
	s_wait_xcnt 0x0
	s_and_saveexec_b32 s42, vcc_lo
	s_cbranch_execz .LBB6_5177
; %bb.5168:                             ;   in Loop: Header=BB6_5167 Depth=3
	v_bfe_i32 v19, v48, 0, 8
	v_bfrev_b32_e32 v13, 1
	s_mov_b32 s43, exec_lo
	s_delay_alu instid0(VALU_DEP_2)
	v_cmpx_ne_u16_e32 0xff80, v19
	s_cbranch_execz .LBB6_5176
; %bb.5169:                             ;   in Loop: Header=BB6_5167 Depth=3
	v_and_b32_e32 v13, 0x7c, v48
	v_and_b32_e32 v18, 3, v48
	s_delay_alu instid0(VALU_DEP_2) | instskip(SKIP_1) | instid1(SALU_CYCLE_1)
	v_cmp_ne_u32_e32 vcc_lo, 0x7c, v13
                                        ; implicit-def: $vgpr13
	s_and_saveexec_b32 s13, vcc_lo
	s_xor_b32 s13, exec_lo, s13
	s_cbranch_execz .LBB6_5173
; %bb.5170:                             ;   in Loop: Header=BB6_5167 Depth=3
	v_bfe_u32 v13, v48, 2, 5
	s_mov_b32 s72, exec_lo
	s_delay_alu instid0(VALU_DEP_1)
	v_cmpx_eq_u32_e32 0, v13
; %bb.5171:                             ;   in Loop: Header=BB6_5167 Depth=3
	v_clz_i32_u32_e32 v13, v18
	s_delay_alu instid0(VALU_DEP_1) | instskip(NEXT) | instid1(VALU_DEP_1)
	v_min_u32_e32 v13, 32, v13
	v_subrev_nc_u32_e32 v18, 29, v13
	s_delay_alu instid0(VALU_DEP_1) | instskip(NEXT) | instid1(VALU_DEP_1)
	v_lshlrev_b64_e32 v[18:19], v18, v[48:49]
	v_dual_sub_nc_u32 v13, 30, v13 :: v_dual_bitop2_b32 v18, 3, v18 bitop3:0x40
; %bb.5172:                             ;   in Loop: Header=BB6_5167 Depth=3
	s_or_b32 exec_lo, exec_lo, s72
	v_lshlrev_b32_e32 v19, 24, v48
	s_delay_alu instid0(VALU_DEP_1) | instskip(NEXT) | instid1(VALU_DEP_1)
	v_and_b32_e32 v19, 0x80000000, v19
	v_lshl_add_u32 v13, v13, 23, v19
                                        ; implicit-def: $vgpr19
	s_delay_alu instid0(VALU_DEP_1) | instskip(NEXT) | instid1(VALU_DEP_1)
	v_lshl_or_b32 v13, v18, 21, v13
                                        ; implicit-def: $vgpr18
	v_add_nc_u32_e32 v13, 0x38000000, v13
.LBB6_5173:                             ;   in Loop: Header=BB6_5167 Depth=3
	s_and_not1_saveexec_b32 s72, s13
; %bb.5174:                             ;   in Loop: Header=BB6_5167 Depth=3
	v_cmp_lt_i16_e64 s13, -1, v19
	v_mov_b32_e32 v13, 0x7f800000
	v_cmp_eq_u32_e32 vcc_lo, 0, v18
	s_delay_alu instid0(VALU_DEP_2) | instskip(NEXT) | instid1(VALU_DEP_1)
	v_cndmask_b32_e64 v13, 0xff800000, v13, s13
	v_cndmask_b32_e32 v13, 0x7f800001, v13, vcc_lo
; %bb.5175:                             ;   in Loop: Header=BB6_5167 Depth=3
	s_or_b32 exec_lo, exec_lo, s72
.LBB6_5176:                             ;   in Loop: Header=BB6_5167 Depth=3
	s_delay_alu instid0(SALU_CYCLE_1)
	s_or_b32 exec_lo, exec_lo, s43
.LBB6_5177:                             ;   in Loop: Header=BB6_5167 Depth=3
	s_delay_alu instid0(SALU_CYCLE_1) | instskip(SKIP_3) | instid1(VALU_DEP_1)
	s_or_b32 exec_lo, exec_lo, s42
	s_wait_loadcnt 0x3
	v_and_b32_e32 v18, 0xff, v36
	s_mov_b32 s42, exec_lo
	v_cmpx_ne_u16_e32 0, v18
	s_cbranch_execz .LBB6_5187
; %bb.5178:                             ;   in Loop: Header=BB6_5167 Depth=3
	v_bfe_i32 v19, v36, 0, 8
	v_bfrev_b32_e32 v12, 1
	s_mov_b32 s43, exec_lo
	s_delay_alu instid0(VALU_DEP_2)
	v_cmpx_ne_u16_e32 0xff80, v19
	s_cbranch_execz .LBB6_5186
; %bb.5179:                             ;   in Loop: Header=BB6_5167 Depth=3
	v_and_b32_e32 v12, 0x7c, v36
	v_and_b32_e32 v18, 3, v36
	s_delay_alu instid0(VALU_DEP_2) | instskip(SKIP_1) | instid1(SALU_CYCLE_1)
	v_cmp_ne_u32_e32 vcc_lo, 0x7c, v12
                                        ; implicit-def: $vgpr12
	s_and_saveexec_b32 s13, vcc_lo
	s_xor_b32 s13, exec_lo, s13
	s_cbranch_execz .LBB6_5183
; %bb.5180:                             ;   in Loop: Header=BB6_5167 Depth=3
	v_bfe_u32 v12, v36, 2, 5
	s_mov_b32 s72, exec_lo
	s_delay_alu instid0(VALU_DEP_1)
	v_cmpx_eq_u32_e32 0, v12
; %bb.5181:                             ;   in Loop: Header=BB6_5167 Depth=3
	v_clz_i32_u32_e32 v12, v18
	s_delay_alu instid0(VALU_DEP_1) | instskip(NEXT) | instid1(VALU_DEP_1)
	v_min_u32_e32 v12, 32, v12
	v_subrev_nc_u32_e32 v18, 29, v12
	s_delay_alu instid0(VALU_DEP_1) | instskip(NEXT) | instid1(VALU_DEP_1)
	v_lshlrev_b64_e32 v[18:19], v18, v[36:37]
	v_dual_sub_nc_u32 v12, 30, v12 :: v_dual_bitop2_b32 v18, 3, v18 bitop3:0x40
; %bb.5182:                             ;   in Loop: Header=BB6_5167 Depth=3
	s_or_b32 exec_lo, exec_lo, s72
	v_lshlrev_b32_e32 v19, 24, v36
	s_delay_alu instid0(VALU_DEP_1) | instskip(NEXT) | instid1(VALU_DEP_1)
	v_and_b32_e32 v19, 0x80000000, v19
	v_lshl_add_u32 v12, v12, 23, v19
                                        ; implicit-def: $vgpr19
	s_delay_alu instid0(VALU_DEP_1) | instskip(NEXT) | instid1(VALU_DEP_1)
	v_lshl_or_b32 v12, v18, 21, v12
                                        ; implicit-def: $vgpr18
	v_add_nc_u32_e32 v12, 0x38000000, v12
.LBB6_5183:                             ;   in Loop: Header=BB6_5167 Depth=3
	s_and_not1_saveexec_b32 s72, s13
; %bb.5184:                             ;   in Loop: Header=BB6_5167 Depth=3
	v_cmp_lt_i16_e64 s13, -1, v19
	v_mov_b32_e32 v12, 0x7f800000
	v_cmp_eq_u32_e32 vcc_lo, 0, v18
	s_delay_alu instid0(VALU_DEP_2) | instskip(NEXT) | instid1(VALU_DEP_1)
	v_cndmask_b32_e64 v12, 0xff800000, v12, s13
	v_cndmask_b32_e32 v12, 0x7f800001, v12, vcc_lo
; %bb.5185:                             ;   in Loop: Header=BB6_5167 Depth=3
	s_or_b32 exec_lo, exec_lo, s72
.LBB6_5186:                             ;   in Loop: Header=BB6_5167 Depth=3
	s_delay_alu instid0(SALU_CYCLE_1)
	s_or_b32 exec_lo, exec_lo, s43
.LBB6_5187:                             ;   in Loop: Header=BB6_5167 Depth=3
	s_delay_alu instid0(SALU_CYCLE_1) | instskip(NEXT) | instid1(VALU_DEP_1)
	s_or_b32 exec_lo, exec_lo, s42
	v_mul_f32_e32 v18, v13, v12
	v_dual_mov_b32 v23, v21 :: v_dual_mov_b32 v13, v21
                                        ; implicit-def: $vgpr30
	s_mov_b32 s13, exec_lo
	s_delay_alu instid0(VALU_DEP_2) | instskip(SKIP_2) | instid1(VALU_DEP_3)
	v_and_b32_e32 v22, 0x7f800000, v18
	v_and_b32_e32 v12, 0x7fffff, v18
	v_lshrrev_b32_e32 v19, 24, v18
	v_cmpx_ne_u64_e32 0x7f800000, v[22:23]
	s_xor_b32 s42, exec_lo, s13
	s_cbranch_execz .LBB6_5201
; %bb.5188:                             ;   in Loop: Header=BB6_5167 Depth=3
	v_and_b32_e32 v22, 0x7fffffff, v18
	v_mov_b32_e32 v23, v21
	v_and_b32_e32 v20, 0x80, v19
                                        ; implicit-def: $vgpr30
	s_mov_b32 s13, exec_lo
	s_delay_alu instid0(VALU_DEP_2)
	v_cmpx_gt_u64_e32 0x47600001, v[22:23]
	s_xor_b32 s43, exec_lo, s13
	s_cbranch_execz .LBB6_5198
; %bb.5189:                             ;   in Loop: Header=BB6_5167 Depth=3
	v_mov_b32_e32 v30, 0
	s_mov_b32 s72, exec_lo
	v_cmpx_ne_u32_e32 0, v18
	s_cbranch_execz .LBB6_5197
; %bb.5190:                             ;   in Loop: Header=BB6_5167 Depth=3
	v_bfe_u32 v22, v18, 23, 8
	v_or_b32_e32 v19, 0x800000, v12
	s_delay_alu instid0(VALU_DEP_2) | instskip(SKIP_2) | instid1(VALU_DEP_2)
	v_cmp_gt_u32_e64 s13, 0x72, v22
	v_sub_nc_u32_e32 v18, 0x71, v22
	v_cmp_eq_u32_e32 vcc_lo, 0, v22
	v_dual_cndmask_b32 v18, 0, v18, s13 :: v_dual_cndmask_b32 v12, v19, v12, vcc_lo
	s_delay_alu instid0(VALU_DEP_1) | instskip(NEXT) | instid1(VALU_DEP_1)
	v_cndmask_b32_e64 v23, v18, 0x70, vcc_lo
	v_dual_add_nc_u32 v18, 21, v23 :: v_dual_add_nc_u32 v30, 20, v23
	s_delay_alu instid0(VALU_DEP_1) | instskip(NEXT) | instid1(VALU_DEP_2)
	v_lshlrev_b64_e64 v[18:19], v18, -1
	v_lshlrev_b64_e64 v[30:31], v30, 1
	s_delay_alu instid0(VALU_DEP_2) | instskip(SKIP_1) | instid1(VALU_DEP_4)
	v_bfi_b32 v18, v18, 0, v12
	v_lshrrev_b64 v[12:13], v23, v[12:13]
	v_bfi_b32 v19, v19, 0, 0
	s_delay_alu instid0(VALU_DEP_1) | instskip(NEXT) | instid1(VALU_DEP_3)
	v_cmp_eq_u64_e64 s13, v[18:19], v[30:31]
	v_mov_b64_e32 v[18:19], v[12:13]
	s_and_saveexec_b32 s73, s13
; %bb.5191:                             ;   in Loop: Header=BB6_5167 Depth=3
	v_bfe_u32 v18, v12, 21, 1
	v_mov_b32_e32 v19, v21
	s_delay_alu instid0(VALU_DEP_1) | instskip(NEXT) | instid1(VALU_DEP_1)
	v_add_nc_u64_e32 v[18:19], v[12:13], v[18:19]
	v_add_nc_u64_e32 v[18:19], -1, v[18:19]
; %bb.5192:                             ;   in Loop: Header=BB6_5167 Depth=3
	s_or_b32 exec_lo, exec_lo, s73
	v_add_nc_u32_e32 v13, 0xffffff81, v22
	v_lshrrev_b32_e32 v19, 23, v12
	s_mov_b32 s13, exec_lo
	s_delay_alu instid0(VALU_DEP_2) | instskip(NEXT) | instid1(VALU_DEP_1)
	v_cndmask_b32_e64 v13, v13, 0xffffff82, vcc_lo
	v_add3_u32 v22, v23, v13, v19
	v_and_b32_e32 v13, 0x1fffff, v18
                                        ; implicit-def: $vgpr18
	s_delay_alu instid0(VALU_DEP_1) | instskip(SKIP_1) | instid1(VALU_DEP_2)
	v_dual_add_nc_u32 v19, 14, v22 :: v_dual_add_nc_u32 v12, v13, v12
	v_mov_b32_e32 v13, v21
	v_cmpx_ne_u32_e32 0, v19
	s_xor_b32 s13, exec_lo, s13
; %bb.5193:                             ;   in Loop: Header=BB6_5167 Depth=3
	s_delay_alu instid0(VALU_DEP_2) | instskip(SKIP_1) | instid1(VALU_DEP_1)
	v_cmp_lt_u64_e32 vcc_lo, 0xffffff, v[12:13]
	v_add_nc_u32_e32 v18, 15, v22
	v_cndmask_b32_e32 v18, v19, v18, vcc_lo
	v_cndmask_b32_e64 v19, 0, 1, vcc_lo
	s_delay_alu instid0(VALU_DEP_1)
	v_lshrrev_b64 v[12:13], v19, v[12:13]
; %bb.5194:                             ;   in Loop: Header=BB6_5167 Depth=3
	s_and_not1_saveexec_b32 s13, s13
; %bb.5195:                             ;   in Loop: Header=BB6_5167 Depth=3
	s_delay_alu instid0(VALU_DEP_1)
	v_bfe_u32 v18, v12, 23, 1
; %bb.5196:                             ;   in Loop: Header=BB6_5167 Depth=3
	s_or_b32 exec_lo, exec_lo, s13
	s_delay_alu instid0(VALU_DEP_2) | instskip(NEXT) | instid1(VALU_DEP_2)
	v_lshrrev_b64 v[12:13], 21, v[12:13]
	v_cmp_gt_i32_e32 vcc_lo, 32, v18
	v_min_i32_e32 v19, 31, v18
	v_cmp_eq_u32_e64 s13, 0, v18
	s_delay_alu instid0(VALU_DEP_2) | instskip(SKIP_1) | instid1(VALU_DEP_2)
	v_dual_cndmask_b32 v13, 0, v13, vcc_lo :: v_dual_lshlrev_b32 v19, 2, v19
	v_cndmask_b32_e32 v12, 3, v12, vcc_lo
	v_and_b32_e32 v19, 0xfc, v19
	s_delay_alu instid0(VALU_DEP_2) | instskip(NEXT) | instid1(VALU_DEP_2)
	v_cmp_eq_u64_e32 vcc_lo, 0, v[12:13]
	v_and_or_b32 v12, v12, 3, v19
	s_and_b32 s13, s13, vcc_lo
	s_delay_alu instid0(VALU_DEP_1) | instid1(SALU_CYCLE_1)
	v_cndmask_b32_e64 v12, v12, 0, s13
	s_delay_alu instid0(VALU_DEP_1)
	v_or_b32_e32 v30, v12, v20
.LBB6_5197:                             ;   in Loop: Header=BB6_5167 Depth=3
	s_or_b32 exec_lo, exec_lo, s72
                                        ; implicit-def: $vgpr20
.LBB6_5198:                             ;   in Loop: Header=BB6_5167 Depth=3
	s_and_not1_saveexec_b32 s13, s43
; %bb.5199:                             ;   in Loop: Header=BB6_5167 Depth=3
	v_or_b32_e32 v30, 0x7b, v20
; %bb.5200:                             ;   in Loop: Header=BB6_5167 Depth=3
	s_or_b32 exec_lo, exec_lo, s13
                                        ; implicit-def: $vgpr18
                                        ; implicit-def: $vgpr12_vgpr13
                                        ; implicit-def: $vgpr19
.LBB6_5201:                             ;   in Loop: Header=BB6_5167 Depth=3
	s_and_not1_saveexec_b32 s13, s42
	s_cbranch_execz .LBB6_5207
; %bb.5202:                             ;   in Loop: Header=BB6_5167 Depth=3
	s_mov_b32 s42, exec_lo
                                        ; implicit-def: $vgpr30
	v_cmpx_ne_u64_e32 0, v[12:13]
	s_xor_b32 s42, exec_lo, s42
; %bb.5203:                             ;   in Loop: Header=BB6_5167 Depth=3
	v_or_b32_e32 v30, 0x7f, v19
                                        ; implicit-def: $vgpr18
; %bb.5204:                             ;   in Loop: Header=BB6_5167 Depth=3
	s_and_not1_saveexec_b32 s42, s42
; %bb.5205:                             ;   in Loop: Header=BB6_5167 Depth=3
	v_cmp_lt_i32_e32 vcc_lo, -1, v18
	v_mov_b32_e32 v12, 0x7c
	s_delay_alu instid0(VALU_DEP_1)
	v_cndmask_b32_e32 v30, 0xfc, v12, vcc_lo
; %bb.5206:                             ;   in Loop: Header=BB6_5167 Depth=3
	s_or_b32 exec_lo, exec_lo, s42
.LBB6_5207:                             ;   in Loop: Header=BB6_5167 Depth=3
	s_delay_alu instid0(SALU_CYCLE_1) | instskip(SKIP_3) | instid1(VALU_DEP_2)
	s_or_b32 exec_lo, exec_lo, s13
	v_lshrrev_b16 v12, 8, v48
	v_dual_mov_b32 v18, 0 :: v_dual_mov_b32 v19, 0
	s_mov_b32 s42, exec_lo
	v_cmpx_ne_u16_e32 0, v12
	s_cbranch_execz .LBB6_5217
; %bb.5208:                             ;   in Loop: Header=BB6_5167 Depth=3
	v_bfrev_b32_e32 v19, 1
	s_mov_b32 s43, exec_lo
	v_cmpx_ne_u16_e32 0x80, v12
	s_cbranch_execz .LBB6_5216
; %bb.5209:                             ;   in Loop: Header=BB6_5167 Depth=3
	v_and_b32_e32 v20, 0xffff, v12
	s_delay_alu instid0(VALU_DEP_1) | instskip(SKIP_1) | instid1(VALU_DEP_2)
	v_and_b32_e32 v19, 0x7c, v20
	v_and_b32_e32 v13, 3, v20
	v_cmp_ne_u32_e32 vcc_lo, 0x7c, v19
                                        ; implicit-def: $vgpr19
	s_and_saveexec_b32 s13, vcc_lo
	s_delay_alu instid0(SALU_CYCLE_1)
	s_xor_b32 s13, exec_lo, s13
	s_cbranch_execz .LBB6_5213
; %bb.5210:                             ;   in Loop: Header=BB6_5167 Depth=3
	v_bfe_u32 v19, v20, 2, 5
	s_mov_b32 s72, exec_lo
	s_delay_alu instid0(VALU_DEP_1)
	v_cmpx_eq_u32_e32 0, v19
	s_cbranch_execz .LBB6_5212
; %bb.5211:                             ;   in Loop: Header=BB6_5167 Depth=3
	v_clz_i32_u32_e32 v13, v13
	s_delay_alu instid0(VALU_DEP_1) | instskip(SKIP_1) | instid1(VALU_DEP_2)
	v_min_u32_e32 v19, 32, v13
	v_mov_b32_e32 v13, v21
	v_subrev_nc_u32_e32 v20, 29, v19
	v_sub_nc_u32_e32 v19, 30, v19
	s_delay_alu instid0(VALU_DEP_2) | instskip(NEXT) | instid1(VALU_DEP_1)
	v_lshlrev_b64_e32 v[12:13], v20, v[12:13]
	v_and_b32_e32 v13, 3, v12
.LBB6_5212:                             ;   in Loop: Header=BB6_5167 Depth=3
	s_or_b32 exec_lo, exec_lo, s72
	v_lshlrev_b32_e32 v12, 16, v48
	s_delay_alu instid0(VALU_DEP_1) | instskip(NEXT) | instid1(VALU_DEP_1)
	v_and_b32_e32 v12, 0x80000000, v12
	v_lshl_add_u32 v12, v19, 23, v12
	s_delay_alu instid0(VALU_DEP_1) | instskip(NEXT) | instid1(VALU_DEP_1)
	v_lshl_or_b32 v12, v13, 21, v12
                                        ; implicit-def: $vgpr13
	v_add_nc_u32_e32 v19, 0x38000000, v12
.LBB6_5213:                             ;   in Loop: Header=BB6_5167 Depth=3
	s_and_not1_saveexec_b32 s72, s13
; %bb.5214:                             ;   in Loop: Header=BB6_5167 Depth=3
	v_cmp_lt_i16_e64 s13, -1, v48
	v_mov_b32_e32 v12, 0x7f800000
	v_cmp_eq_u32_e32 vcc_lo, 0, v13
	s_delay_alu instid0(VALU_DEP_2) | instskip(NEXT) | instid1(VALU_DEP_1)
	v_cndmask_b32_e64 v12, 0xff800000, v12, s13
	v_cndmask_b32_e32 v19, 0x7f800001, v12, vcc_lo
; %bb.5215:                             ;   in Loop: Header=BB6_5167 Depth=3
	s_or_b32 exec_lo, exec_lo, s72
.LBB6_5216:                             ;   in Loop: Header=BB6_5167 Depth=3
	s_delay_alu instid0(SALU_CYCLE_1)
	s_or_b32 exec_lo, exec_lo, s43
.LBB6_5217:                             ;   in Loop: Header=BB6_5167 Depth=3
	s_delay_alu instid0(SALU_CYCLE_1) | instskip(SKIP_2) | instid1(VALU_DEP_1)
	s_or_b32 exec_lo, exec_lo, s42
	v_lshrrev_b16 v12, 8, v36
	s_mov_b32 s42, exec_lo
	v_cmpx_ne_u16_e32 0, v12
	s_cbranch_execz .LBB6_5227
; %bb.5218:                             ;   in Loop: Header=BB6_5167 Depth=3
	v_bfrev_b32_e32 v18, 1
	s_mov_b32 s43, exec_lo
	v_cmpx_ne_u16_e32 0x80, v12
	s_cbranch_execz .LBB6_5226
; %bb.5219:                             ;   in Loop: Header=BB6_5167 Depth=3
	v_and_b32_e32 v20, 0xffff, v12
	s_delay_alu instid0(VALU_DEP_1) | instskip(SKIP_1) | instid1(VALU_DEP_2)
	v_and_b32_e32 v18, 0x7c, v20
	v_and_b32_e32 v13, 3, v20
	v_cmp_ne_u32_e32 vcc_lo, 0x7c, v18
                                        ; implicit-def: $vgpr18
	s_and_saveexec_b32 s13, vcc_lo
	s_delay_alu instid0(SALU_CYCLE_1)
	s_xor_b32 s13, exec_lo, s13
	s_cbranch_execz .LBB6_5223
; %bb.5220:                             ;   in Loop: Header=BB6_5167 Depth=3
	v_bfe_u32 v18, v20, 2, 5
	s_mov_b32 s72, exec_lo
	s_delay_alu instid0(VALU_DEP_1)
	v_cmpx_eq_u32_e32 0, v18
	s_cbranch_execz .LBB6_5222
; %bb.5221:                             ;   in Loop: Header=BB6_5167 Depth=3
	v_clz_i32_u32_e32 v13, v13
	s_delay_alu instid0(VALU_DEP_1) | instskip(SKIP_1) | instid1(VALU_DEP_2)
	v_min_u32_e32 v18, 32, v13
	v_mov_b32_e32 v13, v21
	v_subrev_nc_u32_e32 v20, 29, v18
	v_sub_nc_u32_e32 v18, 30, v18
	s_delay_alu instid0(VALU_DEP_2) | instskip(NEXT) | instid1(VALU_DEP_1)
	v_lshlrev_b64_e32 v[12:13], v20, v[12:13]
	v_and_b32_e32 v13, 3, v12
.LBB6_5222:                             ;   in Loop: Header=BB6_5167 Depth=3
	s_or_b32 exec_lo, exec_lo, s72
	v_lshlrev_b32_e32 v12, 16, v36
	s_delay_alu instid0(VALU_DEP_1) | instskip(NEXT) | instid1(VALU_DEP_1)
	v_and_b32_e32 v12, 0x80000000, v12
	v_lshl_add_u32 v12, v18, 23, v12
	s_delay_alu instid0(VALU_DEP_1) | instskip(NEXT) | instid1(VALU_DEP_1)
	v_lshl_or_b32 v12, v13, 21, v12
                                        ; implicit-def: $vgpr13
	v_add_nc_u32_e32 v18, 0x38000000, v12
.LBB6_5223:                             ;   in Loop: Header=BB6_5167 Depth=3
	s_and_not1_saveexec_b32 s72, s13
; %bb.5224:                             ;   in Loop: Header=BB6_5167 Depth=3
	v_cmp_lt_i16_e64 s13, -1, v36
	v_mov_b32_e32 v12, 0x7f800000
	v_cmp_eq_u32_e32 vcc_lo, 0, v13
	s_delay_alu instid0(VALU_DEP_2) | instskip(NEXT) | instid1(VALU_DEP_1)
	v_cndmask_b32_e64 v12, 0xff800000, v12, s13
	v_cndmask_b32_e32 v18, 0x7f800001, v12, vcc_lo
; %bb.5225:                             ;   in Loop: Header=BB6_5167 Depth=3
	s_or_b32 exec_lo, exec_lo, s72
.LBB6_5226:                             ;   in Loop: Header=BB6_5167 Depth=3
	s_delay_alu instid0(SALU_CYCLE_1)
	s_or_b32 exec_lo, exec_lo, s43
.LBB6_5227:                             ;   in Loop: Header=BB6_5167 Depth=3
	s_delay_alu instid0(SALU_CYCLE_1) | instskip(NEXT) | instid1(VALU_DEP_1)
	s_or_b32 exec_lo, exec_lo, s42
	v_dual_mul_f32 v18, v19, v18 :: v_dual_mov_b32 v23, v21
	v_mov_b32_e32 v13, v21
                                        ; implicit-def: $vgpr31
	s_mov_b32 s13, exec_lo
	s_delay_alu instid0(VALU_DEP_2) | instskip(SKIP_2) | instid1(VALU_DEP_3)
	v_and_b32_e32 v22, 0x7f800000, v18
	v_and_b32_e32 v12, 0x7fffff, v18
	v_lshrrev_b32_e32 v19, 24, v18
	v_cmpx_ne_u64_e32 0x7f800000, v[22:23]
	s_xor_b32 s42, exec_lo, s13
	s_cbranch_execz .LBB6_5241
; %bb.5228:                             ;   in Loop: Header=BB6_5167 Depth=3
	v_and_b32_e32 v22, 0x7fffffff, v18
	v_mov_b32_e32 v23, v21
	v_and_b32_e32 v20, 0x80, v19
                                        ; implicit-def: $vgpr31
	s_mov_b32 s13, exec_lo
	s_delay_alu instid0(VALU_DEP_2)
	v_cmpx_gt_u64_e32 0x47600001, v[22:23]
	s_xor_b32 s43, exec_lo, s13
	s_cbranch_execz .LBB6_5238
; %bb.5229:                             ;   in Loop: Header=BB6_5167 Depth=3
	v_mov_b32_e32 v31, 0
	s_mov_b32 s72, exec_lo
	v_cmpx_ne_u32_e32 0, v18
	s_cbranch_execz .LBB6_5237
; %bb.5230:                             ;   in Loop: Header=BB6_5167 Depth=3
	v_bfe_u32 v22, v18, 23, 8
	v_or_b32_e32 v19, 0x800000, v12
	s_delay_alu instid0(VALU_DEP_2) | instskip(SKIP_2) | instid1(VALU_DEP_2)
	v_cmp_gt_u32_e64 s13, 0x72, v22
	v_sub_nc_u32_e32 v18, 0x71, v22
	v_cmp_eq_u32_e32 vcc_lo, 0, v22
	v_dual_cndmask_b32 v18, 0, v18, s13 :: v_dual_cndmask_b32 v12, v19, v12, vcc_lo
	s_delay_alu instid0(VALU_DEP_1) | instskip(NEXT) | instid1(VALU_DEP_1)
	v_cndmask_b32_e64 v23, v18, 0x70, vcc_lo
	v_dual_add_nc_u32 v18, 21, v23 :: v_dual_add_nc_u32 v31, 20, v23
	s_delay_alu instid0(VALU_DEP_1) | instskip(NEXT) | instid1(VALU_DEP_2)
	v_lshlrev_b64_e64 v[18:19], v18, -1
	v_lshlrev_b64_e64 v[52:53], v31, 1
	s_delay_alu instid0(VALU_DEP_2) | instskip(SKIP_1) | instid1(VALU_DEP_4)
	v_bfi_b32 v18, v18, 0, v12
	v_lshrrev_b64 v[12:13], v23, v[12:13]
	v_bfi_b32 v19, v19, 0, 0
	s_delay_alu instid0(VALU_DEP_1) | instskip(NEXT) | instid1(VALU_DEP_3)
	v_cmp_eq_u64_e64 s13, v[18:19], v[52:53]
	v_mov_b64_e32 v[18:19], v[12:13]
	s_and_saveexec_b32 s73, s13
; %bb.5231:                             ;   in Loop: Header=BB6_5167 Depth=3
	v_bfe_u32 v18, v12, 21, 1
	v_mov_b32_e32 v19, v21
	s_delay_alu instid0(VALU_DEP_1) | instskip(NEXT) | instid1(VALU_DEP_1)
	v_add_nc_u64_e32 v[18:19], v[12:13], v[18:19]
	v_add_nc_u64_e32 v[18:19], -1, v[18:19]
; %bb.5232:                             ;   in Loop: Header=BB6_5167 Depth=3
	s_or_b32 exec_lo, exec_lo, s73
	v_add_nc_u32_e32 v13, 0xffffff81, v22
	v_lshrrev_b32_e32 v19, 23, v12
	s_mov_b32 s13, exec_lo
	s_delay_alu instid0(VALU_DEP_2) | instskip(NEXT) | instid1(VALU_DEP_1)
	v_cndmask_b32_e64 v13, v13, 0xffffff82, vcc_lo
	v_add3_u32 v22, v23, v13, v19
	v_and_b32_e32 v13, 0x1fffff, v18
                                        ; implicit-def: $vgpr18
	s_delay_alu instid0(VALU_DEP_1) | instskip(SKIP_1) | instid1(VALU_DEP_2)
	v_dual_add_nc_u32 v19, 14, v22 :: v_dual_add_nc_u32 v12, v13, v12
	v_mov_b32_e32 v13, v21
	v_cmpx_ne_u32_e32 0, v19
	s_xor_b32 s13, exec_lo, s13
; %bb.5233:                             ;   in Loop: Header=BB6_5167 Depth=3
	s_delay_alu instid0(VALU_DEP_2) | instskip(SKIP_1) | instid1(VALU_DEP_1)
	v_cmp_lt_u64_e32 vcc_lo, 0xffffff, v[12:13]
	v_add_nc_u32_e32 v18, 15, v22
	v_cndmask_b32_e32 v18, v19, v18, vcc_lo
	v_cndmask_b32_e64 v19, 0, 1, vcc_lo
	s_delay_alu instid0(VALU_DEP_1)
	v_lshrrev_b64 v[12:13], v19, v[12:13]
; %bb.5234:                             ;   in Loop: Header=BB6_5167 Depth=3
	s_and_not1_saveexec_b32 s13, s13
; %bb.5235:                             ;   in Loop: Header=BB6_5167 Depth=3
	s_delay_alu instid0(VALU_DEP_1)
	v_bfe_u32 v18, v12, 23, 1
; %bb.5236:                             ;   in Loop: Header=BB6_5167 Depth=3
	s_or_b32 exec_lo, exec_lo, s13
	s_delay_alu instid0(VALU_DEP_2) | instskip(NEXT) | instid1(VALU_DEP_2)
	v_lshrrev_b64 v[12:13], 21, v[12:13]
	v_cmp_gt_i32_e32 vcc_lo, 32, v18
	v_min_i32_e32 v19, 31, v18
	v_cmp_eq_u32_e64 s13, 0, v18
	s_delay_alu instid0(VALU_DEP_2) | instskip(SKIP_1) | instid1(VALU_DEP_2)
	v_dual_cndmask_b32 v13, 0, v13, vcc_lo :: v_dual_lshlrev_b32 v19, 2, v19
	v_cndmask_b32_e32 v12, 3, v12, vcc_lo
	v_and_b32_e32 v19, 0xfc, v19
	s_delay_alu instid0(VALU_DEP_2) | instskip(NEXT) | instid1(VALU_DEP_2)
	v_cmp_eq_u64_e32 vcc_lo, 0, v[12:13]
	v_and_or_b32 v12, v12, 3, v19
	s_and_b32 s13, s13, vcc_lo
	s_delay_alu instid0(VALU_DEP_1) | instid1(SALU_CYCLE_1)
	v_cndmask_b32_e64 v12, v12, 0, s13
	s_delay_alu instid0(VALU_DEP_1)
	v_or_b32_e32 v31, v12, v20
.LBB6_5237:                             ;   in Loop: Header=BB6_5167 Depth=3
	s_or_b32 exec_lo, exec_lo, s72
                                        ; implicit-def: $vgpr20
.LBB6_5238:                             ;   in Loop: Header=BB6_5167 Depth=3
	s_and_not1_saveexec_b32 s13, s43
; %bb.5239:                             ;   in Loop: Header=BB6_5167 Depth=3
	v_or_b32_e32 v31, 0x7b, v20
; %bb.5240:                             ;   in Loop: Header=BB6_5167 Depth=3
	s_or_b32 exec_lo, exec_lo, s13
                                        ; implicit-def: $vgpr18
                                        ; implicit-def: $vgpr12_vgpr13
                                        ; implicit-def: $vgpr19
.LBB6_5241:                             ;   in Loop: Header=BB6_5167 Depth=3
	s_and_not1_saveexec_b32 s13, s42
	s_cbranch_execz .LBB6_5247
; %bb.5242:                             ;   in Loop: Header=BB6_5167 Depth=3
	s_mov_b32 s42, exec_lo
                                        ; implicit-def: $vgpr31
	v_cmpx_ne_u64_e32 0, v[12:13]
	s_xor_b32 s42, exec_lo, s42
; %bb.5243:                             ;   in Loop: Header=BB6_5167 Depth=3
	v_or_b32_e32 v31, 0x7f, v19
                                        ; implicit-def: $vgpr18
; %bb.5244:                             ;   in Loop: Header=BB6_5167 Depth=3
	s_and_not1_saveexec_b32 s42, s42
; %bb.5245:                             ;   in Loop: Header=BB6_5167 Depth=3
	v_cmp_lt_i32_e32 vcc_lo, -1, v18
	v_mov_b32_e32 v12, 0x7c
	s_delay_alu instid0(VALU_DEP_1)
	v_cndmask_b32_e32 v31, 0xfc, v12, vcc_lo
; %bb.5246:                             ;   in Loop: Header=BB6_5167 Depth=3
	s_or_b32 exec_lo, exec_lo, s42
.LBB6_5247:                             ;   in Loop: Header=BB6_5167 Depth=3
	s_delay_alu instid0(SALU_CYCLE_1) | instskip(SKIP_3) | instid1(VALU_DEP_2)
	s_or_b32 exec_lo, exec_lo, s13
	v_dual_mov_b32 v13, 0 :: v_dual_lshrrev_b32 v12, 16, v48
	v_mov_b32_e32 v18, 0
	s_mov_b32 s42, exec_lo
	v_and_b32_e32 v19, 0xff, v12
	s_delay_alu instid0(VALU_DEP_1)
	v_cmpx_ne_u16_e32 0, v19
	s_cbranch_execz .LBB6_5257
; %bb.5248:                             ;   in Loop: Header=BB6_5167 Depth=3
	v_bfrev_b32_e32 v18, 1
	s_mov_b32 s43, exec_lo
	v_cmpx_ne_u16_e32 0x80, v19
	s_cbranch_execz .LBB6_5256
; %bb.5249:                             ;   in Loop: Header=BB6_5167 Depth=3
	v_and_b32_e32 v18, 0x7c0000, v48
	v_bfe_u32 v19, v48, 16, 2
	s_delay_alu instid0(VALU_DEP_2) | instskip(SKIP_1) | instid1(SALU_CYCLE_1)
	v_cmp_ne_u32_e32 vcc_lo, 0x7c0000, v18
                                        ; implicit-def: $vgpr18
	s_and_saveexec_b32 s13, vcc_lo
	s_xor_b32 s13, exec_lo, s13
	s_cbranch_execz .LBB6_5253
; %bb.5250:                             ;   in Loop: Header=BB6_5167 Depth=3
	v_bfe_u32 v18, v48, 18, 5
	s_mov_b32 s72, exec_lo
	s_delay_alu instid0(VALU_DEP_1)
	v_cmpx_eq_u32_e32 0, v18
; %bb.5251:                             ;   in Loop: Header=BB6_5167 Depth=3
	v_clz_i32_u32_e32 v18, v19
	s_delay_alu instid0(VALU_DEP_1) | instskip(NEXT) | instid1(VALU_DEP_1)
	v_min_u32_e32 v18, 32, v18
	v_subrev_nc_u32_e32 v19, 29, v18
	v_sub_nc_u32_e32 v18, 30, v18
	s_delay_alu instid0(VALU_DEP_2) | instskip(NEXT) | instid1(VALU_DEP_1)
	v_lshlrev_b64_e32 v[22:23], v19, v[12:13]
	v_and_b32_e32 v19, 3, v22
; %bb.5252:                             ;   in Loop: Header=BB6_5167 Depth=3
	s_or_b32 exec_lo, exec_lo, s72
	v_lshlrev_b32_e32 v12, 24, v12
	s_delay_alu instid0(VALU_DEP_1) | instskip(NEXT) | instid1(VALU_DEP_1)
	v_and_b32_e32 v12, 0x80000000, v12
	v_lshl_add_u32 v12, v18, 23, v12
	s_delay_alu instid0(VALU_DEP_1) | instskip(NEXT) | instid1(VALU_DEP_1)
	v_lshl_or_b32 v12, v19, 21, v12
                                        ; implicit-def: $vgpr19
	v_add_nc_u32_e32 v18, 0x38000000, v12
                                        ; implicit-def: $vgpr12
.LBB6_5253:                             ;   in Loop: Header=BB6_5167 Depth=3
	s_and_not1_saveexec_b32 s72, s13
; %bb.5254:                             ;   in Loop: Header=BB6_5167 Depth=3
	v_bfe_i32 v12, v12, 0, 8
	v_cmp_eq_u32_e32 vcc_lo, 0, v19
	s_delay_alu instid0(VALU_DEP_2) | instskip(SKIP_1) | instid1(VALU_DEP_1)
	v_cmp_lt_i16_e64 s13, -1, v12
	v_mov_b32_e32 v12, 0x7f800000
	v_cndmask_b32_e64 v12, 0xff800000, v12, s13
	s_delay_alu instid0(VALU_DEP_1)
	v_cndmask_b32_e32 v18, 0x7f800001, v12, vcc_lo
; %bb.5255:                             ;   in Loop: Header=BB6_5167 Depth=3
	s_or_b32 exec_lo, exec_lo, s72
.LBB6_5256:                             ;   in Loop: Header=BB6_5167 Depth=3
	s_delay_alu instid0(SALU_CYCLE_1)
	s_or_b32 exec_lo, exec_lo, s43
.LBB6_5257:                             ;   in Loop: Header=BB6_5167 Depth=3
	s_delay_alu instid0(SALU_CYCLE_1) | instskip(SKIP_2) | instid1(VALU_DEP_1)
	s_or_b32 exec_lo, exec_lo, s42
	v_lshrrev_b32_e32 v12, 16, v36
	s_mov_b32 s42, exec_lo
	v_and_b32_e32 v19, 0xff, v12
	s_delay_alu instid0(VALU_DEP_1)
	v_cmpx_ne_u16_e32 0, v19
	s_cbranch_execz .LBB6_5267
; %bb.5258:                             ;   in Loop: Header=BB6_5167 Depth=3
	v_bfrev_b32_e32 v13, 1
	s_mov_b32 s43, exec_lo
	v_cmpx_ne_u16_e32 0x80, v19
	s_cbranch_execz .LBB6_5266
; %bb.5259:                             ;   in Loop: Header=BB6_5167 Depth=3
	v_and_b32_e32 v13, 0x7c0000, v36
	v_bfe_u32 v19, v36, 16, 2
	s_delay_alu instid0(VALU_DEP_2) | instskip(SKIP_1) | instid1(SALU_CYCLE_1)
	v_cmp_ne_u32_e32 vcc_lo, 0x7c0000, v13
                                        ; implicit-def: $vgpr13
	s_and_saveexec_b32 s13, vcc_lo
	s_xor_b32 s13, exec_lo, s13
	s_cbranch_execz .LBB6_5263
; %bb.5260:                             ;   in Loop: Header=BB6_5167 Depth=3
	v_bfe_u32 v13, v36, 18, 5
	s_mov_b32 s72, exec_lo
	s_delay_alu instid0(VALU_DEP_1)
	v_cmpx_eq_u32_e32 0, v13
; %bb.5261:                             ;   in Loop: Header=BB6_5167 Depth=3
	v_clz_i32_u32_e32 v13, v19
	s_delay_alu instid0(VALU_DEP_1) | instskip(NEXT) | instid1(VALU_DEP_1)
	v_min_u32_e32 v13, 32, v13
	v_subrev_nc_u32_e32 v19, 29, v13
	s_delay_alu instid0(VALU_DEP_1) | instskip(NEXT) | instid1(VALU_DEP_1)
	v_lshlrev_b64_e32 v[22:23], v19, v[12:13]
	v_dual_sub_nc_u32 v13, 30, v13 :: v_dual_bitop2_b32 v19, 3, v22 bitop3:0x40
; %bb.5262:                             ;   in Loop: Header=BB6_5167 Depth=3
	s_or_b32 exec_lo, exec_lo, s72
	v_lshlrev_b32_e32 v12, 24, v12
	s_delay_alu instid0(VALU_DEP_1) | instskip(NEXT) | instid1(VALU_DEP_1)
	v_and_b32_e32 v12, 0x80000000, v12
	v_lshl_add_u32 v12, v13, 23, v12
	s_delay_alu instid0(VALU_DEP_1) | instskip(NEXT) | instid1(VALU_DEP_1)
	v_lshl_or_b32 v12, v19, 21, v12
                                        ; implicit-def: $vgpr19
	v_add_nc_u32_e32 v13, 0x38000000, v12
                                        ; implicit-def: $vgpr12
.LBB6_5263:                             ;   in Loop: Header=BB6_5167 Depth=3
	s_and_not1_saveexec_b32 s72, s13
; %bb.5264:                             ;   in Loop: Header=BB6_5167 Depth=3
	v_bfe_i32 v12, v12, 0, 8
	v_cmp_eq_u32_e32 vcc_lo, 0, v19
	s_delay_alu instid0(VALU_DEP_2) | instskip(SKIP_1) | instid1(VALU_DEP_1)
	v_cmp_lt_i16_e64 s13, -1, v12
	v_mov_b32_e32 v12, 0x7f800000
	v_cndmask_b32_e64 v12, 0xff800000, v12, s13
	s_delay_alu instid0(VALU_DEP_1)
	v_cndmask_b32_e32 v13, 0x7f800001, v12, vcc_lo
; %bb.5265:                             ;   in Loop: Header=BB6_5167 Depth=3
	s_or_b32 exec_lo, exec_lo, s72
.LBB6_5266:                             ;   in Loop: Header=BB6_5167 Depth=3
	s_delay_alu instid0(SALU_CYCLE_1)
	s_or_b32 exec_lo, exec_lo, s43
.LBB6_5267:                             ;   in Loop: Header=BB6_5167 Depth=3
	s_delay_alu instid0(SALU_CYCLE_1) | instskip(NEXT) | instid1(VALU_DEP_1)
	s_or_b32 exec_lo, exec_lo, s42
	v_dual_mul_f32 v18, v18, v13 :: v_dual_mov_b32 v23, v21
	v_mov_b32_e32 v13, v21
                                        ; implicit-def: $vgpr52
	s_mov_b32 s13, exec_lo
	s_delay_alu instid0(VALU_DEP_2) | instskip(SKIP_2) | instid1(VALU_DEP_3)
	v_and_b32_e32 v22, 0x7f800000, v18
	v_and_b32_e32 v12, 0x7fffff, v18
	v_lshrrev_b32_e32 v19, 24, v18
	v_cmpx_ne_u64_e32 0x7f800000, v[22:23]
	s_xor_b32 s42, exec_lo, s13
	s_cbranch_execz .LBB6_5281
; %bb.5268:                             ;   in Loop: Header=BB6_5167 Depth=3
	v_and_b32_e32 v22, 0x7fffffff, v18
	v_mov_b32_e32 v23, v21
	v_and_b32_e32 v20, 0x80, v19
                                        ; implicit-def: $vgpr52
	s_mov_b32 s13, exec_lo
	s_delay_alu instid0(VALU_DEP_2)
	v_cmpx_gt_u64_e32 0x47600001, v[22:23]
	s_xor_b32 s43, exec_lo, s13
	s_cbranch_execz .LBB6_5278
; %bb.5269:                             ;   in Loop: Header=BB6_5167 Depth=3
	v_mov_b32_e32 v52, 0
	s_mov_b32 s72, exec_lo
	v_cmpx_ne_u32_e32 0, v18
	s_cbranch_execz .LBB6_5277
; %bb.5270:                             ;   in Loop: Header=BB6_5167 Depth=3
	v_bfe_u32 v22, v18, 23, 8
	v_or_b32_e32 v19, 0x800000, v12
	s_delay_alu instid0(VALU_DEP_2) | instskip(SKIP_2) | instid1(VALU_DEP_2)
	v_cmp_gt_u32_e64 s13, 0x72, v22
	v_sub_nc_u32_e32 v18, 0x71, v22
	v_cmp_eq_u32_e32 vcc_lo, 0, v22
	v_dual_cndmask_b32 v18, 0, v18, s13 :: v_dual_cndmask_b32 v12, v19, v12, vcc_lo
	s_delay_alu instid0(VALU_DEP_1) | instskip(NEXT) | instid1(VALU_DEP_1)
	v_cndmask_b32_e64 v23, v18, 0x70, vcc_lo
	v_dual_add_nc_u32 v18, 21, v23 :: v_dual_add_nc_u32 v52, 20, v23
	s_delay_alu instid0(VALU_DEP_1) | instskip(NEXT) | instid1(VALU_DEP_2)
	v_lshlrev_b64_e64 v[18:19], v18, -1
	v_lshlrev_b64_e64 v[52:53], v52, 1
	s_delay_alu instid0(VALU_DEP_2) | instskip(SKIP_1) | instid1(VALU_DEP_4)
	v_bfi_b32 v18, v18, 0, v12
	v_lshrrev_b64 v[12:13], v23, v[12:13]
	v_bfi_b32 v19, v19, 0, 0
	s_delay_alu instid0(VALU_DEP_1) | instskip(NEXT) | instid1(VALU_DEP_3)
	v_cmp_eq_u64_e64 s13, v[18:19], v[52:53]
	v_mov_b64_e32 v[18:19], v[12:13]
	s_and_saveexec_b32 s73, s13
; %bb.5271:                             ;   in Loop: Header=BB6_5167 Depth=3
	v_bfe_u32 v18, v12, 21, 1
	v_mov_b32_e32 v19, v21
	s_delay_alu instid0(VALU_DEP_1) | instskip(NEXT) | instid1(VALU_DEP_1)
	v_add_nc_u64_e32 v[18:19], v[12:13], v[18:19]
	v_add_nc_u64_e32 v[18:19], -1, v[18:19]
; %bb.5272:                             ;   in Loop: Header=BB6_5167 Depth=3
	s_or_b32 exec_lo, exec_lo, s73
	v_add_nc_u32_e32 v13, 0xffffff81, v22
	v_lshrrev_b32_e32 v19, 23, v12
	s_mov_b32 s13, exec_lo
	s_delay_alu instid0(VALU_DEP_2) | instskip(NEXT) | instid1(VALU_DEP_1)
	v_cndmask_b32_e64 v13, v13, 0xffffff82, vcc_lo
	v_add3_u32 v22, v23, v13, v19
	v_and_b32_e32 v13, 0x1fffff, v18
                                        ; implicit-def: $vgpr18
	s_delay_alu instid0(VALU_DEP_1) | instskip(SKIP_1) | instid1(VALU_DEP_2)
	v_dual_add_nc_u32 v19, 14, v22 :: v_dual_add_nc_u32 v12, v13, v12
	v_mov_b32_e32 v13, v21
	v_cmpx_ne_u32_e32 0, v19
	s_xor_b32 s13, exec_lo, s13
; %bb.5273:                             ;   in Loop: Header=BB6_5167 Depth=3
	s_delay_alu instid0(VALU_DEP_2) | instskip(SKIP_1) | instid1(VALU_DEP_1)
	v_cmp_lt_u64_e32 vcc_lo, 0xffffff, v[12:13]
	v_add_nc_u32_e32 v18, 15, v22
	v_cndmask_b32_e32 v18, v19, v18, vcc_lo
	v_cndmask_b32_e64 v19, 0, 1, vcc_lo
	s_delay_alu instid0(VALU_DEP_1)
	v_lshrrev_b64 v[12:13], v19, v[12:13]
; %bb.5274:                             ;   in Loop: Header=BB6_5167 Depth=3
	s_and_not1_saveexec_b32 s13, s13
; %bb.5275:                             ;   in Loop: Header=BB6_5167 Depth=3
	s_delay_alu instid0(VALU_DEP_1)
	v_bfe_u32 v18, v12, 23, 1
; %bb.5276:                             ;   in Loop: Header=BB6_5167 Depth=3
	s_or_b32 exec_lo, exec_lo, s13
	s_delay_alu instid0(VALU_DEP_2) | instskip(NEXT) | instid1(VALU_DEP_2)
	v_lshrrev_b64 v[12:13], 21, v[12:13]
	v_cmp_gt_i32_e32 vcc_lo, 32, v18
	v_min_i32_e32 v19, 31, v18
	v_cmp_eq_u32_e64 s13, 0, v18
	s_delay_alu instid0(VALU_DEP_2) | instskip(SKIP_1) | instid1(VALU_DEP_2)
	v_dual_cndmask_b32 v13, 0, v13, vcc_lo :: v_dual_lshlrev_b32 v19, 2, v19
	v_cndmask_b32_e32 v12, 3, v12, vcc_lo
	v_and_b32_e32 v19, 0xfc, v19
	s_delay_alu instid0(VALU_DEP_2) | instskip(NEXT) | instid1(VALU_DEP_2)
	v_cmp_eq_u64_e32 vcc_lo, 0, v[12:13]
	v_and_or_b32 v12, v12, 3, v19
	s_and_b32 s13, s13, vcc_lo
	s_delay_alu instid0(VALU_DEP_1) | instid1(SALU_CYCLE_1)
	v_cndmask_b32_e64 v12, v12, 0, s13
	s_delay_alu instid0(VALU_DEP_1)
	v_or_b32_e32 v52, v12, v20
.LBB6_5277:                             ;   in Loop: Header=BB6_5167 Depth=3
	s_or_b32 exec_lo, exec_lo, s72
                                        ; implicit-def: $vgpr20
.LBB6_5278:                             ;   in Loop: Header=BB6_5167 Depth=3
	s_and_not1_saveexec_b32 s13, s43
; %bb.5279:                             ;   in Loop: Header=BB6_5167 Depth=3
	v_or_b32_e32 v52, 0x7b, v20
; %bb.5280:                             ;   in Loop: Header=BB6_5167 Depth=3
	s_or_b32 exec_lo, exec_lo, s13
                                        ; implicit-def: $vgpr18
                                        ; implicit-def: $vgpr12_vgpr13
                                        ; implicit-def: $vgpr19
.LBB6_5281:                             ;   in Loop: Header=BB6_5167 Depth=3
	s_and_not1_saveexec_b32 s13, s42
	s_cbranch_execz .LBB6_5287
; %bb.5282:                             ;   in Loop: Header=BB6_5167 Depth=3
	s_mov_b32 s42, exec_lo
                                        ; implicit-def: $vgpr52
	v_cmpx_ne_u64_e32 0, v[12:13]
	s_xor_b32 s42, exec_lo, s42
; %bb.5283:                             ;   in Loop: Header=BB6_5167 Depth=3
	v_or_b32_e32 v52, 0x7f, v19
                                        ; implicit-def: $vgpr18
; %bb.5284:                             ;   in Loop: Header=BB6_5167 Depth=3
	s_and_not1_saveexec_b32 s42, s42
; %bb.5285:                             ;   in Loop: Header=BB6_5167 Depth=3
	v_cmp_lt_i32_e32 vcc_lo, -1, v18
	v_mov_b32_e32 v12, 0x7c
	s_delay_alu instid0(VALU_DEP_1)
	v_cndmask_b32_e32 v52, 0xfc, v12, vcc_lo
; %bb.5286:                             ;   in Loop: Header=BB6_5167 Depth=3
	s_or_b32 exec_lo, exec_lo, s42
.LBB6_5287:                             ;   in Loop: Header=BB6_5167 Depth=3
	s_delay_alu instid0(SALU_CYCLE_1)
	s_or_b32 exec_lo, exec_lo, s13
	v_dual_mov_b32 v13, 0 :: v_dual_mov_b32 v18, 0
	s_mov_b32 s42, exec_lo
	v_cmpx_lt_u32_e32 0xffffff, v48
	s_cbranch_execz .LBB6_5297
; %bb.5288:                             ;   in Loop: Header=BB6_5167 Depth=3
	v_lshrrev_b32_e32 v12, 24, v48
	v_bfrev_b32_e32 v18, 1
	s_mov_b32 s43, exec_lo
	s_delay_alu instid0(VALU_DEP_2)
	v_cmpx_ne_u32_e32 0x80, v12
	s_cbranch_execz .LBB6_5296
; %bb.5289:                             ;   in Loop: Header=BB6_5167 Depth=3
	v_and_b32_e32 v18, 0x7c000000, v48
	v_bfe_u32 v19, v48, 24, 2
	s_delay_alu instid0(VALU_DEP_2) | instskip(SKIP_1) | instid1(SALU_CYCLE_1)
	v_cmp_ne_u32_e32 vcc_lo, 0x7c000000, v18
                                        ; implicit-def: $vgpr18
	s_and_saveexec_b32 s13, vcc_lo
	s_xor_b32 s13, exec_lo, s13
	s_cbranch_execz .LBB6_5293
; %bb.5290:                             ;   in Loop: Header=BB6_5167 Depth=3
	v_bfe_u32 v18, v48, 26, 5
	s_mov_b32 s72, exec_lo
	s_delay_alu instid0(VALU_DEP_1)
	v_cmpx_eq_u32_e32 0, v18
; %bb.5291:                             ;   in Loop: Header=BB6_5167 Depth=3
	v_clz_i32_u32_e32 v18, v19
	s_delay_alu instid0(VALU_DEP_1) | instskip(NEXT) | instid1(VALU_DEP_1)
	v_min_u32_e32 v18, 32, v18
	v_subrev_nc_u32_e32 v19, 29, v18
	v_sub_nc_u32_e32 v18, 30, v18
	s_delay_alu instid0(VALU_DEP_2) | instskip(NEXT) | instid1(VALU_DEP_1)
	v_lshlrev_b64_e32 v[22:23], v19, v[12:13]
	v_and_b32_e32 v19, 3, v22
; %bb.5292:                             ;   in Loop: Header=BB6_5167 Depth=3
	s_or_b32 exec_lo, exec_lo, s72
	v_and_b32_e32 v12, 0x80000000, v48
	s_delay_alu instid0(VALU_DEP_1) | instskip(NEXT) | instid1(VALU_DEP_1)
	v_lshl_add_u32 v12, v18, 23, v12
	v_lshl_or_b32 v12, v19, 21, v12
                                        ; implicit-def: $vgpr19
	s_delay_alu instid0(VALU_DEP_1)
	v_add_nc_u32_e32 v18, 0x38000000, v12
.LBB6_5293:                             ;   in Loop: Header=BB6_5167 Depth=3
	s_and_not1_saveexec_b32 s72, s13
; %bb.5294:                             ;   in Loop: Header=BB6_5167 Depth=3
	v_cmp_lt_i32_e64 s13, -1, v48
	v_mov_b32_e32 v12, 0x7f800000
	v_cmp_eq_u32_e32 vcc_lo, 0, v19
	s_delay_alu instid0(VALU_DEP_2) | instskip(NEXT) | instid1(VALU_DEP_1)
	v_cndmask_b32_e64 v12, 0xff800000, v12, s13
	v_cndmask_b32_e32 v18, 0x7f800001, v12, vcc_lo
; %bb.5295:                             ;   in Loop: Header=BB6_5167 Depth=3
	s_or_b32 exec_lo, exec_lo, s72
.LBB6_5296:                             ;   in Loop: Header=BB6_5167 Depth=3
	s_delay_alu instid0(SALU_CYCLE_1)
	s_or_b32 exec_lo, exec_lo, s43
.LBB6_5297:                             ;   in Loop: Header=BB6_5167 Depth=3
	s_delay_alu instid0(SALU_CYCLE_1) | instskip(NEXT) | instid1(SALU_CYCLE_1)
	s_or_b32 exec_lo, exec_lo, s42
	s_mov_b32 s42, exec_lo
	v_cmpx_lt_u32_e32 0xffffff, v36
	s_cbranch_execz .LBB6_5307
; %bb.5298:                             ;   in Loop: Header=BB6_5167 Depth=3
	v_lshrrev_b32_e32 v12, 24, v36
	v_bfrev_b32_e32 v13, 1
	s_mov_b32 s43, exec_lo
	s_delay_alu instid0(VALU_DEP_2)
	v_cmpx_ne_u32_e32 0x80, v12
	s_cbranch_execz .LBB6_5306
; %bb.5299:                             ;   in Loop: Header=BB6_5167 Depth=3
	v_and_b32_e32 v13, 0x7c000000, v36
	v_bfe_u32 v19, v36, 24, 2
	s_delay_alu instid0(VALU_DEP_2) | instskip(SKIP_1) | instid1(SALU_CYCLE_1)
	v_cmp_ne_u32_e32 vcc_lo, 0x7c000000, v13
                                        ; implicit-def: $vgpr13
	s_and_saveexec_b32 s13, vcc_lo
	s_xor_b32 s13, exec_lo, s13
	s_cbranch_execz .LBB6_5303
; %bb.5300:                             ;   in Loop: Header=BB6_5167 Depth=3
	v_bfe_u32 v13, v36, 26, 5
	s_mov_b32 s72, exec_lo
	s_delay_alu instid0(VALU_DEP_1)
	v_cmpx_eq_u32_e32 0, v13
; %bb.5301:                             ;   in Loop: Header=BB6_5167 Depth=3
	v_clz_i32_u32_e32 v13, v19
	s_delay_alu instid0(VALU_DEP_1) | instskip(NEXT) | instid1(VALU_DEP_1)
	v_min_u32_e32 v19, 32, v13
	v_subrev_nc_u32_e32 v13, 29, v19
	s_delay_alu instid0(VALU_DEP_1) | instskip(NEXT) | instid1(VALU_DEP_1)
	v_lshlrev_b64_e32 v[12:13], v13, v[12:13]
	v_dual_sub_nc_u32 v13, 30, v19 :: v_dual_bitop2_b32 v19, 3, v12 bitop3:0x40
; %bb.5302:                             ;   in Loop: Header=BB6_5167 Depth=3
	s_or_b32 exec_lo, exec_lo, s72
	v_and_b32_e32 v12, 0x80000000, v36
	s_delay_alu instid0(VALU_DEP_1) | instskip(NEXT) | instid1(VALU_DEP_1)
	v_lshl_add_u32 v12, v13, 23, v12
	v_lshl_or_b32 v12, v19, 21, v12
                                        ; implicit-def: $vgpr19
	s_delay_alu instid0(VALU_DEP_1)
	v_add_nc_u32_e32 v13, 0x38000000, v12
.LBB6_5303:                             ;   in Loop: Header=BB6_5167 Depth=3
	s_and_not1_saveexec_b32 s72, s13
; %bb.5304:                             ;   in Loop: Header=BB6_5167 Depth=3
	v_cmp_lt_i32_e64 s13, -1, v36
	v_mov_b32_e32 v12, 0x7f800000
	v_cmp_eq_u32_e32 vcc_lo, 0, v19
	s_delay_alu instid0(VALU_DEP_2) | instskip(NEXT) | instid1(VALU_DEP_1)
	v_cndmask_b32_e64 v12, 0xff800000, v12, s13
	v_cndmask_b32_e32 v13, 0x7f800001, v12, vcc_lo
; %bb.5305:                             ;   in Loop: Header=BB6_5167 Depth=3
	s_or_b32 exec_lo, exec_lo, s72
.LBB6_5306:                             ;   in Loop: Header=BB6_5167 Depth=3
	s_delay_alu instid0(SALU_CYCLE_1)
	s_or_b32 exec_lo, exec_lo, s43
.LBB6_5307:                             ;   in Loop: Header=BB6_5167 Depth=3
	s_delay_alu instid0(SALU_CYCLE_1) | instskip(NEXT) | instid1(VALU_DEP_1)
	s_or_b32 exec_lo, exec_lo, s42
	v_dual_mul_f32 v18, v18, v13 :: v_dual_mov_b32 v23, v21
	v_mov_b32_e32 v13, v21
                                        ; implicit-def: $vgpr53
	s_mov_b32 s13, exec_lo
	s_delay_alu instid0(VALU_DEP_2) | instskip(SKIP_2) | instid1(VALU_DEP_3)
	v_and_b32_e32 v22, 0x7f800000, v18
	v_and_b32_e32 v12, 0x7fffff, v18
	v_lshrrev_b32_e32 v19, 24, v18
	v_cmpx_ne_u64_e32 0x7f800000, v[22:23]
	s_xor_b32 s42, exec_lo, s13
	s_cbranch_execz .LBB6_5321
; %bb.5308:                             ;   in Loop: Header=BB6_5167 Depth=3
	v_and_b32_e32 v22, 0x7fffffff, v18
	v_mov_b32_e32 v23, v21
	v_and_b32_e32 v20, 0x80, v19
                                        ; implicit-def: $vgpr53
	s_mov_b32 s13, exec_lo
	s_delay_alu instid0(VALU_DEP_2)
	v_cmpx_gt_u64_e32 0x47600001, v[22:23]
	s_xor_b32 s43, exec_lo, s13
	s_cbranch_execz .LBB6_5318
; %bb.5309:                             ;   in Loop: Header=BB6_5167 Depth=3
	v_mov_b32_e32 v53, 0
	s_mov_b32 s72, exec_lo
	v_cmpx_ne_u32_e32 0, v18
	s_cbranch_execz .LBB6_5317
; %bb.5310:                             ;   in Loop: Header=BB6_5167 Depth=3
	v_bfe_u32 v22, v18, 23, 8
	v_or_b32_e32 v19, 0x800000, v12
	s_delay_alu instid0(VALU_DEP_2) | instskip(SKIP_2) | instid1(VALU_DEP_2)
	v_cmp_gt_u32_e64 s13, 0x72, v22
	v_sub_nc_u32_e32 v18, 0x71, v22
	v_cmp_eq_u32_e32 vcc_lo, 0, v22
	v_dual_cndmask_b32 v18, 0, v18, s13 :: v_dual_cndmask_b32 v12, v19, v12, vcc_lo
	s_delay_alu instid0(VALU_DEP_1) | instskip(NEXT) | instid1(VALU_DEP_1)
	v_cndmask_b32_e64 v23, v18, 0x70, vcc_lo
	v_dual_add_nc_u32 v18, 21, v23 :: v_dual_add_nc_u32 v53, 20, v23
	s_delay_alu instid0(VALU_DEP_1) | instskip(NEXT) | instid1(VALU_DEP_2)
	v_lshlrev_b64_e64 v[18:19], v18, -1
	v_lshlrev_b64_e64 v[54:55], v53, 1
	s_delay_alu instid0(VALU_DEP_2) | instskip(SKIP_1) | instid1(VALU_DEP_4)
	v_bfi_b32 v18, v18, 0, v12
	v_lshrrev_b64 v[12:13], v23, v[12:13]
	v_bfi_b32 v19, v19, 0, 0
	s_delay_alu instid0(VALU_DEP_1) | instskip(NEXT) | instid1(VALU_DEP_3)
	v_cmp_eq_u64_e64 s13, v[18:19], v[54:55]
	v_mov_b64_e32 v[18:19], v[12:13]
	s_and_saveexec_b32 s73, s13
; %bb.5311:                             ;   in Loop: Header=BB6_5167 Depth=3
	v_bfe_u32 v18, v12, 21, 1
	v_mov_b32_e32 v19, v21
	s_delay_alu instid0(VALU_DEP_1) | instskip(NEXT) | instid1(VALU_DEP_1)
	v_add_nc_u64_e32 v[18:19], v[12:13], v[18:19]
	v_add_nc_u64_e32 v[18:19], -1, v[18:19]
; %bb.5312:                             ;   in Loop: Header=BB6_5167 Depth=3
	s_or_b32 exec_lo, exec_lo, s73
	v_add_nc_u32_e32 v13, 0xffffff81, v22
	v_lshrrev_b32_e32 v19, 23, v12
	s_mov_b32 s13, exec_lo
	s_delay_alu instid0(VALU_DEP_2) | instskip(NEXT) | instid1(VALU_DEP_1)
	v_cndmask_b32_e64 v13, v13, 0xffffff82, vcc_lo
	v_add3_u32 v22, v23, v13, v19
	v_and_b32_e32 v13, 0x1fffff, v18
                                        ; implicit-def: $vgpr18
	s_delay_alu instid0(VALU_DEP_1) | instskip(SKIP_1) | instid1(VALU_DEP_2)
	v_dual_add_nc_u32 v19, 14, v22 :: v_dual_add_nc_u32 v12, v13, v12
	v_mov_b32_e32 v13, v21
	v_cmpx_ne_u32_e32 0, v19
	s_xor_b32 s13, exec_lo, s13
; %bb.5313:                             ;   in Loop: Header=BB6_5167 Depth=3
	s_delay_alu instid0(VALU_DEP_2) | instskip(SKIP_1) | instid1(VALU_DEP_1)
	v_cmp_lt_u64_e32 vcc_lo, 0xffffff, v[12:13]
	v_add_nc_u32_e32 v18, 15, v22
	v_cndmask_b32_e32 v18, v19, v18, vcc_lo
	v_cndmask_b32_e64 v19, 0, 1, vcc_lo
	s_delay_alu instid0(VALU_DEP_1)
	v_lshrrev_b64 v[12:13], v19, v[12:13]
; %bb.5314:                             ;   in Loop: Header=BB6_5167 Depth=3
	s_and_not1_saveexec_b32 s13, s13
; %bb.5315:                             ;   in Loop: Header=BB6_5167 Depth=3
	s_delay_alu instid0(VALU_DEP_1)
	v_bfe_u32 v18, v12, 23, 1
; %bb.5316:                             ;   in Loop: Header=BB6_5167 Depth=3
	s_or_b32 exec_lo, exec_lo, s13
	s_delay_alu instid0(VALU_DEP_2) | instskip(NEXT) | instid1(VALU_DEP_2)
	v_lshrrev_b64 v[12:13], 21, v[12:13]
	v_cmp_gt_i32_e32 vcc_lo, 32, v18
	v_min_i32_e32 v19, 31, v18
	v_cmp_eq_u32_e64 s13, 0, v18
	s_delay_alu instid0(VALU_DEP_2) | instskip(SKIP_1) | instid1(VALU_DEP_2)
	v_dual_cndmask_b32 v13, 0, v13, vcc_lo :: v_dual_lshlrev_b32 v19, 2, v19
	v_cndmask_b32_e32 v12, 3, v12, vcc_lo
	v_and_b32_e32 v19, 0xfc, v19
	s_delay_alu instid0(VALU_DEP_2) | instskip(NEXT) | instid1(VALU_DEP_2)
	v_cmp_eq_u64_e32 vcc_lo, 0, v[12:13]
	v_and_or_b32 v12, v12, 3, v19
	s_and_b32 s13, s13, vcc_lo
	s_delay_alu instid0(VALU_DEP_1) | instid1(SALU_CYCLE_1)
	v_cndmask_b32_e64 v12, v12, 0, s13
	s_delay_alu instid0(VALU_DEP_1)
	v_or_b32_e32 v53, v12, v20
.LBB6_5317:                             ;   in Loop: Header=BB6_5167 Depth=3
	s_or_b32 exec_lo, exec_lo, s72
                                        ; implicit-def: $vgpr20
.LBB6_5318:                             ;   in Loop: Header=BB6_5167 Depth=3
	s_and_not1_saveexec_b32 s13, s43
; %bb.5319:                             ;   in Loop: Header=BB6_5167 Depth=3
	v_or_b32_e32 v53, 0x7b, v20
; %bb.5320:                             ;   in Loop: Header=BB6_5167 Depth=3
	s_or_b32 exec_lo, exec_lo, s13
                                        ; implicit-def: $vgpr18
                                        ; implicit-def: $vgpr12_vgpr13
                                        ; implicit-def: $vgpr19
.LBB6_5321:                             ;   in Loop: Header=BB6_5167 Depth=3
	s_and_not1_saveexec_b32 s13, s42
	s_cbranch_execz .LBB6_5327
; %bb.5322:                             ;   in Loop: Header=BB6_5167 Depth=3
	s_mov_b32 s42, exec_lo
                                        ; implicit-def: $vgpr53
	v_cmpx_ne_u64_e32 0, v[12:13]
	s_xor_b32 s42, exec_lo, s42
; %bb.5323:                             ;   in Loop: Header=BB6_5167 Depth=3
	v_or_b32_e32 v53, 0x7f, v19
                                        ; implicit-def: $vgpr18
; %bb.5324:                             ;   in Loop: Header=BB6_5167 Depth=3
	s_and_not1_saveexec_b32 s42, s42
; %bb.5325:                             ;   in Loop: Header=BB6_5167 Depth=3
	v_cmp_lt_i32_e32 vcc_lo, -1, v18
	v_mov_b32_e32 v12, 0x7c
	s_delay_alu instid0(VALU_DEP_1)
	v_cndmask_b32_e32 v53, 0xfc, v12, vcc_lo
; %bb.5326:                             ;   in Loop: Header=BB6_5167 Depth=3
	s_or_b32 exec_lo, exec_lo, s42
.LBB6_5327:                             ;   in Loop: Header=BB6_5167 Depth=3
	s_delay_alu instid0(SALU_CYCLE_1) | instskip(SKIP_4) | instid1(VALU_DEP_3)
	s_or_b32 exec_lo, exec_lo, s13
	v_and_b32_e32 v20, 0xff, v49
	v_dual_mov_b32 v12, v49 :: v_dual_mov_b32 v13, v21
	v_dual_mov_b32 v19, 0 :: v_dual_mov_b32 v18, 0
	s_mov_b32 s42, exec_lo
	v_cmpx_ne_u16_e32 0, v20
	s_cbranch_execz .LBB6_5337
; %bb.5328:                             ;   in Loop: Header=BB6_5167 Depth=3
	v_bfrev_b32_e32 v18, 1
	s_mov_b32 s43, exec_lo
	v_cmpx_ne_u16_e32 0x80, v20
	s_cbranch_execz .LBB6_5336
; %bb.5329:                             ;   in Loop: Header=BB6_5167 Depth=3
	v_and_b32_e32 v18, 0x7c, v49
	v_and_b32_e32 v20, 3, v49
	s_delay_alu instid0(VALU_DEP_2) | instskip(SKIP_1) | instid1(SALU_CYCLE_1)
	v_cmp_ne_u32_e32 vcc_lo, 0x7c, v18
                                        ; implicit-def: $vgpr18
	s_and_saveexec_b32 s13, vcc_lo
	s_xor_b32 s13, exec_lo, s13
	s_cbranch_execz .LBB6_5333
; %bb.5330:                             ;   in Loop: Header=BB6_5167 Depth=3
	v_bfe_u32 v18, v49, 2, 5
	s_mov_b32 s72, exec_lo
	s_delay_alu instid0(VALU_DEP_1)
	v_cmpx_eq_u32_e32 0, v18
; %bb.5331:                             ;   in Loop: Header=BB6_5167 Depth=3
	v_clz_i32_u32_e32 v18, v20
	s_delay_alu instid0(VALU_DEP_1) | instskip(NEXT) | instid1(VALU_DEP_1)
	v_min_u32_e32 v18, 32, v18
	v_subrev_nc_u32_e32 v20, 29, v18
	v_sub_nc_u32_e32 v18, 30, v18
	s_delay_alu instid0(VALU_DEP_2) | instskip(NEXT) | instid1(VALU_DEP_1)
	v_lshlrev_b64_e32 v[22:23], v20, v[12:13]
	v_and_b32_e32 v20, 3, v22
; %bb.5332:                             ;   in Loop: Header=BB6_5167 Depth=3
	s_or_b32 exec_lo, exec_lo, s72
	v_lshlrev_b32_e32 v13, 24, v49
	s_delay_alu instid0(VALU_DEP_1) | instskip(NEXT) | instid1(VALU_DEP_1)
	v_and_b32_e32 v13, 0x80000000, v13
	v_lshl_add_u32 v13, v18, 23, v13
	s_delay_alu instid0(VALU_DEP_1) | instskip(NEXT) | instid1(VALU_DEP_1)
	v_lshl_or_b32 v13, v20, 21, v13
                                        ; implicit-def: $vgpr20
	v_add_nc_u32_e32 v18, 0x38000000, v13
.LBB6_5333:                             ;   in Loop: Header=BB6_5167 Depth=3
	s_and_not1_saveexec_b32 s72, s13
; %bb.5334:                             ;   in Loop: Header=BB6_5167 Depth=3
	v_bfe_i32 v13, v49, 0, 8
	v_cmp_eq_u32_e32 vcc_lo, 0, v20
	s_delay_alu instid0(VALU_DEP_2) | instskip(SKIP_1) | instid1(VALU_DEP_1)
	v_cmp_lt_i16_e64 s13, -1, v13
	v_mov_b32_e32 v13, 0x7f800000
	v_cndmask_b32_e64 v13, 0xff800000, v13, s13
	s_delay_alu instid0(VALU_DEP_1)
	v_cndmask_b32_e32 v18, 0x7f800001, v13, vcc_lo
; %bb.5335:                             ;   in Loop: Header=BB6_5167 Depth=3
	s_or_b32 exec_lo, exec_lo, s72
.LBB6_5336:                             ;   in Loop: Header=BB6_5167 Depth=3
	s_delay_alu instid0(SALU_CYCLE_1)
	s_or_b32 exec_lo, exec_lo, s43
.LBB6_5337:                             ;   in Loop: Header=BB6_5167 Depth=3
	s_delay_alu instid0(SALU_CYCLE_1) | instskip(SKIP_2) | instid1(VALU_DEP_1)
	s_or_b32 exec_lo, exec_lo, s42
	v_and_b32_e32 v13, 0xff, v37
	s_mov_b32 s42, exec_lo
	v_cmpx_ne_u16_e32 0, v13
	s_cbranch_execz .LBB6_5347
; %bb.5338:                             ;   in Loop: Header=BB6_5167 Depth=3
	v_bfrev_b32_e32 v19, 1
	s_mov_b32 s43, exec_lo
	v_cmpx_ne_u16_e32 0x80, v13
	s_cbranch_execz .LBB6_5346
; %bb.5339:                             ;   in Loop: Header=BB6_5167 Depth=3
	v_and_b32_e32 v19, 0x7c, v37
	v_and_b32_e32 v13, 3, v37
	s_delay_alu instid0(VALU_DEP_2) | instskip(SKIP_1) | instid1(SALU_CYCLE_1)
	v_cmp_ne_u32_e32 vcc_lo, 0x7c, v19
                                        ; implicit-def: $vgpr19
	s_and_saveexec_b32 s13, vcc_lo
	s_xor_b32 s13, exec_lo, s13
	s_cbranch_execz .LBB6_5343
; %bb.5340:                             ;   in Loop: Header=BB6_5167 Depth=3
	v_bfe_u32 v19, v37, 2, 5
	s_mov_b32 s72, exec_lo
	s_delay_alu instid0(VALU_DEP_1)
	v_cmpx_eq_u32_e32 0, v19
; %bb.5341:                             ;   in Loop: Header=BB6_5167 Depth=3
	v_clz_i32_u32_e32 v13, v13
	v_dual_mov_b32 v22, v37 :: v_dual_mov_b32 v23, v21
	s_delay_alu instid0(VALU_DEP_2) | instskip(NEXT) | instid1(VALU_DEP_1)
	v_min_u32_e32 v13, 32, v13
	v_subrev_nc_u32_e32 v19, 29, v13
	s_delay_alu instid0(VALU_DEP_1) | instskip(NEXT) | instid1(VALU_DEP_1)
	v_lshlrev_b64_e32 v[22:23], v19, v[22:23]
	v_dual_sub_nc_u32 v19, 30, v13 :: v_dual_bitop2_b32 v13, 3, v22 bitop3:0x40
; %bb.5342:                             ;   in Loop: Header=BB6_5167 Depth=3
	s_or_b32 exec_lo, exec_lo, s72
	v_lshlrev_b32_e32 v20, 24, v37
	s_delay_alu instid0(VALU_DEP_1) | instskip(NEXT) | instid1(VALU_DEP_1)
	v_and_b32_e32 v20, 0x80000000, v20
	v_lshl_add_u32 v19, v19, 23, v20
	s_delay_alu instid0(VALU_DEP_1) | instskip(NEXT) | instid1(VALU_DEP_1)
	v_lshl_or_b32 v13, v13, 21, v19
	v_add_nc_u32_e32 v19, 0x38000000, v13
                                        ; implicit-def: $vgpr13
.LBB6_5343:                             ;   in Loop: Header=BB6_5167 Depth=3
	s_and_not1_saveexec_b32 s72, s13
; %bb.5344:                             ;   in Loop: Header=BB6_5167 Depth=3
	v_bfe_i32 v19, v37, 0, 8
	v_cmp_eq_u32_e32 vcc_lo, 0, v13
	v_mov_b32_e32 v13, 0x7f800000
	s_delay_alu instid0(VALU_DEP_3) | instskip(NEXT) | instid1(VALU_DEP_1)
	v_cmp_lt_i16_e64 s13, -1, v19
	v_cndmask_b32_e64 v13, 0xff800000, v13, s13
	s_delay_alu instid0(VALU_DEP_1)
	v_cndmask_b32_e32 v19, 0x7f800001, v13, vcc_lo
; %bb.5345:                             ;   in Loop: Header=BB6_5167 Depth=3
	s_or_b32 exec_lo, exec_lo, s72
.LBB6_5346:                             ;   in Loop: Header=BB6_5167 Depth=3
	s_delay_alu instid0(SALU_CYCLE_1)
	s_or_b32 exec_lo, exec_lo, s43
.LBB6_5347:                             ;   in Loop: Header=BB6_5167 Depth=3
	s_delay_alu instid0(SALU_CYCLE_1) | instskip(NEXT) | instid1(VALU_DEP_1)
	s_or_b32 exec_lo, exec_lo, s42
	v_dual_mul_f32 v20, v18, v19 :: v_dual_mov_b32 v23, v21
	v_mov_b32_e32 v19, v21
                                        ; implicit-def: $vgpr54
	s_mov_b32 s13, exec_lo
	s_delay_alu instid0(VALU_DEP_2) | instskip(SKIP_2) | instid1(VALU_DEP_3)
	v_and_b32_e32 v22, 0x7f800000, v20
	v_and_b32_e32 v18, 0x7fffff, v20
	v_lshrrev_b32_e32 v13, 24, v20
	v_cmpx_ne_u64_e32 0x7f800000, v[22:23]
	s_xor_b32 s42, exec_lo, s13
	s_cbranch_execz .LBB6_5361
; %bb.5348:                             ;   in Loop: Header=BB6_5167 Depth=3
	v_and_b32_e32 v22, 0x7fffffff, v20
	v_mov_b32_e32 v23, v21
	v_and_b32_e32 v13, 0x80, v13
                                        ; implicit-def: $vgpr54
	s_mov_b32 s13, exec_lo
	s_delay_alu instid0(VALU_DEP_2)
	v_cmpx_gt_u64_e32 0x47600001, v[22:23]
	s_xor_b32 s43, exec_lo, s13
	s_cbranch_execz .LBB6_5358
; %bb.5349:                             ;   in Loop: Header=BB6_5167 Depth=3
	v_mov_b32_e32 v54, 0
	s_mov_b32 s72, exec_lo
	v_cmpx_ne_u32_e32 0, v20
	s_cbranch_execz .LBB6_5357
; %bb.5350:                             ;   in Loop: Header=BB6_5167 Depth=3
	v_bfe_u32 v20, v20, 23, 8
	v_or_b32_e32 v23, 0x800000, v18
	s_delay_alu instid0(VALU_DEP_2) | instskip(SKIP_2) | instid1(VALU_DEP_2)
	v_cmp_gt_u32_e64 s13, 0x72, v20
	v_sub_nc_u32_e32 v22, 0x71, v20
	v_cmp_eq_u32_e32 vcc_lo, 0, v20
	v_cndmask_b32_e64 v22, 0, v22, s13
	v_cndmask_b32_e32 v18, v23, v18, vcc_lo
	s_delay_alu instid0(VALU_DEP_2) | instskip(NEXT) | instid1(VALU_DEP_1)
	v_cndmask_b32_e64 v54, v22, 0x70, vcc_lo
	v_dual_add_nc_u32 v22, 21, v54 :: v_dual_add_nc_u32 v55, 20, v54
	s_delay_alu instid0(VALU_DEP_1) | instskip(NEXT) | instid1(VALU_DEP_2)
	v_lshlrev_b64_e64 v[22:23], v22, -1
	v_lshlrev_b64_e64 v[64:65], v55, 1
	s_delay_alu instid0(VALU_DEP_2) | instskip(SKIP_1) | instid1(VALU_DEP_4)
	v_bfi_b32 v22, v22, 0, v18
	v_lshrrev_b64 v[18:19], v54, v[18:19]
	v_bfi_b32 v23, v23, 0, 0
	s_delay_alu instid0(VALU_DEP_1) | instskip(NEXT) | instid1(VALU_DEP_3)
	v_cmp_eq_u64_e64 s13, v[22:23], v[64:65]
	v_mov_b64_e32 v[22:23], v[18:19]
	s_and_saveexec_b32 s73, s13
; %bb.5351:                             ;   in Loop: Header=BB6_5167 Depth=3
	v_bfe_u32 v22, v18, 21, 1
	v_mov_b32_e32 v23, v21
	s_delay_alu instid0(VALU_DEP_1) | instskip(NEXT) | instid1(VALU_DEP_1)
	v_add_nc_u64_e32 v[22:23], v[18:19], v[22:23]
	v_add_nc_u64_e32 v[22:23], -1, v[22:23]
; %bb.5352:                             ;   in Loop: Header=BB6_5167 Depth=3
	s_or_b32 exec_lo, exec_lo, s73
	v_add_nc_u32_e32 v19, 0xffffff81, v20
	v_lshrrev_b32_e32 v20, 23, v18
	s_mov_b32 s13, exec_lo
	s_delay_alu instid0(VALU_DEP_2) | instskip(NEXT) | instid1(VALU_DEP_1)
	v_cndmask_b32_e64 v19, v19, 0xffffff82, vcc_lo
	v_add3_u32 v23, v54, v19, v20
	v_and_b32_e32 v19, 0x1fffff, v22
                                        ; implicit-def: $vgpr20
	s_delay_alu instid0(VALU_DEP_1) | instskip(SKIP_1) | instid1(VALU_DEP_2)
	v_dual_add_nc_u32 v22, 14, v23 :: v_dual_add_nc_u32 v18, v19, v18
	v_mov_b32_e32 v19, v21
	v_cmpx_ne_u32_e32 0, v22
	s_xor_b32 s13, exec_lo, s13
; %bb.5353:                             ;   in Loop: Header=BB6_5167 Depth=3
	s_delay_alu instid0(VALU_DEP_2) | instskip(SKIP_1) | instid1(VALU_DEP_1)
	v_cmp_lt_u64_e32 vcc_lo, 0xffffff, v[18:19]
	v_add_nc_u32_e32 v20, 15, v23
	v_cndmask_b32_e32 v20, v22, v20, vcc_lo
	v_cndmask_b32_e64 v22, 0, 1, vcc_lo
	s_delay_alu instid0(VALU_DEP_1)
	v_lshrrev_b64 v[18:19], v22, v[18:19]
; %bb.5354:                             ;   in Loop: Header=BB6_5167 Depth=3
	s_and_not1_saveexec_b32 s13, s13
; %bb.5355:                             ;   in Loop: Header=BB6_5167 Depth=3
	s_delay_alu instid0(VALU_DEP_1)
	v_bfe_u32 v20, v18, 23, 1
; %bb.5356:                             ;   in Loop: Header=BB6_5167 Depth=3
	s_or_b32 exec_lo, exec_lo, s13
	s_delay_alu instid0(VALU_DEP_2) | instskip(NEXT) | instid1(VALU_DEP_2)
	v_lshrrev_b64 v[18:19], 21, v[18:19]
	v_cmp_gt_i32_e32 vcc_lo, 32, v20
	v_min_i32_e32 v22, 31, v20
	v_cmp_eq_u32_e64 s13, 0, v20
	s_delay_alu instid0(VALU_DEP_2) | instskip(SKIP_1) | instid1(VALU_DEP_2)
	v_dual_cndmask_b32 v19, 0, v19 :: v_dual_lshlrev_b32 v22, 2, v22
	v_cndmask_b32_e32 v18, 3, v18, vcc_lo
	v_and_b32_e32 v22, 0xfc, v22
	s_delay_alu instid0(VALU_DEP_2) | instskip(NEXT) | instid1(VALU_DEP_2)
	v_cmp_eq_u64_e32 vcc_lo, 0, v[18:19]
	v_and_or_b32 v18, v18, 3, v22
	s_and_b32 s13, s13, vcc_lo
	s_delay_alu instid0(VALU_DEP_1) | instid1(SALU_CYCLE_1)
	v_cndmask_b32_e64 v18, v18, 0, s13
	s_delay_alu instid0(VALU_DEP_1)
	v_or_b32_e32 v54, v18, v13
.LBB6_5357:                             ;   in Loop: Header=BB6_5167 Depth=3
	s_or_b32 exec_lo, exec_lo, s72
                                        ; implicit-def: $vgpr13
.LBB6_5358:                             ;   in Loop: Header=BB6_5167 Depth=3
	s_and_not1_saveexec_b32 s13, s43
; %bb.5359:                             ;   in Loop: Header=BB6_5167 Depth=3
	v_or_b32_e32 v54, 0x7b, v13
; %bb.5360:                             ;   in Loop: Header=BB6_5167 Depth=3
	s_or_b32 exec_lo, exec_lo, s13
                                        ; implicit-def: $vgpr20
                                        ; implicit-def: $vgpr18_vgpr19
                                        ; implicit-def: $vgpr13
.LBB6_5361:                             ;   in Loop: Header=BB6_5167 Depth=3
	s_and_not1_saveexec_b32 s13, s42
	s_cbranch_execz .LBB6_5367
; %bb.5362:                             ;   in Loop: Header=BB6_5167 Depth=3
	s_mov_b32 s42, exec_lo
                                        ; implicit-def: $vgpr54
	v_cmpx_ne_u64_e32 0, v[18:19]
	s_xor_b32 s42, exec_lo, s42
; %bb.5363:                             ;   in Loop: Header=BB6_5167 Depth=3
	v_or_b32_e32 v54, 0x7f, v13
                                        ; implicit-def: $vgpr20
; %bb.5364:                             ;   in Loop: Header=BB6_5167 Depth=3
	s_and_not1_saveexec_b32 s42, s42
; %bb.5365:                             ;   in Loop: Header=BB6_5167 Depth=3
	v_cmp_lt_i32_e32 vcc_lo, -1, v20
	v_mov_b32_e32 v13, 0x7c
	s_delay_alu instid0(VALU_DEP_1)
	v_cndmask_b32_e32 v54, 0xfc, v13, vcc_lo
; %bb.5366:                             ;   in Loop: Header=BB6_5167 Depth=3
	s_or_b32 exec_lo, exec_lo, s42
.LBB6_5367:                             ;   in Loop: Header=BB6_5167 Depth=3
	s_delay_alu instid0(SALU_CYCLE_1) | instskip(SKIP_3) | instid1(VALU_DEP_2)
	s_or_b32 exec_lo, exec_lo, s13
	v_lshrrev_b16 v18, 8, v12
	v_dual_mov_b32 v20, 0 :: v_dual_mov_b32 v19, 0
	s_mov_b32 s42, exec_lo
	v_cmpx_ne_u16_e32 0, v18
	s_cbranch_execz .LBB6_5377
; %bb.5368:                             ;   in Loop: Header=BB6_5167 Depth=3
	v_bfrev_b32_e32 v19, 1
	s_mov_b32 s43, exec_lo
	v_cmpx_ne_u16_e32 0x80, v18
	s_cbranch_execz .LBB6_5376
; %bb.5369:                             ;   in Loop: Header=BB6_5167 Depth=3
	v_and_b32_e32 v13, 0xffff, v18
	s_delay_alu instid0(VALU_DEP_1) | instskip(SKIP_1) | instid1(VALU_DEP_2)
	v_and_b32_e32 v19, 0x7c, v13
	v_and_b32_e32 v22, 3, v13
	v_cmp_ne_u32_e32 vcc_lo, 0x7c, v19
                                        ; implicit-def: $vgpr19
	s_and_saveexec_b32 s13, vcc_lo
	s_delay_alu instid0(SALU_CYCLE_1)
	s_xor_b32 s13, exec_lo, s13
	s_cbranch_execz .LBB6_5373
; %bb.5370:                             ;   in Loop: Header=BB6_5167 Depth=3
	v_bfe_u32 v13, v13, 2, 5
	s_mov_b32 s72, exec_lo
	s_delay_alu instid0(VALU_DEP_1)
	v_cmpx_eq_u32_e32 0, v13
	s_cbranch_execz .LBB6_5372
; %bb.5371:                             ;   in Loop: Header=BB6_5167 Depth=3
	v_clz_i32_u32_e32 v13, v22
	s_delay_alu instid0(VALU_DEP_1) | instskip(SKIP_1) | instid1(VALU_DEP_2)
	v_min_u32_e32 v13, 32, v13
	v_mov_b32_e32 v19, v21
	v_subrev_nc_u32_e32 v22, 29, v13
	v_sub_nc_u32_e32 v13, 30, v13
	s_delay_alu instid0(VALU_DEP_2) | instskip(NEXT) | instid1(VALU_DEP_1)
	v_lshlrev_b64_e32 v[18:19], v22, v[18:19]
	v_and_b32_e32 v22, 3, v18
.LBB6_5372:                             ;   in Loop: Header=BB6_5167 Depth=3
	s_or_b32 exec_lo, exec_lo, s72
	v_lshlrev_b32_e32 v12, 16, v12
	s_delay_alu instid0(VALU_DEP_1) | instskip(NEXT) | instid1(VALU_DEP_1)
	v_and_b32_e32 v12, 0x80000000, v12
	v_lshl_add_u32 v12, v13, 23, v12
	s_delay_alu instid0(VALU_DEP_1) | instskip(NEXT) | instid1(VALU_DEP_1)
	v_lshl_or_b32 v12, v22, 21, v12
                                        ; implicit-def: $vgpr22
	v_add_nc_u32_e32 v19, 0x38000000, v12
                                        ; implicit-def: $vgpr12_vgpr13
.LBB6_5373:                             ;   in Loop: Header=BB6_5167 Depth=3
	s_and_not1_saveexec_b32 s72, s13
; %bb.5374:                             ;   in Loop: Header=BB6_5167 Depth=3
	v_cmp_lt_i16_e64 s13, -1, v12
	v_mov_b32_e32 v12, 0x7f800000
	v_cmp_eq_u32_e32 vcc_lo, 0, v22
	s_delay_alu instid0(VALU_DEP_2) | instskip(NEXT) | instid1(VALU_DEP_1)
	v_cndmask_b32_e64 v12, 0xff800000, v12, s13
	v_cndmask_b32_e32 v19, 0x7f800001, v12, vcc_lo
; %bb.5375:                             ;   in Loop: Header=BB6_5167 Depth=3
	s_or_b32 exec_lo, exec_lo, s72
.LBB6_5376:                             ;   in Loop: Header=BB6_5167 Depth=3
	s_delay_alu instid0(SALU_CYCLE_1)
	s_or_b32 exec_lo, exec_lo, s43
.LBB6_5377:                             ;   in Loop: Header=BB6_5167 Depth=3
	s_delay_alu instid0(SALU_CYCLE_1) | instskip(SKIP_2) | instid1(VALU_DEP_1)
	s_or_b32 exec_lo, exec_lo, s42
	v_lshrrev_b16 v12, 8, v37
	s_mov_b32 s42, exec_lo
	v_cmpx_ne_u16_e32 0, v12
	s_cbranch_execz .LBB6_5387
; %bb.5378:                             ;   in Loop: Header=BB6_5167 Depth=3
	v_bfrev_b32_e32 v20, 1
	s_mov_b32 s43, exec_lo
	v_cmpx_ne_u16_e32 0x80, v12
	s_cbranch_execz .LBB6_5386
; %bb.5379:                             ;   in Loop: Header=BB6_5167 Depth=3
	v_and_b32_e32 v18, 0xffff, v12
	s_delay_alu instid0(VALU_DEP_1) | instskip(SKIP_1) | instid1(VALU_DEP_2)
	v_and_b32_e32 v20, 0x7c, v18
	v_and_b32_e32 v13, 3, v18
	v_cmp_ne_u32_e32 vcc_lo, 0x7c, v20
                                        ; implicit-def: $vgpr20
	s_and_saveexec_b32 s13, vcc_lo
	s_delay_alu instid0(SALU_CYCLE_1)
	s_xor_b32 s13, exec_lo, s13
	s_cbranch_execz .LBB6_5383
; %bb.5380:                             ;   in Loop: Header=BB6_5167 Depth=3
	v_bfe_u32 v18, v18, 2, 5
	s_mov_b32 s72, exec_lo
	s_delay_alu instid0(VALU_DEP_1)
	v_cmpx_eq_u32_e32 0, v18
	s_cbranch_execz .LBB6_5382
; %bb.5381:                             ;   in Loop: Header=BB6_5167 Depth=3
	v_clz_i32_u32_e32 v13, v13
	s_delay_alu instid0(VALU_DEP_1) | instskip(SKIP_1) | instid1(VALU_DEP_2)
	v_min_u32_e32 v18, 32, v13
	v_mov_b32_e32 v13, v21
	v_subrev_nc_u32_e32 v20, 29, v18
	v_sub_nc_u32_e32 v18, 30, v18
	s_delay_alu instid0(VALU_DEP_2) | instskip(NEXT) | instid1(VALU_DEP_1)
	v_lshlrev_b64_e32 v[12:13], v20, v[12:13]
	v_and_b32_e32 v13, 3, v12
.LBB6_5382:                             ;   in Loop: Header=BB6_5167 Depth=3
	s_or_b32 exec_lo, exec_lo, s72
	v_lshlrev_b32_e32 v12, 16, v37
	s_delay_alu instid0(VALU_DEP_1) | instskip(NEXT) | instid1(VALU_DEP_1)
	v_and_b32_e32 v12, 0x80000000, v12
	v_lshl_add_u32 v12, v18, 23, v12
	s_delay_alu instid0(VALU_DEP_1) | instskip(NEXT) | instid1(VALU_DEP_1)
	v_lshl_or_b32 v12, v13, 21, v12
                                        ; implicit-def: $vgpr13
	v_add_nc_u32_e32 v20, 0x38000000, v12
.LBB6_5383:                             ;   in Loop: Header=BB6_5167 Depth=3
	s_and_not1_saveexec_b32 s72, s13
; %bb.5384:                             ;   in Loop: Header=BB6_5167 Depth=3
	v_cmp_lt_i16_e64 s13, -1, v37
	v_mov_b32_e32 v12, 0x7f800000
	v_cmp_eq_u32_e32 vcc_lo, 0, v13
	s_delay_alu instid0(VALU_DEP_2) | instskip(NEXT) | instid1(VALU_DEP_1)
	v_cndmask_b32_e64 v12, 0xff800000, v12, s13
	v_cndmask_b32_e32 v20, 0x7f800001, v12, vcc_lo
; %bb.5385:                             ;   in Loop: Header=BB6_5167 Depth=3
	s_or_b32 exec_lo, exec_lo, s72
.LBB6_5386:                             ;   in Loop: Header=BB6_5167 Depth=3
	s_delay_alu instid0(SALU_CYCLE_1)
	s_or_b32 exec_lo, exec_lo, s43
.LBB6_5387:                             ;   in Loop: Header=BB6_5167 Depth=3
	s_delay_alu instid0(SALU_CYCLE_1) | instskip(NEXT) | instid1(VALU_DEP_1)
	s_or_b32 exec_lo, exec_lo, s42
	v_dual_mul_f32 v18, v19, v20 :: v_dual_mov_b32 v23, v21
	v_mov_b32_e32 v13, v21
                                        ; implicit-def: $vgpr55
	s_mov_b32 s13, exec_lo
	s_delay_alu instid0(VALU_DEP_2) | instskip(SKIP_2) | instid1(VALU_DEP_3)
	v_and_b32_e32 v22, 0x7f800000, v18
	v_and_b32_e32 v12, 0x7fffff, v18
	v_lshrrev_b32_e32 v19, 24, v18
	v_cmpx_ne_u64_e32 0x7f800000, v[22:23]
	s_xor_b32 s42, exec_lo, s13
	s_cbranch_execz .LBB6_5401
; %bb.5388:                             ;   in Loop: Header=BB6_5167 Depth=3
	v_and_b32_e32 v22, 0x7fffffff, v18
	v_mov_b32_e32 v23, v21
	v_and_b32_e32 v20, 0x80, v19
                                        ; implicit-def: $vgpr55
	s_mov_b32 s13, exec_lo
	s_delay_alu instid0(VALU_DEP_2)
	v_cmpx_gt_u64_e32 0x47600001, v[22:23]
	s_xor_b32 s43, exec_lo, s13
	s_cbranch_execz .LBB6_5398
; %bb.5389:                             ;   in Loop: Header=BB6_5167 Depth=3
	v_mov_b32_e32 v55, 0
	s_mov_b32 s72, exec_lo
	v_cmpx_ne_u32_e32 0, v18
	s_cbranch_execz .LBB6_5397
; %bb.5390:                             ;   in Loop: Header=BB6_5167 Depth=3
	v_bfe_u32 v22, v18, 23, 8
	v_or_b32_e32 v19, 0x800000, v12
	s_delay_alu instid0(VALU_DEP_2) | instskip(SKIP_2) | instid1(VALU_DEP_2)
	v_cmp_gt_u32_e64 s13, 0x72, v22
	v_sub_nc_u32_e32 v18, 0x71, v22
	v_cmp_eq_u32_e32 vcc_lo, 0, v22
	v_dual_cndmask_b32 v18, 0, v18, s13 :: v_dual_cndmask_b32 v12, v19, v12, vcc_lo
	s_delay_alu instid0(VALU_DEP_1) | instskip(NEXT) | instid1(VALU_DEP_1)
	v_cndmask_b32_e64 v23, v18, 0x70, vcc_lo
	v_dual_add_nc_u32 v18, 21, v23 :: v_dual_add_nc_u32 v55, 20, v23
	s_delay_alu instid0(VALU_DEP_1) | instskip(NEXT) | instid1(VALU_DEP_2)
	v_lshlrev_b64_e64 v[18:19], v18, -1
	v_lshlrev_b64_e64 v[64:65], v55, 1
	s_delay_alu instid0(VALU_DEP_2) | instskip(SKIP_1) | instid1(VALU_DEP_4)
	v_bfi_b32 v18, v18, 0, v12
	v_lshrrev_b64 v[12:13], v23, v[12:13]
	v_bfi_b32 v19, v19, 0, 0
	s_delay_alu instid0(VALU_DEP_1) | instskip(NEXT) | instid1(VALU_DEP_3)
	v_cmp_eq_u64_e64 s13, v[18:19], v[64:65]
	v_mov_b64_e32 v[18:19], v[12:13]
	s_and_saveexec_b32 s73, s13
; %bb.5391:                             ;   in Loop: Header=BB6_5167 Depth=3
	v_bfe_u32 v18, v12, 21, 1
	v_mov_b32_e32 v19, v21
	s_delay_alu instid0(VALU_DEP_1) | instskip(NEXT) | instid1(VALU_DEP_1)
	v_add_nc_u64_e32 v[18:19], v[12:13], v[18:19]
	v_add_nc_u64_e32 v[18:19], -1, v[18:19]
; %bb.5392:                             ;   in Loop: Header=BB6_5167 Depth=3
	s_or_b32 exec_lo, exec_lo, s73
	v_add_nc_u32_e32 v13, 0xffffff81, v22
	v_lshrrev_b32_e32 v19, 23, v12
	s_mov_b32 s13, exec_lo
	s_delay_alu instid0(VALU_DEP_2) | instskip(NEXT) | instid1(VALU_DEP_1)
	v_cndmask_b32_e64 v13, v13, 0xffffff82, vcc_lo
	v_add3_u32 v22, v23, v13, v19
	v_and_b32_e32 v13, 0x1fffff, v18
                                        ; implicit-def: $vgpr18
	s_delay_alu instid0(VALU_DEP_1) | instskip(SKIP_1) | instid1(VALU_DEP_2)
	v_dual_add_nc_u32 v19, 14, v22 :: v_dual_add_nc_u32 v12, v13, v12
	v_mov_b32_e32 v13, v21
	v_cmpx_ne_u32_e32 0, v19
	s_xor_b32 s13, exec_lo, s13
; %bb.5393:                             ;   in Loop: Header=BB6_5167 Depth=3
	s_delay_alu instid0(VALU_DEP_2) | instskip(SKIP_1) | instid1(VALU_DEP_1)
	v_cmp_lt_u64_e32 vcc_lo, 0xffffff, v[12:13]
	v_add_nc_u32_e32 v18, 15, v22
	v_cndmask_b32_e32 v18, v19, v18, vcc_lo
	v_cndmask_b32_e64 v19, 0, 1, vcc_lo
	s_delay_alu instid0(VALU_DEP_1)
	v_lshrrev_b64 v[12:13], v19, v[12:13]
; %bb.5394:                             ;   in Loop: Header=BB6_5167 Depth=3
	s_and_not1_saveexec_b32 s13, s13
; %bb.5395:                             ;   in Loop: Header=BB6_5167 Depth=3
	s_delay_alu instid0(VALU_DEP_1)
	v_bfe_u32 v18, v12, 23, 1
; %bb.5396:                             ;   in Loop: Header=BB6_5167 Depth=3
	s_or_b32 exec_lo, exec_lo, s13
	s_delay_alu instid0(VALU_DEP_2) | instskip(NEXT) | instid1(VALU_DEP_2)
	v_lshrrev_b64 v[12:13], 21, v[12:13]
	v_cmp_gt_i32_e32 vcc_lo, 32, v18
	v_min_i32_e32 v19, 31, v18
	v_cmp_eq_u32_e64 s13, 0, v18
	s_delay_alu instid0(VALU_DEP_2) | instskip(SKIP_1) | instid1(VALU_DEP_2)
	v_dual_cndmask_b32 v13, 0, v13, vcc_lo :: v_dual_lshlrev_b32 v19, 2, v19
	v_cndmask_b32_e32 v12, 3, v12, vcc_lo
	v_and_b32_e32 v19, 0xfc, v19
	s_delay_alu instid0(VALU_DEP_2) | instskip(NEXT) | instid1(VALU_DEP_2)
	v_cmp_eq_u64_e32 vcc_lo, 0, v[12:13]
	v_and_or_b32 v12, v12, 3, v19
	s_and_b32 s13, s13, vcc_lo
	s_delay_alu instid0(VALU_DEP_1) | instid1(SALU_CYCLE_1)
	v_cndmask_b32_e64 v12, v12, 0, s13
	s_delay_alu instid0(VALU_DEP_1)
	v_or_b32_e32 v55, v12, v20
.LBB6_5397:                             ;   in Loop: Header=BB6_5167 Depth=3
	s_or_b32 exec_lo, exec_lo, s72
                                        ; implicit-def: $vgpr20
.LBB6_5398:                             ;   in Loop: Header=BB6_5167 Depth=3
	s_and_not1_saveexec_b32 s13, s43
; %bb.5399:                             ;   in Loop: Header=BB6_5167 Depth=3
	v_or_b32_e32 v55, 0x7b, v20
; %bb.5400:                             ;   in Loop: Header=BB6_5167 Depth=3
	s_or_b32 exec_lo, exec_lo, s13
                                        ; implicit-def: $vgpr18
                                        ; implicit-def: $vgpr12_vgpr13
                                        ; implicit-def: $vgpr19
.LBB6_5401:                             ;   in Loop: Header=BB6_5167 Depth=3
	s_and_not1_saveexec_b32 s13, s42
	s_cbranch_execz .LBB6_5407
; %bb.5402:                             ;   in Loop: Header=BB6_5167 Depth=3
	s_mov_b32 s42, exec_lo
                                        ; implicit-def: $vgpr55
	v_cmpx_ne_u64_e32 0, v[12:13]
	s_xor_b32 s42, exec_lo, s42
; %bb.5403:                             ;   in Loop: Header=BB6_5167 Depth=3
	v_or_b32_e32 v55, 0x7f, v19
                                        ; implicit-def: $vgpr18
; %bb.5404:                             ;   in Loop: Header=BB6_5167 Depth=3
	s_and_not1_saveexec_b32 s42, s42
; %bb.5405:                             ;   in Loop: Header=BB6_5167 Depth=3
	v_cmp_lt_i32_e32 vcc_lo, -1, v18
	v_mov_b32_e32 v12, 0x7c
	s_delay_alu instid0(VALU_DEP_1)
	v_cndmask_b32_e32 v55, 0xfc, v12, vcc_lo
; %bb.5406:                             ;   in Loop: Header=BB6_5167 Depth=3
	s_or_b32 exec_lo, exec_lo, s42
.LBB6_5407:                             ;   in Loop: Header=BB6_5167 Depth=3
	s_delay_alu instid0(SALU_CYCLE_1) | instskip(SKIP_3) | instid1(VALU_DEP_2)
	s_or_b32 exec_lo, exec_lo, s13
	v_dual_mov_b32 v13, 0 :: v_dual_lshrrev_b32 v12, 16, v49
	v_mov_b32_e32 v18, 0
	s_mov_b32 s42, exec_lo
	v_and_b32_e32 v19, 0xff, v12
	s_delay_alu instid0(VALU_DEP_1)
	v_cmpx_ne_u16_e32 0, v19
	s_cbranch_execz .LBB6_5417
; %bb.5408:                             ;   in Loop: Header=BB6_5167 Depth=3
	v_bfrev_b32_e32 v18, 1
	s_mov_b32 s43, exec_lo
	v_cmpx_ne_u16_e32 0x80, v19
	s_cbranch_execz .LBB6_5416
; %bb.5409:                             ;   in Loop: Header=BB6_5167 Depth=3
	v_and_b32_e32 v18, 0x7c0000, v49
	v_bfe_u32 v19, v49, 16, 2
	s_delay_alu instid0(VALU_DEP_2) | instskip(SKIP_1) | instid1(SALU_CYCLE_1)
	v_cmp_ne_u32_e32 vcc_lo, 0x7c0000, v18
                                        ; implicit-def: $vgpr18
	s_and_saveexec_b32 s13, vcc_lo
	s_xor_b32 s13, exec_lo, s13
	s_cbranch_execz .LBB6_5413
; %bb.5410:                             ;   in Loop: Header=BB6_5167 Depth=3
	v_bfe_u32 v18, v49, 18, 5
	s_mov_b32 s72, exec_lo
	s_delay_alu instid0(VALU_DEP_1)
	v_cmpx_eq_u32_e32 0, v18
; %bb.5411:                             ;   in Loop: Header=BB6_5167 Depth=3
	v_clz_i32_u32_e32 v18, v19
	s_delay_alu instid0(VALU_DEP_1) | instskip(NEXT) | instid1(VALU_DEP_1)
	v_min_u32_e32 v18, 32, v18
	v_subrev_nc_u32_e32 v19, 29, v18
	v_sub_nc_u32_e32 v18, 30, v18
	s_delay_alu instid0(VALU_DEP_2) | instskip(NEXT) | instid1(VALU_DEP_1)
	v_lshlrev_b64_e32 v[22:23], v19, v[12:13]
	v_and_b32_e32 v19, 3, v22
; %bb.5412:                             ;   in Loop: Header=BB6_5167 Depth=3
	s_or_b32 exec_lo, exec_lo, s72
	v_lshlrev_b32_e32 v12, 24, v12
	s_delay_alu instid0(VALU_DEP_1) | instskip(NEXT) | instid1(VALU_DEP_1)
	v_and_b32_e32 v12, 0x80000000, v12
	v_lshl_add_u32 v12, v18, 23, v12
	s_delay_alu instid0(VALU_DEP_1) | instskip(NEXT) | instid1(VALU_DEP_1)
	v_lshl_or_b32 v12, v19, 21, v12
                                        ; implicit-def: $vgpr19
	v_add_nc_u32_e32 v18, 0x38000000, v12
                                        ; implicit-def: $vgpr12
.LBB6_5413:                             ;   in Loop: Header=BB6_5167 Depth=3
	s_and_not1_saveexec_b32 s72, s13
; %bb.5414:                             ;   in Loop: Header=BB6_5167 Depth=3
	v_bfe_i32 v12, v12, 0, 8
	v_cmp_eq_u32_e32 vcc_lo, 0, v19
	s_delay_alu instid0(VALU_DEP_2) | instskip(SKIP_1) | instid1(VALU_DEP_1)
	v_cmp_lt_i16_e64 s13, -1, v12
	v_mov_b32_e32 v12, 0x7f800000
	v_cndmask_b32_e64 v12, 0xff800000, v12, s13
	s_delay_alu instid0(VALU_DEP_1)
	v_cndmask_b32_e32 v18, 0x7f800001, v12, vcc_lo
; %bb.5415:                             ;   in Loop: Header=BB6_5167 Depth=3
	s_or_b32 exec_lo, exec_lo, s72
.LBB6_5416:                             ;   in Loop: Header=BB6_5167 Depth=3
	s_delay_alu instid0(SALU_CYCLE_1)
	s_or_b32 exec_lo, exec_lo, s43
.LBB6_5417:                             ;   in Loop: Header=BB6_5167 Depth=3
	s_delay_alu instid0(SALU_CYCLE_1) | instskip(SKIP_2) | instid1(VALU_DEP_1)
	s_or_b32 exec_lo, exec_lo, s42
	v_lshrrev_b32_e32 v12, 16, v37
	s_mov_b32 s42, exec_lo
	v_and_b32_e32 v19, 0xff, v12
	s_delay_alu instid0(VALU_DEP_1)
	v_cmpx_ne_u16_e32 0, v19
	s_cbranch_execz .LBB6_5427
; %bb.5418:                             ;   in Loop: Header=BB6_5167 Depth=3
	v_bfrev_b32_e32 v13, 1
	s_mov_b32 s43, exec_lo
	v_cmpx_ne_u16_e32 0x80, v19
	s_cbranch_execz .LBB6_5426
; %bb.5419:                             ;   in Loop: Header=BB6_5167 Depth=3
	v_and_b32_e32 v13, 0x7c0000, v37
	v_bfe_u32 v19, v37, 16, 2
	s_delay_alu instid0(VALU_DEP_2) | instskip(SKIP_1) | instid1(SALU_CYCLE_1)
	v_cmp_ne_u32_e32 vcc_lo, 0x7c0000, v13
                                        ; implicit-def: $vgpr13
	s_and_saveexec_b32 s13, vcc_lo
	s_xor_b32 s13, exec_lo, s13
	s_cbranch_execz .LBB6_5423
; %bb.5420:                             ;   in Loop: Header=BB6_5167 Depth=3
	v_bfe_u32 v13, v37, 18, 5
	s_mov_b32 s72, exec_lo
	s_delay_alu instid0(VALU_DEP_1)
	v_cmpx_eq_u32_e32 0, v13
; %bb.5421:                             ;   in Loop: Header=BB6_5167 Depth=3
	v_clz_i32_u32_e32 v13, v19
	s_delay_alu instid0(VALU_DEP_1) | instskip(NEXT) | instid1(VALU_DEP_1)
	v_min_u32_e32 v13, 32, v13
	v_subrev_nc_u32_e32 v19, 29, v13
	s_delay_alu instid0(VALU_DEP_1) | instskip(NEXT) | instid1(VALU_DEP_1)
	v_lshlrev_b64_e32 v[22:23], v19, v[12:13]
	v_dual_sub_nc_u32 v13, 30, v13 :: v_dual_bitop2_b32 v19, 3, v22 bitop3:0x40
; %bb.5422:                             ;   in Loop: Header=BB6_5167 Depth=3
	s_or_b32 exec_lo, exec_lo, s72
	v_lshlrev_b32_e32 v12, 24, v12
	s_delay_alu instid0(VALU_DEP_1) | instskip(NEXT) | instid1(VALU_DEP_1)
	v_and_b32_e32 v12, 0x80000000, v12
	v_lshl_add_u32 v12, v13, 23, v12
	s_delay_alu instid0(VALU_DEP_1) | instskip(NEXT) | instid1(VALU_DEP_1)
	v_lshl_or_b32 v12, v19, 21, v12
                                        ; implicit-def: $vgpr19
	v_add_nc_u32_e32 v13, 0x38000000, v12
                                        ; implicit-def: $vgpr12
.LBB6_5423:                             ;   in Loop: Header=BB6_5167 Depth=3
	s_and_not1_saveexec_b32 s72, s13
; %bb.5424:                             ;   in Loop: Header=BB6_5167 Depth=3
	v_bfe_i32 v12, v12, 0, 8
	v_cmp_eq_u32_e32 vcc_lo, 0, v19
	s_delay_alu instid0(VALU_DEP_2) | instskip(SKIP_1) | instid1(VALU_DEP_1)
	v_cmp_lt_i16_e64 s13, -1, v12
	v_mov_b32_e32 v12, 0x7f800000
	v_cndmask_b32_e64 v12, 0xff800000, v12, s13
	s_delay_alu instid0(VALU_DEP_1)
	v_cndmask_b32_e32 v13, 0x7f800001, v12, vcc_lo
; %bb.5425:                             ;   in Loop: Header=BB6_5167 Depth=3
	s_or_b32 exec_lo, exec_lo, s72
.LBB6_5426:                             ;   in Loop: Header=BB6_5167 Depth=3
	s_delay_alu instid0(SALU_CYCLE_1)
	s_or_b32 exec_lo, exec_lo, s43
.LBB6_5427:                             ;   in Loop: Header=BB6_5167 Depth=3
	s_delay_alu instid0(SALU_CYCLE_1) | instskip(NEXT) | instid1(VALU_DEP_1)
	s_or_b32 exec_lo, exec_lo, s42
	v_dual_mul_f32 v18, v18, v13 :: v_dual_mov_b32 v23, v21
	v_mov_b32_e32 v13, v21
                                        ; implicit-def: $vgpr64
	s_mov_b32 s13, exec_lo
	s_delay_alu instid0(VALU_DEP_2) | instskip(SKIP_2) | instid1(VALU_DEP_3)
	v_and_b32_e32 v22, 0x7f800000, v18
	v_and_b32_e32 v12, 0x7fffff, v18
	v_lshrrev_b32_e32 v19, 24, v18
	v_cmpx_ne_u64_e32 0x7f800000, v[22:23]
	s_xor_b32 s42, exec_lo, s13
	s_cbranch_execz .LBB6_5441
; %bb.5428:                             ;   in Loop: Header=BB6_5167 Depth=3
	v_and_b32_e32 v22, 0x7fffffff, v18
	v_mov_b32_e32 v23, v21
	v_and_b32_e32 v20, 0x80, v19
                                        ; implicit-def: $vgpr64
	s_mov_b32 s13, exec_lo
	s_delay_alu instid0(VALU_DEP_2)
	v_cmpx_gt_u64_e32 0x47600001, v[22:23]
	s_xor_b32 s43, exec_lo, s13
	s_cbranch_execz .LBB6_5438
; %bb.5429:                             ;   in Loop: Header=BB6_5167 Depth=3
	v_mov_b32_e32 v64, 0
	s_mov_b32 s72, exec_lo
	v_cmpx_ne_u32_e32 0, v18
	s_cbranch_execz .LBB6_5437
; %bb.5430:                             ;   in Loop: Header=BB6_5167 Depth=3
	v_bfe_u32 v22, v18, 23, 8
	v_or_b32_e32 v19, 0x800000, v12
	s_delay_alu instid0(VALU_DEP_2) | instskip(SKIP_2) | instid1(VALU_DEP_2)
	v_cmp_gt_u32_e64 s13, 0x72, v22
	v_sub_nc_u32_e32 v18, 0x71, v22
	v_cmp_eq_u32_e32 vcc_lo, 0, v22
	v_dual_cndmask_b32 v18, 0, v18, s13 :: v_dual_cndmask_b32 v12, v19, v12, vcc_lo
	s_delay_alu instid0(VALU_DEP_1) | instskip(NEXT) | instid1(VALU_DEP_1)
	v_cndmask_b32_e64 v23, v18, 0x70, vcc_lo
	v_dual_add_nc_u32 v18, 21, v23 :: v_dual_add_nc_u32 v64, 20, v23
	s_delay_alu instid0(VALU_DEP_1) | instskip(NEXT) | instid1(VALU_DEP_2)
	v_lshlrev_b64_e64 v[18:19], v18, -1
	v_lshlrev_b64_e64 v[64:65], v64, 1
	s_delay_alu instid0(VALU_DEP_2) | instskip(SKIP_1) | instid1(VALU_DEP_4)
	v_bfi_b32 v18, v18, 0, v12
	v_lshrrev_b64 v[12:13], v23, v[12:13]
	v_bfi_b32 v19, v19, 0, 0
	s_delay_alu instid0(VALU_DEP_1) | instskip(NEXT) | instid1(VALU_DEP_3)
	v_cmp_eq_u64_e64 s13, v[18:19], v[64:65]
	v_mov_b64_e32 v[18:19], v[12:13]
	s_and_saveexec_b32 s73, s13
; %bb.5431:                             ;   in Loop: Header=BB6_5167 Depth=3
	v_bfe_u32 v18, v12, 21, 1
	v_mov_b32_e32 v19, v21
	s_delay_alu instid0(VALU_DEP_1) | instskip(NEXT) | instid1(VALU_DEP_1)
	v_add_nc_u64_e32 v[18:19], v[12:13], v[18:19]
	v_add_nc_u64_e32 v[18:19], -1, v[18:19]
; %bb.5432:                             ;   in Loop: Header=BB6_5167 Depth=3
	s_or_b32 exec_lo, exec_lo, s73
	v_add_nc_u32_e32 v13, 0xffffff81, v22
	v_lshrrev_b32_e32 v19, 23, v12
	s_mov_b32 s13, exec_lo
	s_delay_alu instid0(VALU_DEP_2) | instskip(NEXT) | instid1(VALU_DEP_1)
	v_cndmask_b32_e64 v13, v13, 0xffffff82, vcc_lo
	v_add3_u32 v22, v23, v13, v19
	v_and_b32_e32 v13, 0x1fffff, v18
                                        ; implicit-def: $vgpr18
	s_delay_alu instid0(VALU_DEP_1) | instskip(SKIP_1) | instid1(VALU_DEP_2)
	v_dual_add_nc_u32 v19, 14, v22 :: v_dual_add_nc_u32 v12, v13, v12
	v_mov_b32_e32 v13, v21
	v_cmpx_ne_u32_e32 0, v19
	s_xor_b32 s13, exec_lo, s13
; %bb.5433:                             ;   in Loop: Header=BB6_5167 Depth=3
	s_delay_alu instid0(VALU_DEP_2) | instskip(SKIP_1) | instid1(VALU_DEP_1)
	v_cmp_lt_u64_e32 vcc_lo, 0xffffff, v[12:13]
	v_add_nc_u32_e32 v18, 15, v22
	v_cndmask_b32_e32 v18, v19, v18, vcc_lo
	v_cndmask_b32_e64 v19, 0, 1, vcc_lo
	s_delay_alu instid0(VALU_DEP_1)
	v_lshrrev_b64 v[12:13], v19, v[12:13]
; %bb.5434:                             ;   in Loop: Header=BB6_5167 Depth=3
	s_and_not1_saveexec_b32 s13, s13
; %bb.5435:                             ;   in Loop: Header=BB6_5167 Depth=3
	s_delay_alu instid0(VALU_DEP_1)
	v_bfe_u32 v18, v12, 23, 1
; %bb.5436:                             ;   in Loop: Header=BB6_5167 Depth=3
	s_or_b32 exec_lo, exec_lo, s13
	s_delay_alu instid0(VALU_DEP_2) | instskip(NEXT) | instid1(VALU_DEP_2)
	v_lshrrev_b64 v[12:13], 21, v[12:13]
	v_cmp_gt_i32_e32 vcc_lo, 32, v18
	v_min_i32_e32 v19, 31, v18
	v_cmp_eq_u32_e64 s13, 0, v18
	s_delay_alu instid0(VALU_DEP_2) | instskip(SKIP_1) | instid1(VALU_DEP_2)
	v_dual_cndmask_b32 v13, 0, v13, vcc_lo :: v_dual_lshlrev_b32 v19, 2, v19
	v_cndmask_b32_e32 v12, 3, v12, vcc_lo
	v_and_b32_e32 v19, 0xfc, v19
	s_delay_alu instid0(VALU_DEP_2) | instskip(NEXT) | instid1(VALU_DEP_2)
	v_cmp_eq_u64_e32 vcc_lo, 0, v[12:13]
	v_and_or_b32 v12, v12, 3, v19
	s_and_b32 s13, s13, vcc_lo
	s_delay_alu instid0(VALU_DEP_1) | instid1(SALU_CYCLE_1)
	v_cndmask_b32_e64 v12, v12, 0, s13
	s_delay_alu instid0(VALU_DEP_1)
	v_or_b32_e32 v64, v12, v20
.LBB6_5437:                             ;   in Loop: Header=BB6_5167 Depth=3
	s_or_b32 exec_lo, exec_lo, s72
                                        ; implicit-def: $vgpr20
.LBB6_5438:                             ;   in Loop: Header=BB6_5167 Depth=3
	s_and_not1_saveexec_b32 s13, s43
; %bb.5439:                             ;   in Loop: Header=BB6_5167 Depth=3
	v_or_b32_e32 v64, 0x7b, v20
; %bb.5440:                             ;   in Loop: Header=BB6_5167 Depth=3
	s_or_b32 exec_lo, exec_lo, s13
                                        ; implicit-def: $vgpr18
                                        ; implicit-def: $vgpr12_vgpr13
                                        ; implicit-def: $vgpr19
.LBB6_5441:                             ;   in Loop: Header=BB6_5167 Depth=3
	s_and_not1_saveexec_b32 s13, s42
	s_cbranch_execz .LBB6_5447
; %bb.5442:                             ;   in Loop: Header=BB6_5167 Depth=3
	s_mov_b32 s42, exec_lo
                                        ; implicit-def: $vgpr64
	v_cmpx_ne_u64_e32 0, v[12:13]
	s_xor_b32 s42, exec_lo, s42
; %bb.5443:                             ;   in Loop: Header=BB6_5167 Depth=3
	v_or_b32_e32 v64, 0x7f, v19
                                        ; implicit-def: $vgpr18
; %bb.5444:                             ;   in Loop: Header=BB6_5167 Depth=3
	s_and_not1_saveexec_b32 s42, s42
; %bb.5445:                             ;   in Loop: Header=BB6_5167 Depth=3
	v_cmp_lt_i32_e32 vcc_lo, -1, v18
	v_mov_b32_e32 v12, 0x7c
	s_delay_alu instid0(VALU_DEP_1)
	v_cndmask_b32_e32 v64, 0xfc, v12, vcc_lo
; %bb.5446:                             ;   in Loop: Header=BB6_5167 Depth=3
	s_or_b32 exec_lo, exec_lo, s42
.LBB6_5447:                             ;   in Loop: Header=BB6_5167 Depth=3
	s_delay_alu instid0(SALU_CYCLE_1)
	s_or_b32 exec_lo, exec_lo, s13
	v_dual_mov_b32 v13, 0 :: v_dual_mov_b32 v18, 0
	s_mov_b32 s42, exec_lo
	v_cmpx_lt_u64_e64 s[22:23], v[48:49]
	s_cbranch_execz .LBB6_5457
; %bb.5448:                             ;   in Loop: Header=BB6_5167 Depth=3
	v_lshrrev_b32_e32 v12, 24, v49
	v_bfrev_b32_e32 v18, 1
	s_mov_b32 s43, exec_lo
	s_delay_alu instid0(VALU_DEP_2)
	v_cmpx_ne_u32_e32 0x80, v12
	s_cbranch_execz .LBB6_5456
; %bb.5449:                             ;   in Loop: Header=BB6_5167 Depth=3
	v_and_b32_e32 v18, 0x7c000000, v49
	v_bfe_u32 v19, v49, 24, 2
	s_delay_alu instid0(VALU_DEP_2) | instskip(SKIP_1) | instid1(SALU_CYCLE_1)
	v_cmp_ne_u32_e32 vcc_lo, 0x7c000000, v18
                                        ; implicit-def: $vgpr18
	s_and_saveexec_b32 s13, vcc_lo
	s_xor_b32 s13, exec_lo, s13
	s_cbranch_execz .LBB6_5453
; %bb.5450:                             ;   in Loop: Header=BB6_5167 Depth=3
	v_bfe_u32 v18, v49, 26, 5
	s_mov_b32 s72, exec_lo
	s_delay_alu instid0(VALU_DEP_1)
	v_cmpx_eq_u32_e32 0, v18
; %bb.5451:                             ;   in Loop: Header=BB6_5167 Depth=3
	v_clz_i32_u32_e32 v18, v19
	s_delay_alu instid0(VALU_DEP_1) | instskip(NEXT) | instid1(VALU_DEP_1)
	v_min_u32_e32 v18, 32, v18
	v_subrev_nc_u32_e32 v19, 29, v18
	v_sub_nc_u32_e32 v18, 30, v18
	s_delay_alu instid0(VALU_DEP_2) | instskip(NEXT) | instid1(VALU_DEP_1)
	v_lshlrev_b64_e32 v[22:23], v19, v[12:13]
	v_and_b32_e32 v19, 3, v22
; %bb.5452:                             ;   in Loop: Header=BB6_5167 Depth=3
	s_or_b32 exec_lo, exec_lo, s72
	v_and_b32_e32 v12, 0x80000000, v49
	s_delay_alu instid0(VALU_DEP_1) | instskip(NEXT) | instid1(VALU_DEP_1)
	v_lshl_add_u32 v12, v18, 23, v12
	v_lshl_or_b32 v12, v19, 21, v12
                                        ; implicit-def: $vgpr19
	s_delay_alu instid0(VALU_DEP_1)
	v_add_nc_u32_e32 v18, 0x38000000, v12
.LBB6_5453:                             ;   in Loop: Header=BB6_5167 Depth=3
	s_and_not1_saveexec_b32 s72, s13
; %bb.5454:                             ;   in Loop: Header=BB6_5167 Depth=3
	v_cmp_lt_i64_e64 s13, -1, v[48:49]
	v_mov_b32_e32 v12, 0x7f800000
	v_cmp_eq_u32_e32 vcc_lo, 0, v19
	s_delay_alu instid0(VALU_DEP_2) | instskip(NEXT) | instid1(VALU_DEP_1)
	v_cndmask_b32_e64 v12, 0xff800000, v12, s13
	v_cndmask_b32_e32 v18, 0x7f800001, v12, vcc_lo
; %bb.5455:                             ;   in Loop: Header=BB6_5167 Depth=3
	s_or_b32 exec_lo, exec_lo, s72
.LBB6_5456:                             ;   in Loop: Header=BB6_5167 Depth=3
	s_delay_alu instid0(SALU_CYCLE_1)
	s_or_b32 exec_lo, exec_lo, s43
.LBB6_5457:                             ;   in Loop: Header=BB6_5167 Depth=3
	s_delay_alu instid0(SALU_CYCLE_1) | instskip(NEXT) | instid1(SALU_CYCLE_1)
	s_or_b32 exec_lo, exec_lo, s42
	s_mov_b32 s42, exec_lo
	v_cmpx_lt_u64_e64 s[22:23], v[36:37]
	s_cbranch_execz .LBB6_5467
; %bb.5458:                             ;   in Loop: Header=BB6_5167 Depth=3
	v_lshrrev_b32_e32 v12, 24, v37
	v_bfrev_b32_e32 v13, 1
	s_mov_b32 s43, exec_lo
	s_delay_alu instid0(VALU_DEP_2)
	v_cmpx_ne_u32_e32 0x80, v12
	s_cbranch_execz .LBB6_5466
; %bb.5459:                             ;   in Loop: Header=BB6_5167 Depth=3
	v_and_b32_e32 v13, 0x7c000000, v37
	v_bfe_u32 v19, v37, 24, 2
	s_delay_alu instid0(VALU_DEP_2) | instskip(SKIP_1) | instid1(SALU_CYCLE_1)
	v_cmp_ne_u32_e32 vcc_lo, 0x7c000000, v13
                                        ; implicit-def: $vgpr13
	s_and_saveexec_b32 s13, vcc_lo
	s_xor_b32 s13, exec_lo, s13
	s_cbranch_execz .LBB6_5463
; %bb.5460:                             ;   in Loop: Header=BB6_5167 Depth=3
	v_bfe_u32 v13, v37, 26, 5
	s_mov_b32 s72, exec_lo
	s_delay_alu instid0(VALU_DEP_1)
	v_cmpx_eq_u32_e32 0, v13
; %bb.5461:                             ;   in Loop: Header=BB6_5167 Depth=3
	v_clz_i32_u32_e32 v13, v19
	s_delay_alu instid0(VALU_DEP_1) | instskip(NEXT) | instid1(VALU_DEP_1)
	v_min_u32_e32 v19, 32, v13
	v_subrev_nc_u32_e32 v13, 29, v19
	s_delay_alu instid0(VALU_DEP_1) | instskip(NEXT) | instid1(VALU_DEP_1)
	v_lshlrev_b64_e32 v[12:13], v13, v[12:13]
	v_dual_sub_nc_u32 v13, 30, v19 :: v_dual_bitop2_b32 v19, 3, v12 bitop3:0x40
; %bb.5462:                             ;   in Loop: Header=BB6_5167 Depth=3
	s_or_b32 exec_lo, exec_lo, s72
	v_and_b32_e32 v12, 0x80000000, v37
	s_delay_alu instid0(VALU_DEP_1) | instskip(NEXT) | instid1(VALU_DEP_1)
	v_lshl_add_u32 v12, v13, 23, v12
	v_lshl_or_b32 v12, v19, 21, v12
                                        ; implicit-def: $vgpr19
	s_delay_alu instid0(VALU_DEP_1)
	v_add_nc_u32_e32 v13, 0x38000000, v12
.LBB6_5463:                             ;   in Loop: Header=BB6_5167 Depth=3
	s_and_not1_saveexec_b32 s72, s13
; %bb.5464:                             ;   in Loop: Header=BB6_5167 Depth=3
	v_cmp_lt_i64_e64 s13, -1, v[36:37]
	v_mov_b32_e32 v12, 0x7f800000
	v_cmp_eq_u32_e32 vcc_lo, 0, v19
	s_delay_alu instid0(VALU_DEP_2) | instskip(NEXT) | instid1(VALU_DEP_1)
	v_cndmask_b32_e64 v12, 0xff800000, v12, s13
	v_cndmask_b32_e32 v13, 0x7f800001, v12, vcc_lo
; %bb.5465:                             ;   in Loop: Header=BB6_5167 Depth=3
	s_or_b32 exec_lo, exec_lo, s72
.LBB6_5466:                             ;   in Loop: Header=BB6_5167 Depth=3
	s_delay_alu instid0(SALU_CYCLE_1)
	s_or_b32 exec_lo, exec_lo, s43
.LBB6_5467:                             ;   in Loop: Header=BB6_5167 Depth=3
	s_delay_alu instid0(SALU_CYCLE_1) | instskip(NEXT) | instid1(VALU_DEP_1)
	s_or_b32 exec_lo, exec_lo, s42
	v_dual_mul_f32 v18, v18, v13 :: v_dual_mov_b32 v23, v21
	v_mov_b32_e32 v13, v21
                                        ; implicit-def: $vgpr36
	s_mov_b32 s13, exec_lo
	s_delay_alu instid0(VALU_DEP_2) | instskip(SKIP_2) | instid1(VALU_DEP_3)
	v_and_b32_e32 v22, 0x7f800000, v18
	v_and_b32_e32 v12, 0x7fffff, v18
	v_lshrrev_b32_e32 v19, 24, v18
	v_cmpx_ne_u64_e32 0x7f800000, v[22:23]
	s_xor_b32 s42, exec_lo, s13
	s_cbranch_execz .LBB6_5481
; %bb.5468:                             ;   in Loop: Header=BB6_5167 Depth=3
	v_and_b32_e32 v22, 0x7fffffff, v18
	v_mov_b32_e32 v23, v21
	v_and_b32_e32 v20, 0x80, v19
                                        ; implicit-def: $vgpr36
	s_mov_b32 s13, exec_lo
	s_delay_alu instid0(VALU_DEP_2)
	v_cmpx_gt_u64_e32 0x47600001, v[22:23]
	s_xor_b32 s43, exec_lo, s13
	s_cbranch_execz .LBB6_5478
; %bb.5469:                             ;   in Loop: Header=BB6_5167 Depth=3
	v_mov_b32_e32 v36, 0
	s_mov_b32 s72, exec_lo
	v_cmpx_ne_u32_e32 0, v18
	s_cbranch_execz .LBB6_5477
; %bb.5470:                             ;   in Loop: Header=BB6_5167 Depth=3
	v_bfe_u32 v22, v18, 23, 8
	v_or_b32_e32 v19, 0x800000, v12
	s_delay_alu instid0(VALU_DEP_2) | instskip(SKIP_2) | instid1(VALU_DEP_2)
	v_cmp_gt_u32_e64 s13, 0x72, v22
	v_sub_nc_u32_e32 v18, 0x71, v22
	v_cmp_eq_u32_e32 vcc_lo, 0, v22
	v_dual_cndmask_b32 v18, 0, v18, s13 :: v_dual_cndmask_b32 v12, v19, v12, vcc_lo
	s_delay_alu instid0(VALU_DEP_1) | instskip(NEXT) | instid1(VALU_DEP_1)
	v_cndmask_b32_e64 v23, v18, 0x70, vcc_lo
	v_dual_add_nc_u32 v18, 21, v23 :: v_dual_add_nc_u32 v36, 20, v23
	s_delay_alu instid0(VALU_DEP_1) | instskip(NEXT) | instid1(VALU_DEP_2)
	v_lshlrev_b64_e64 v[18:19], v18, -1
	v_lshlrev_b64_e64 v[36:37], v36, 1
	s_delay_alu instid0(VALU_DEP_2) | instskip(SKIP_1) | instid1(VALU_DEP_4)
	v_bfi_b32 v18, v18, 0, v12
	v_lshrrev_b64 v[12:13], v23, v[12:13]
	v_bfi_b32 v19, v19, 0, 0
	s_delay_alu instid0(VALU_DEP_1) | instskip(NEXT) | instid1(VALU_DEP_3)
	v_cmp_eq_u64_e64 s13, v[18:19], v[36:37]
	v_mov_b64_e32 v[18:19], v[12:13]
	s_and_saveexec_b32 s73, s13
; %bb.5471:                             ;   in Loop: Header=BB6_5167 Depth=3
	v_bfe_u32 v18, v12, 21, 1
	v_mov_b32_e32 v19, v21
	s_delay_alu instid0(VALU_DEP_1) | instskip(NEXT) | instid1(VALU_DEP_1)
	v_add_nc_u64_e32 v[18:19], v[12:13], v[18:19]
	v_add_nc_u64_e32 v[18:19], -1, v[18:19]
; %bb.5472:                             ;   in Loop: Header=BB6_5167 Depth=3
	s_or_b32 exec_lo, exec_lo, s73
	v_add_nc_u32_e32 v13, 0xffffff81, v22
	v_lshrrev_b32_e32 v19, 23, v12
	s_mov_b32 s13, exec_lo
	s_delay_alu instid0(VALU_DEP_2) | instskip(NEXT) | instid1(VALU_DEP_1)
	v_cndmask_b32_e64 v13, v13, 0xffffff82, vcc_lo
	v_add3_u32 v22, v23, v13, v19
	v_and_b32_e32 v13, 0x1fffff, v18
                                        ; implicit-def: $vgpr18
	s_delay_alu instid0(VALU_DEP_1) | instskip(SKIP_1) | instid1(VALU_DEP_2)
	v_dual_add_nc_u32 v19, 14, v22 :: v_dual_add_nc_u32 v12, v13, v12
	v_mov_b32_e32 v13, v21
	v_cmpx_ne_u32_e32 0, v19
	s_xor_b32 s13, exec_lo, s13
; %bb.5473:                             ;   in Loop: Header=BB6_5167 Depth=3
	s_delay_alu instid0(VALU_DEP_2) | instskip(SKIP_1) | instid1(VALU_DEP_1)
	v_cmp_lt_u64_e32 vcc_lo, 0xffffff, v[12:13]
	v_add_nc_u32_e32 v18, 15, v22
	v_cndmask_b32_e32 v18, v19, v18, vcc_lo
	v_cndmask_b32_e64 v19, 0, 1, vcc_lo
	s_delay_alu instid0(VALU_DEP_1)
	v_lshrrev_b64 v[12:13], v19, v[12:13]
; %bb.5474:                             ;   in Loop: Header=BB6_5167 Depth=3
	s_and_not1_saveexec_b32 s13, s13
; %bb.5475:                             ;   in Loop: Header=BB6_5167 Depth=3
	s_delay_alu instid0(VALU_DEP_1)
	v_bfe_u32 v18, v12, 23, 1
; %bb.5476:                             ;   in Loop: Header=BB6_5167 Depth=3
	s_or_b32 exec_lo, exec_lo, s13
	s_delay_alu instid0(VALU_DEP_2) | instskip(NEXT) | instid1(VALU_DEP_2)
	v_lshrrev_b64 v[12:13], 21, v[12:13]
	v_cmp_gt_i32_e32 vcc_lo, 32, v18
	v_min_i32_e32 v19, 31, v18
	v_cmp_eq_u32_e64 s13, 0, v18
	s_delay_alu instid0(VALU_DEP_2) | instskip(SKIP_1) | instid1(VALU_DEP_2)
	v_dual_cndmask_b32 v13, 0, v13, vcc_lo :: v_dual_lshlrev_b32 v19, 2, v19
	v_cndmask_b32_e32 v12, 3, v12, vcc_lo
	v_and_b32_e32 v19, 0xfc, v19
	s_delay_alu instid0(VALU_DEP_2) | instskip(NEXT) | instid1(VALU_DEP_2)
	v_cmp_eq_u64_e32 vcc_lo, 0, v[12:13]
	v_and_or_b32 v12, v12, 3, v19
	s_and_b32 s13, s13, vcc_lo
	s_delay_alu instid0(VALU_DEP_1) | instid1(SALU_CYCLE_1)
	v_cndmask_b32_e64 v12, v12, 0, s13
	s_delay_alu instid0(VALU_DEP_1)
	v_or_b32_e32 v36, v12, v20
.LBB6_5477:                             ;   in Loop: Header=BB6_5167 Depth=3
	s_or_b32 exec_lo, exec_lo, s72
                                        ; implicit-def: $vgpr20
.LBB6_5478:                             ;   in Loop: Header=BB6_5167 Depth=3
	s_and_not1_saveexec_b32 s13, s43
; %bb.5479:                             ;   in Loop: Header=BB6_5167 Depth=3
	v_or_b32_e32 v36, 0x7b, v20
; %bb.5480:                             ;   in Loop: Header=BB6_5167 Depth=3
	s_or_b32 exec_lo, exec_lo, s13
                                        ; implicit-def: $vgpr18
                                        ; implicit-def: $vgpr12_vgpr13
                                        ; implicit-def: $vgpr19
.LBB6_5481:                             ;   in Loop: Header=BB6_5167 Depth=3
	s_and_not1_saveexec_b32 s13, s42
	s_cbranch_execz .LBB6_5487
; %bb.5482:                             ;   in Loop: Header=BB6_5167 Depth=3
	s_mov_b32 s42, exec_lo
                                        ; implicit-def: $vgpr36
	v_cmpx_ne_u64_e32 0, v[12:13]
	s_xor_b32 s42, exec_lo, s42
; %bb.5483:                             ;   in Loop: Header=BB6_5167 Depth=3
	v_or_b32_e32 v36, 0x7f, v19
                                        ; implicit-def: $vgpr18
; %bb.5484:                             ;   in Loop: Header=BB6_5167 Depth=3
	s_and_not1_saveexec_b32 s42, s42
; %bb.5485:                             ;   in Loop: Header=BB6_5167 Depth=3
	v_cmp_lt_i32_e32 vcc_lo, -1, v18
	v_mov_b32_e32 v12, 0x7c
	s_delay_alu instid0(VALU_DEP_1)
	v_cndmask_b32_e32 v36, 0xfc, v12, vcc_lo
; %bb.5486:                             ;   in Loop: Header=BB6_5167 Depth=3
	s_or_b32 exec_lo, exec_lo, s42
.LBB6_5487:                             ;   in Loop: Header=BB6_5167 Depth=3
	s_delay_alu instid0(SALU_CYCLE_1) | instskip(SKIP_2) | instid1(VALU_DEP_2)
	s_or_b32 exec_lo, exec_lo, s13
	v_and_b32_e32 v13, 0xff, v50
	v_mov_b32_e32 v12, 0
	v_cmp_ne_u16_e32 vcc_lo, 0, v13
	v_mov_b32_e32 v13, 0
	s_and_saveexec_b32 s42, vcc_lo
	s_cbranch_execz .LBB6_5497
; %bb.5488:                             ;   in Loop: Header=BB6_5167 Depth=3
	v_bfe_i32 v19, v50, 0, 8
	v_bfrev_b32_e32 v13, 1
	s_mov_b32 s43, exec_lo
	s_delay_alu instid0(VALU_DEP_2)
	v_cmpx_ne_u16_e32 0xff80, v19
	s_cbranch_execz .LBB6_5496
; %bb.5489:                             ;   in Loop: Header=BB6_5167 Depth=3
	v_and_b32_e32 v13, 0x7c, v50
	v_and_b32_e32 v18, 3, v50
	s_delay_alu instid0(VALU_DEP_2) | instskip(SKIP_1) | instid1(SALU_CYCLE_1)
	v_cmp_ne_u32_e32 vcc_lo, 0x7c, v13
                                        ; implicit-def: $vgpr13
	s_and_saveexec_b32 s13, vcc_lo
	s_xor_b32 s13, exec_lo, s13
	s_cbranch_execz .LBB6_5493
; %bb.5490:                             ;   in Loop: Header=BB6_5167 Depth=3
	v_bfe_u32 v13, v50, 2, 5
	s_mov_b32 s72, exec_lo
	s_delay_alu instid0(VALU_DEP_1)
	v_cmpx_eq_u32_e32 0, v13
; %bb.5491:                             ;   in Loop: Header=BB6_5167 Depth=3
	v_clz_i32_u32_e32 v13, v18
	s_delay_alu instid0(VALU_DEP_1) | instskip(NEXT) | instid1(VALU_DEP_1)
	v_min_u32_e32 v13, 32, v13
	v_subrev_nc_u32_e32 v18, 29, v13
	s_delay_alu instid0(VALU_DEP_1) | instskip(NEXT) | instid1(VALU_DEP_1)
	v_lshlrev_b64_e32 v[18:19], v18, v[50:51]
	v_dual_sub_nc_u32 v13, 30, v13 :: v_dual_bitop2_b32 v18, 3, v18 bitop3:0x40
; %bb.5492:                             ;   in Loop: Header=BB6_5167 Depth=3
	s_or_b32 exec_lo, exec_lo, s72
	v_lshlrev_b32_e32 v19, 24, v50
	s_delay_alu instid0(VALU_DEP_1) | instskip(NEXT) | instid1(VALU_DEP_1)
	v_and_b32_e32 v19, 0x80000000, v19
	v_lshl_add_u32 v13, v13, 23, v19
                                        ; implicit-def: $vgpr19
	s_delay_alu instid0(VALU_DEP_1) | instskip(NEXT) | instid1(VALU_DEP_1)
	v_lshl_or_b32 v13, v18, 21, v13
                                        ; implicit-def: $vgpr18
	v_add_nc_u32_e32 v13, 0x38000000, v13
.LBB6_5493:                             ;   in Loop: Header=BB6_5167 Depth=3
	s_and_not1_saveexec_b32 s72, s13
; %bb.5494:                             ;   in Loop: Header=BB6_5167 Depth=3
	v_cmp_lt_i16_e64 s13, -1, v19
	v_mov_b32_e32 v13, 0x7f800000
	v_cmp_eq_u32_e32 vcc_lo, 0, v18
	s_delay_alu instid0(VALU_DEP_2) | instskip(NEXT) | instid1(VALU_DEP_1)
	v_cndmask_b32_e64 v13, 0xff800000, v13, s13
	v_cndmask_b32_e32 v13, 0x7f800001, v13, vcc_lo
; %bb.5495:                             ;   in Loop: Header=BB6_5167 Depth=3
	s_or_b32 exec_lo, exec_lo, s72
.LBB6_5496:                             ;   in Loop: Header=BB6_5167 Depth=3
	s_delay_alu instid0(SALU_CYCLE_1)
	s_or_b32 exec_lo, exec_lo, s43
.LBB6_5497:                             ;   in Loop: Header=BB6_5167 Depth=3
	s_delay_alu instid0(SALU_CYCLE_1) | instskip(SKIP_2) | instid1(VALU_DEP_1)
	s_or_b32 exec_lo, exec_lo, s42
	v_and_b32_e32 v18, 0xff, v38
	s_mov_b32 s42, exec_lo
	v_cmpx_ne_u16_e32 0, v18
	s_cbranch_execz .LBB6_5507
; %bb.5498:                             ;   in Loop: Header=BB6_5167 Depth=3
	v_bfe_i32 v19, v38, 0, 8
	v_bfrev_b32_e32 v12, 1
	s_mov_b32 s43, exec_lo
	s_delay_alu instid0(VALU_DEP_2)
	v_cmpx_ne_u16_e32 0xff80, v19
	s_cbranch_execz .LBB6_5506
; %bb.5499:                             ;   in Loop: Header=BB6_5167 Depth=3
	v_and_b32_e32 v12, 0x7c, v38
	v_and_b32_e32 v18, 3, v38
	s_delay_alu instid0(VALU_DEP_2) | instskip(SKIP_1) | instid1(SALU_CYCLE_1)
	v_cmp_ne_u32_e32 vcc_lo, 0x7c, v12
                                        ; implicit-def: $vgpr12
	s_and_saveexec_b32 s13, vcc_lo
	s_xor_b32 s13, exec_lo, s13
	s_cbranch_execz .LBB6_5503
; %bb.5500:                             ;   in Loop: Header=BB6_5167 Depth=3
	v_bfe_u32 v12, v38, 2, 5
	s_mov_b32 s72, exec_lo
	s_delay_alu instid0(VALU_DEP_1)
	v_cmpx_eq_u32_e32 0, v12
; %bb.5501:                             ;   in Loop: Header=BB6_5167 Depth=3
	v_clz_i32_u32_e32 v12, v18
	s_delay_alu instid0(VALU_DEP_1) | instskip(NEXT) | instid1(VALU_DEP_1)
	v_min_u32_e32 v12, 32, v12
	v_subrev_nc_u32_e32 v18, 29, v12
	s_delay_alu instid0(VALU_DEP_1) | instskip(NEXT) | instid1(VALU_DEP_1)
	v_lshlrev_b64_e32 v[18:19], v18, v[38:39]
	v_dual_sub_nc_u32 v12, 30, v12 :: v_dual_bitop2_b32 v18, 3, v18 bitop3:0x40
; %bb.5502:                             ;   in Loop: Header=BB6_5167 Depth=3
	s_or_b32 exec_lo, exec_lo, s72
	v_lshlrev_b32_e32 v19, 24, v38
	s_delay_alu instid0(VALU_DEP_1) | instskip(NEXT) | instid1(VALU_DEP_1)
	v_and_b32_e32 v19, 0x80000000, v19
	v_lshl_add_u32 v12, v12, 23, v19
                                        ; implicit-def: $vgpr19
	s_delay_alu instid0(VALU_DEP_1) | instskip(NEXT) | instid1(VALU_DEP_1)
	v_lshl_or_b32 v12, v18, 21, v12
                                        ; implicit-def: $vgpr18
	v_add_nc_u32_e32 v12, 0x38000000, v12
.LBB6_5503:                             ;   in Loop: Header=BB6_5167 Depth=3
	s_and_not1_saveexec_b32 s72, s13
; %bb.5504:                             ;   in Loop: Header=BB6_5167 Depth=3
	v_cmp_lt_i16_e64 s13, -1, v19
	v_mov_b32_e32 v12, 0x7f800000
	v_cmp_eq_u32_e32 vcc_lo, 0, v18
	s_delay_alu instid0(VALU_DEP_2) | instskip(NEXT) | instid1(VALU_DEP_1)
	v_cndmask_b32_e64 v12, 0xff800000, v12, s13
	v_cndmask_b32_e32 v12, 0x7f800001, v12, vcc_lo
; %bb.5505:                             ;   in Loop: Header=BB6_5167 Depth=3
	s_or_b32 exec_lo, exec_lo, s72
.LBB6_5506:                             ;   in Loop: Header=BB6_5167 Depth=3
	s_delay_alu instid0(SALU_CYCLE_1)
	s_or_b32 exec_lo, exec_lo, s43
.LBB6_5507:                             ;   in Loop: Header=BB6_5167 Depth=3
	s_delay_alu instid0(SALU_CYCLE_1) | instskip(NEXT) | instid1(VALU_DEP_1)
	s_or_b32 exec_lo, exec_lo, s42
	v_mul_f32_e32 v18, v13, v12
	v_dual_mov_b32 v23, v21 :: v_dual_mov_b32 v13, v21
                                        ; implicit-def: $vgpr37
	s_mov_b32 s13, exec_lo
	s_delay_alu instid0(VALU_DEP_2) | instskip(SKIP_2) | instid1(VALU_DEP_3)
	v_and_b32_e32 v22, 0x7f800000, v18
	v_and_b32_e32 v12, 0x7fffff, v18
	v_lshrrev_b32_e32 v19, 24, v18
	v_cmpx_ne_u64_e32 0x7f800000, v[22:23]
	s_xor_b32 s42, exec_lo, s13
	s_cbranch_execz .LBB6_5521
; %bb.5508:                             ;   in Loop: Header=BB6_5167 Depth=3
	v_and_b32_e32 v22, 0x7fffffff, v18
	v_mov_b32_e32 v23, v21
	v_and_b32_e32 v20, 0x80, v19
                                        ; implicit-def: $vgpr37
	s_mov_b32 s13, exec_lo
	s_delay_alu instid0(VALU_DEP_2)
	v_cmpx_gt_u64_e32 0x47600001, v[22:23]
	s_xor_b32 s43, exec_lo, s13
	s_cbranch_execz .LBB6_5518
; %bb.5509:                             ;   in Loop: Header=BB6_5167 Depth=3
	v_mov_b32_e32 v37, 0
	s_mov_b32 s72, exec_lo
	v_cmpx_ne_u32_e32 0, v18
	s_cbranch_execz .LBB6_5517
; %bb.5510:                             ;   in Loop: Header=BB6_5167 Depth=3
	v_bfe_u32 v22, v18, 23, 8
	v_or_b32_e32 v19, 0x800000, v12
	s_delay_alu instid0(VALU_DEP_2) | instskip(SKIP_2) | instid1(VALU_DEP_2)
	v_cmp_gt_u32_e64 s13, 0x72, v22
	v_sub_nc_u32_e32 v18, 0x71, v22
	v_cmp_eq_u32_e32 vcc_lo, 0, v22
	v_dual_cndmask_b32 v18, 0, v18, s13 :: v_dual_cndmask_b32 v12, v19, v12, vcc_lo
	s_delay_alu instid0(VALU_DEP_1) | instskip(NEXT) | instid1(VALU_DEP_1)
	v_cndmask_b32_e64 v23, v18, 0x70, vcc_lo
	v_dual_add_nc_u32 v18, 21, v23 :: v_dual_add_nc_u32 v37, 20, v23
	s_delay_alu instid0(VALU_DEP_1) | instskip(NEXT) | instid1(VALU_DEP_2)
	v_lshlrev_b64_e64 v[18:19], v18, -1
	v_lshlrev_b64_e64 v[48:49], v37, 1
	s_delay_alu instid0(VALU_DEP_2) | instskip(SKIP_1) | instid1(VALU_DEP_4)
	v_bfi_b32 v18, v18, 0, v12
	v_lshrrev_b64 v[12:13], v23, v[12:13]
	v_bfi_b32 v19, v19, 0, 0
	s_delay_alu instid0(VALU_DEP_1) | instskip(NEXT) | instid1(VALU_DEP_3)
	v_cmp_eq_u64_e64 s13, v[18:19], v[48:49]
	v_mov_b64_e32 v[18:19], v[12:13]
	s_and_saveexec_b32 s73, s13
; %bb.5511:                             ;   in Loop: Header=BB6_5167 Depth=3
	v_bfe_u32 v18, v12, 21, 1
	v_mov_b32_e32 v19, v21
	s_delay_alu instid0(VALU_DEP_1) | instskip(NEXT) | instid1(VALU_DEP_1)
	v_add_nc_u64_e32 v[18:19], v[12:13], v[18:19]
	v_add_nc_u64_e32 v[18:19], -1, v[18:19]
; %bb.5512:                             ;   in Loop: Header=BB6_5167 Depth=3
	s_or_b32 exec_lo, exec_lo, s73
	v_add_nc_u32_e32 v13, 0xffffff81, v22
	v_lshrrev_b32_e32 v19, 23, v12
	s_mov_b32 s13, exec_lo
	s_delay_alu instid0(VALU_DEP_2) | instskip(NEXT) | instid1(VALU_DEP_1)
	v_cndmask_b32_e64 v13, v13, 0xffffff82, vcc_lo
	v_add3_u32 v22, v23, v13, v19
	v_and_b32_e32 v13, 0x1fffff, v18
                                        ; implicit-def: $vgpr18
	s_delay_alu instid0(VALU_DEP_1) | instskip(SKIP_1) | instid1(VALU_DEP_2)
	v_dual_add_nc_u32 v19, 14, v22 :: v_dual_add_nc_u32 v12, v13, v12
	v_mov_b32_e32 v13, v21
	v_cmpx_ne_u32_e32 0, v19
	s_xor_b32 s13, exec_lo, s13
; %bb.5513:                             ;   in Loop: Header=BB6_5167 Depth=3
	s_delay_alu instid0(VALU_DEP_2) | instskip(SKIP_1) | instid1(VALU_DEP_1)
	v_cmp_lt_u64_e32 vcc_lo, 0xffffff, v[12:13]
	v_add_nc_u32_e32 v18, 15, v22
	v_cndmask_b32_e32 v18, v19, v18, vcc_lo
	v_cndmask_b32_e64 v19, 0, 1, vcc_lo
	s_delay_alu instid0(VALU_DEP_1)
	v_lshrrev_b64 v[12:13], v19, v[12:13]
; %bb.5514:                             ;   in Loop: Header=BB6_5167 Depth=3
	s_and_not1_saveexec_b32 s13, s13
; %bb.5515:                             ;   in Loop: Header=BB6_5167 Depth=3
	s_delay_alu instid0(VALU_DEP_1)
	v_bfe_u32 v18, v12, 23, 1
; %bb.5516:                             ;   in Loop: Header=BB6_5167 Depth=3
	s_or_b32 exec_lo, exec_lo, s13
	s_delay_alu instid0(VALU_DEP_2) | instskip(NEXT) | instid1(VALU_DEP_2)
	v_lshrrev_b64 v[12:13], 21, v[12:13]
	v_cmp_gt_i32_e32 vcc_lo, 32, v18
	v_min_i32_e32 v19, 31, v18
	v_cmp_eq_u32_e64 s13, 0, v18
	s_delay_alu instid0(VALU_DEP_2) | instskip(SKIP_1) | instid1(VALU_DEP_2)
	v_dual_cndmask_b32 v13, 0, v13, vcc_lo :: v_dual_lshlrev_b32 v19, 2, v19
	v_cndmask_b32_e32 v12, 3, v12, vcc_lo
	v_and_b32_e32 v19, 0xfc, v19
	s_delay_alu instid0(VALU_DEP_2) | instskip(NEXT) | instid1(VALU_DEP_2)
	v_cmp_eq_u64_e32 vcc_lo, 0, v[12:13]
	v_and_or_b32 v12, v12, 3, v19
	s_and_b32 s13, s13, vcc_lo
	s_delay_alu instid0(VALU_DEP_1) | instid1(SALU_CYCLE_1)
	v_cndmask_b32_e64 v12, v12, 0, s13
	s_delay_alu instid0(VALU_DEP_1)
	v_or_b32_e32 v37, v12, v20
.LBB6_5517:                             ;   in Loop: Header=BB6_5167 Depth=3
	s_or_b32 exec_lo, exec_lo, s72
                                        ; implicit-def: $vgpr20
.LBB6_5518:                             ;   in Loop: Header=BB6_5167 Depth=3
	s_and_not1_saveexec_b32 s13, s43
; %bb.5519:                             ;   in Loop: Header=BB6_5167 Depth=3
	v_or_b32_e32 v37, 0x7b, v20
; %bb.5520:                             ;   in Loop: Header=BB6_5167 Depth=3
	s_or_b32 exec_lo, exec_lo, s13
                                        ; implicit-def: $vgpr18
                                        ; implicit-def: $vgpr12_vgpr13
                                        ; implicit-def: $vgpr19
.LBB6_5521:                             ;   in Loop: Header=BB6_5167 Depth=3
	s_and_not1_saveexec_b32 s13, s42
	s_cbranch_execz .LBB6_5527
; %bb.5522:                             ;   in Loop: Header=BB6_5167 Depth=3
	s_mov_b32 s42, exec_lo
                                        ; implicit-def: $vgpr37
	v_cmpx_ne_u64_e32 0, v[12:13]
	s_xor_b32 s42, exec_lo, s42
; %bb.5523:                             ;   in Loop: Header=BB6_5167 Depth=3
	v_or_b32_e32 v37, 0x7f, v19
                                        ; implicit-def: $vgpr18
; %bb.5524:                             ;   in Loop: Header=BB6_5167 Depth=3
	s_and_not1_saveexec_b32 s42, s42
; %bb.5525:                             ;   in Loop: Header=BB6_5167 Depth=3
	v_cmp_lt_i32_e32 vcc_lo, -1, v18
	v_mov_b32_e32 v12, 0x7c
	s_delay_alu instid0(VALU_DEP_1)
	v_cndmask_b32_e32 v37, 0xfc, v12, vcc_lo
; %bb.5526:                             ;   in Loop: Header=BB6_5167 Depth=3
	s_or_b32 exec_lo, exec_lo, s42
.LBB6_5527:                             ;   in Loop: Header=BB6_5167 Depth=3
	s_delay_alu instid0(SALU_CYCLE_1) | instskip(SKIP_3) | instid1(VALU_DEP_2)
	s_or_b32 exec_lo, exec_lo, s13
	v_lshrrev_b16 v12, 8, v50
	v_dual_mov_b32 v18, 0 :: v_dual_mov_b32 v19, 0
	s_mov_b32 s42, exec_lo
	v_cmpx_ne_u16_e32 0, v12
	s_cbranch_execz .LBB6_5537
; %bb.5528:                             ;   in Loop: Header=BB6_5167 Depth=3
	v_bfrev_b32_e32 v19, 1
	s_mov_b32 s43, exec_lo
	v_cmpx_ne_u16_e32 0x80, v12
	s_cbranch_execz .LBB6_5536
; %bb.5529:                             ;   in Loop: Header=BB6_5167 Depth=3
	v_and_b32_e32 v20, 0xffff, v12
	s_delay_alu instid0(VALU_DEP_1) | instskip(SKIP_1) | instid1(VALU_DEP_2)
	v_and_b32_e32 v19, 0x7c, v20
	v_and_b32_e32 v13, 3, v20
	v_cmp_ne_u32_e32 vcc_lo, 0x7c, v19
                                        ; implicit-def: $vgpr19
	s_and_saveexec_b32 s13, vcc_lo
	s_delay_alu instid0(SALU_CYCLE_1)
	s_xor_b32 s13, exec_lo, s13
	s_cbranch_execz .LBB6_5533
; %bb.5530:                             ;   in Loop: Header=BB6_5167 Depth=3
	v_bfe_u32 v19, v20, 2, 5
	s_mov_b32 s72, exec_lo
	s_delay_alu instid0(VALU_DEP_1)
	v_cmpx_eq_u32_e32 0, v19
	s_cbranch_execz .LBB6_5532
; %bb.5531:                             ;   in Loop: Header=BB6_5167 Depth=3
	v_clz_i32_u32_e32 v13, v13
	s_delay_alu instid0(VALU_DEP_1) | instskip(SKIP_1) | instid1(VALU_DEP_2)
	v_min_u32_e32 v19, 32, v13
	v_mov_b32_e32 v13, v21
	v_subrev_nc_u32_e32 v20, 29, v19
	v_sub_nc_u32_e32 v19, 30, v19
	s_delay_alu instid0(VALU_DEP_2) | instskip(NEXT) | instid1(VALU_DEP_1)
	v_lshlrev_b64_e32 v[12:13], v20, v[12:13]
	v_and_b32_e32 v13, 3, v12
.LBB6_5532:                             ;   in Loop: Header=BB6_5167 Depth=3
	s_or_b32 exec_lo, exec_lo, s72
	v_lshlrev_b32_e32 v12, 16, v50
	s_delay_alu instid0(VALU_DEP_1) | instskip(NEXT) | instid1(VALU_DEP_1)
	v_and_b32_e32 v12, 0x80000000, v12
	v_lshl_add_u32 v12, v19, 23, v12
	s_delay_alu instid0(VALU_DEP_1) | instskip(NEXT) | instid1(VALU_DEP_1)
	v_lshl_or_b32 v12, v13, 21, v12
                                        ; implicit-def: $vgpr13
	v_add_nc_u32_e32 v19, 0x38000000, v12
.LBB6_5533:                             ;   in Loop: Header=BB6_5167 Depth=3
	s_and_not1_saveexec_b32 s72, s13
; %bb.5534:                             ;   in Loop: Header=BB6_5167 Depth=3
	v_cmp_lt_i16_e64 s13, -1, v50
	v_mov_b32_e32 v12, 0x7f800000
	v_cmp_eq_u32_e32 vcc_lo, 0, v13
	s_delay_alu instid0(VALU_DEP_2) | instskip(NEXT) | instid1(VALU_DEP_1)
	v_cndmask_b32_e64 v12, 0xff800000, v12, s13
	v_cndmask_b32_e32 v19, 0x7f800001, v12, vcc_lo
; %bb.5535:                             ;   in Loop: Header=BB6_5167 Depth=3
	s_or_b32 exec_lo, exec_lo, s72
.LBB6_5536:                             ;   in Loop: Header=BB6_5167 Depth=3
	s_delay_alu instid0(SALU_CYCLE_1)
	s_or_b32 exec_lo, exec_lo, s43
.LBB6_5537:                             ;   in Loop: Header=BB6_5167 Depth=3
	s_delay_alu instid0(SALU_CYCLE_1) | instskip(SKIP_2) | instid1(VALU_DEP_1)
	s_or_b32 exec_lo, exec_lo, s42
	v_lshrrev_b16 v12, 8, v38
	s_mov_b32 s42, exec_lo
	v_cmpx_ne_u16_e32 0, v12
	s_cbranch_execz .LBB6_5547
; %bb.5538:                             ;   in Loop: Header=BB6_5167 Depth=3
	v_bfrev_b32_e32 v18, 1
	s_mov_b32 s43, exec_lo
	v_cmpx_ne_u16_e32 0x80, v12
	s_cbranch_execz .LBB6_5546
; %bb.5539:                             ;   in Loop: Header=BB6_5167 Depth=3
	v_and_b32_e32 v20, 0xffff, v12
	s_delay_alu instid0(VALU_DEP_1) | instskip(SKIP_1) | instid1(VALU_DEP_2)
	v_and_b32_e32 v18, 0x7c, v20
	v_and_b32_e32 v13, 3, v20
	v_cmp_ne_u32_e32 vcc_lo, 0x7c, v18
                                        ; implicit-def: $vgpr18
	s_and_saveexec_b32 s13, vcc_lo
	s_delay_alu instid0(SALU_CYCLE_1)
	s_xor_b32 s13, exec_lo, s13
	s_cbranch_execz .LBB6_5543
; %bb.5540:                             ;   in Loop: Header=BB6_5167 Depth=3
	v_bfe_u32 v18, v20, 2, 5
	s_mov_b32 s72, exec_lo
	s_delay_alu instid0(VALU_DEP_1)
	v_cmpx_eq_u32_e32 0, v18
	s_cbranch_execz .LBB6_5542
; %bb.5541:                             ;   in Loop: Header=BB6_5167 Depth=3
	v_clz_i32_u32_e32 v13, v13
	s_delay_alu instid0(VALU_DEP_1) | instskip(SKIP_1) | instid1(VALU_DEP_2)
	v_min_u32_e32 v18, 32, v13
	v_mov_b32_e32 v13, v21
	v_subrev_nc_u32_e32 v20, 29, v18
	v_sub_nc_u32_e32 v18, 30, v18
	s_delay_alu instid0(VALU_DEP_2) | instskip(NEXT) | instid1(VALU_DEP_1)
	v_lshlrev_b64_e32 v[12:13], v20, v[12:13]
	v_and_b32_e32 v13, 3, v12
.LBB6_5542:                             ;   in Loop: Header=BB6_5167 Depth=3
	s_or_b32 exec_lo, exec_lo, s72
	v_lshlrev_b32_e32 v12, 16, v38
	s_delay_alu instid0(VALU_DEP_1) | instskip(NEXT) | instid1(VALU_DEP_1)
	v_and_b32_e32 v12, 0x80000000, v12
	v_lshl_add_u32 v12, v18, 23, v12
	s_delay_alu instid0(VALU_DEP_1) | instskip(NEXT) | instid1(VALU_DEP_1)
	v_lshl_or_b32 v12, v13, 21, v12
                                        ; implicit-def: $vgpr13
	v_add_nc_u32_e32 v18, 0x38000000, v12
.LBB6_5543:                             ;   in Loop: Header=BB6_5167 Depth=3
	s_and_not1_saveexec_b32 s72, s13
; %bb.5544:                             ;   in Loop: Header=BB6_5167 Depth=3
	v_cmp_lt_i16_e64 s13, -1, v38
	v_mov_b32_e32 v12, 0x7f800000
	v_cmp_eq_u32_e32 vcc_lo, 0, v13
	s_delay_alu instid0(VALU_DEP_2) | instskip(NEXT) | instid1(VALU_DEP_1)
	v_cndmask_b32_e64 v12, 0xff800000, v12, s13
	v_cndmask_b32_e32 v18, 0x7f800001, v12, vcc_lo
; %bb.5545:                             ;   in Loop: Header=BB6_5167 Depth=3
	s_or_b32 exec_lo, exec_lo, s72
.LBB6_5546:                             ;   in Loop: Header=BB6_5167 Depth=3
	s_delay_alu instid0(SALU_CYCLE_1)
	s_or_b32 exec_lo, exec_lo, s43
.LBB6_5547:                             ;   in Loop: Header=BB6_5167 Depth=3
	s_delay_alu instid0(SALU_CYCLE_1) | instskip(NEXT) | instid1(VALU_DEP_1)
	s_or_b32 exec_lo, exec_lo, s42
	v_dual_mul_f32 v18, v19, v18 :: v_dual_mov_b32 v23, v21
	v_mov_b32_e32 v13, v21
                                        ; implicit-def: $vgpr48
	s_mov_b32 s13, exec_lo
	s_delay_alu instid0(VALU_DEP_2) | instskip(SKIP_2) | instid1(VALU_DEP_3)
	v_and_b32_e32 v22, 0x7f800000, v18
	v_and_b32_e32 v12, 0x7fffff, v18
	v_lshrrev_b32_e32 v19, 24, v18
	v_cmpx_ne_u64_e32 0x7f800000, v[22:23]
	s_xor_b32 s42, exec_lo, s13
	s_cbranch_execz .LBB6_5561
; %bb.5548:                             ;   in Loop: Header=BB6_5167 Depth=3
	v_and_b32_e32 v22, 0x7fffffff, v18
	v_mov_b32_e32 v23, v21
	v_and_b32_e32 v20, 0x80, v19
                                        ; implicit-def: $vgpr48
	s_mov_b32 s13, exec_lo
	s_delay_alu instid0(VALU_DEP_2)
	v_cmpx_gt_u64_e32 0x47600001, v[22:23]
	s_xor_b32 s43, exec_lo, s13
	s_cbranch_execz .LBB6_5558
; %bb.5549:                             ;   in Loop: Header=BB6_5167 Depth=3
	v_mov_b32_e32 v48, 0
	s_mov_b32 s72, exec_lo
	v_cmpx_ne_u32_e32 0, v18
	s_cbranch_execz .LBB6_5557
; %bb.5550:                             ;   in Loop: Header=BB6_5167 Depth=3
	v_bfe_u32 v22, v18, 23, 8
	v_or_b32_e32 v19, 0x800000, v12
	s_delay_alu instid0(VALU_DEP_2) | instskip(SKIP_2) | instid1(VALU_DEP_2)
	v_cmp_gt_u32_e64 s13, 0x72, v22
	v_sub_nc_u32_e32 v18, 0x71, v22
	v_cmp_eq_u32_e32 vcc_lo, 0, v22
	v_dual_cndmask_b32 v18, 0, v18, s13 :: v_dual_cndmask_b32 v12, v19, v12, vcc_lo
	s_delay_alu instid0(VALU_DEP_1) | instskip(NEXT) | instid1(VALU_DEP_1)
	v_cndmask_b32_e64 v23, v18, 0x70, vcc_lo
	v_dual_add_nc_u32 v18, 21, v23 :: v_dual_add_nc_u32 v48, 20, v23
	s_delay_alu instid0(VALU_DEP_1) | instskip(NEXT) | instid1(VALU_DEP_2)
	v_lshlrev_b64_e64 v[18:19], v18, -1
	v_lshlrev_b64_e64 v[48:49], v48, 1
	s_delay_alu instid0(VALU_DEP_2) | instskip(SKIP_1) | instid1(VALU_DEP_4)
	v_bfi_b32 v18, v18, 0, v12
	v_lshrrev_b64 v[12:13], v23, v[12:13]
	v_bfi_b32 v19, v19, 0, 0
	s_delay_alu instid0(VALU_DEP_1) | instskip(NEXT) | instid1(VALU_DEP_3)
	v_cmp_eq_u64_e64 s13, v[18:19], v[48:49]
	v_mov_b64_e32 v[18:19], v[12:13]
	s_and_saveexec_b32 s73, s13
; %bb.5551:                             ;   in Loop: Header=BB6_5167 Depth=3
	v_bfe_u32 v18, v12, 21, 1
	v_mov_b32_e32 v19, v21
	s_delay_alu instid0(VALU_DEP_1) | instskip(NEXT) | instid1(VALU_DEP_1)
	v_add_nc_u64_e32 v[18:19], v[12:13], v[18:19]
	v_add_nc_u64_e32 v[18:19], -1, v[18:19]
; %bb.5552:                             ;   in Loop: Header=BB6_5167 Depth=3
	s_or_b32 exec_lo, exec_lo, s73
	v_add_nc_u32_e32 v13, 0xffffff81, v22
	v_lshrrev_b32_e32 v19, 23, v12
	s_mov_b32 s13, exec_lo
	s_delay_alu instid0(VALU_DEP_2) | instskip(NEXT) | instid1(VALU_DEP_1)
	v_cndmask_b32_e64 v13, v13, 0xffffff82, vcc_lo
	v_add3_u32 v22, v23, v13, v19
	v_and_b32_e32 v13, 0x1fffff, v18
                                        ; implicit-def: $vgpr18
	s_delay_alu instid0(VALU_DEP_1) | instskip(SKIP_1) | instid1(VALU_DEP_2)
	v_dual_add_nc_u32 v19, 14, v22 :: v_dual_add_nc_u32 v12, v13, v12
	v_mov_b32_e32 v13, v21
	v_cmpx_ne_u32_e32 0, v19
	s_xor_b32 s13, exec_lo, s13
; %bb.5553:                             ;   in Loop: Header=BB6_5167 Depth=3
	s_delay_alu instid0(VALU_DEP_2) | instskip(SKIP_1) | instid1(VALU_DEP_1)
	v_cmp_lt_u64_e32 vcc_lo, 0xffffff, v[12:13]
	v_add_nc_u32_e32 v18, 15, v22
	v_cndmask_b32_e32 v18, v19, v18, vcc_lo
	v_cndmask_b32_e64 v19, 0, 1, vcc_lo
	s_delay_alu instid0(VALU_DEP_1)
	v_lshrrev_b64 v[12:13], v19, v[12:13]
; %bb.5554:                             ;   in Loop: Header=BB6_5167 Depth=3
	s_and_not1_saveexec_b32 s13, s13
; %bb.5555:                             ;   in Loop: Header=BB6_5167 Depth=3
	s_delay_alu instid0(VALU_DEP_1)
	v_bfe_u32 v18, v12, 23, 1
; %bb.5556:                             ;   in Loop: Header=BB6_5167 Depth=3
	s_or_b32 exec_lo, exec_lo, s13
	s_delay_alu instid0(VALU_DEP_2) | instskip(NEXT) | instid1(VALU_DEP_2)
	v_lshrrev_b64 v[12:13], 21, v[12:13]
	v_cmp_gt_i32_e32 vcc_lo, 32, v18
	v_min_i32_e32 v19, 31, v18
	v_cmp_eq_u32_e64 s13, 0, v18
	s_delay_alu instid0(VALU_DEP_2) | instskip(SKIP_1) | instid1(VALU_DEP_2)
	v_dual_cndmask_b32 v13, 0, v13, vcc_lo :: v_dual_lshlrev_b32 v19, 2, v19
	v_cndmask_b32_e32 v12, 3, v12, vcc_lo
	v_and_b32_e32 v19, 0xfc, v19
	s_delay_alu instid0(VALU_DEP_2) | instskip(NEXT) | instid1(VALU_DEP_2)
	v_cmp_eq_u64_e32 vcc_lo, 0, v[12:13]
	v_and_or_b32 v12, v12, 3, v19
	s_and_b32 s13, s13, vcc_lo
	s_delay_alu instid0(VALU_DEP_1) | instid1(SALU_CYCLE_1)
	v_cndmask_b32_e64 v12, v12, 0, s13
	s_delay_alu instid0(VALU_DEP_1)
	v_or_b32_e32 v48, v12, v20
.LBB6_5557:                             ;   in Loop: Header=BB6_5167 Depth=3
	s_or_b32 exec_lo, exec_lo, s72
                                        ; implicit-def: $vgpr20
.LBB6_5558:                             ;   in Loop: Header=BB6_5167 Depth=3
	s_and_not1_saveexec_b32 s13, s43
; %bb.5559:                             ;   in Loop: Header=BB6_5167 Depth=3
	v_or_b32_e32 v48, 0x7b, v20
; %bb.5560:                             ;   in Loop: Header=BB6_5167 Depth=3
	s_or_b32 exec_lo, exec_lo, s13
                                        ; implicit-def: $vgpr18
                                        ; implicit-def: $vgpr12_vgpr13
                                        ; implicit-def: $vgpr19
.LBB6_5561:                             ;   in Loop: Header=BB6_5167 Depth=3
	s_and_not1_saveexec_b32 s13, s42
	s_cbranch_execz .LBB6_5567
; %bb.5562:                             ;   in Loop: Header=BB6_5167 Depth=3
	s_mov_b32 s42, exec_lo
                                        ; implicit-def: $vgpr48
	v_cmpx_ne_u64_e32 0, v[12:13]
	s_xor_b32 s42, exec_lo, s42
; %bb.5563:                             ;   in Loop: Header=BB6_5167 Depth=3
	v_or_b32_e32 v48, 0x7f, v19
                                        ; implicit-def: $vgpr18
; %bb.5564:                             ;   in Loop: Header=BB6_5167 Depth=3
	s_and_not1_saveexec_b32 s42, s42
; %bb.5565:                             ;   in Loop: Header=BB6_5167 Depth=3
	v_cmp_lt_i32_e32 vcc_lo, -1, v18
	v_mov_b32_e32 v12, 0x7c
	s_delay_alu instid0(VALU_DEP_1)
	v_cndmask_b32_e32 v48, 0xfc, v12, vcc_lo
; %bb.5566:                             ;   in Loop: Header=BB6_5167 Depth=3
	s_or_b32 exec_lo, exec_lo, s42
.LBB6_5567:                             ;   in Loop: Header=BB6_5167 Depth=3
	s_delay_alu instid0(SALU_CYCLE_1) | instskip(SKIP_3) | instid1(VALU_DEP_2)
	s_or_b32 exec_lo, exec_lo, s13
	v_dual_mov_b32 v13, 0 :: v_dual_lshrrev_b32 v12, 16, v50
	v_mov_b32_e32 v18, 0
	s_mov_b32 s42, exec_lo
	v_and_b32_e32 v19, 0xff, v12
	s_delay_alu instid0(VALU_DEP_1)
	v_cmpx_ne_u16_e32 0, v19
	s_cbranch_execz .LBB6_5577
; %bb.5568:                             ;   in Loop: Header=BB6_5167 Depth=3
	v_bfrev_b32_e32 v18, 1
	s_mov_b32 s43, exec_lo
	v_cmpx_ne_u16_e32 0x80, v19
	s_cbranch_execz .LBB6_5576
; %bb.5569:                             ;   in Loop: Header=BB6_5167 Depth=3
	v_and_b32_e32 v18, 0x7c0000, v50
	v_bfe_u32 v19, v50, 16, 2
	s_delay_alu instid0(VALU_DEP_2) | instskip(SKIP_1) | instid1(SALU_CYCLE_1)
	v_cmp_ne_u32_e32 vcc_lo, 0x7c0000, v18
                                        ; implicit-def: $vgpr18
	s_and_saveexec_b32 s13, vcc_lo
	s_xor_b32 s13, exec_lo, s13
	s_cbranch_execz .LBB6_5573
; %bb.5570:                             ;   in Loop: Header=BB6_5167 Depth=3
	v_bfe_u32 v18, v50, 18, 5
	s_mov_b32 s72, exec_lo
	s_delay_alu instid0(VALU_DEP_1)
	v_cmpx_eq_u32_e32 0, v18
; %bb.5571:                             ;   in Loop: Header=BB6_5167 Depth=3
	v_clz_i32_u32_e32 v18, v19
	s_delay_alu instid0(VALU_DEP_1) | instskip(NEXT) | instid1(VALU_DEP_1)
	v_min_u32_e32 v18, 32, v18
	v_subrev_nc_u32_e32 v19, 29, v18
	v_sub_nc_u32_e32 v18, 30, v18
	s_delay_alu instid0(VALU_DEP_2) | instskip(NEXT) | instid1(VALU_DEP_1)
	v_lshlrev_b64_e32 v[22:23], v19, v[12:13]
	v_and_b32_e32 v19, 3, v22
; %bb.5572:                             ;   in Loop: Header=BB6_5167 Depth=3
	s_or_b32 exec_lo, exec_lo, s72
	v_lshlrev_b32_e32 v12, 24, v12
	s_delay_alu instid0(VALU_DEP_1) | instskip(NEXT) | instid1(VALU_DEP_1)
	v_and_b32_e32 v12, 0x80000000, v12
	v_lshl_add_u32 v12, v18, 23, v12
	s_delay_alu instid0(VALU_DEP_1) | instskip(NEXT) | instid1(VALU_DEP_1)
	v_lshl_or_b32 v12, v19, 21, v12
                                        ; implicit-def: $vgpr19
	v_add_nc_u32_e32 v18, 0x38000000, v12
                                        ; implicit-def: $vgpr12
.LBB6_5573:                             ;   in Loop: Header=BB6_5167 Depth=3
	s_and_not1_saveexec_b32 s72, s13
; %bb.5574:                             ;   in Loop: Header=BB6_5167 Depth=3
	v_bfe_i32 v12, v12, 0, 8
	v_cmp_eq_u32_e32 vcc_lo, 0, v19
	s_delay_alu instid0(VALU_DEP_2) | instskip(SKIP_1) | instid1(VALU_DEP_1)
	v_cmp_lt_i16_e64 s13, -1, v12
	v_mov_b32_e32 v12, 0x7f800000
	v_cndmask_b32_e64 v12, 0xff800000, v12, s13
	s_delay_alu instid0(VALU_DEP_1)
	v_cndmask_b32_e32 v18, 0x7f800001, v12, vcc_lo
; %bb.5575:                             ;   in Loop: Header=BB6_5167 Depth=3
	s_or_b32 exec_lo, exec_lo, s72
.LBB6_5576:                             ;   in Loop: Header=BB6_5167 Depth=3
	s_delay_alu instid0(SALU_CYCLE_1)
	s_or_b32 exec_lo, exec_lo, s43
.LBB6_5577:                             ;   in Loop: Header=BB6_5167 Depth=3
	s_delay_alu instid0(SALU_CYCLE_1) | instskip(SKIP_2) | instid1(VALU_DEP_1)
	s_or_b32 exec_lo, exec_lo, s42
	v_lshrrev_b32_e32 v12, 16, v38
	s_mov_b32 s42, exec_lo
	v_and_b32_e32 v19, 0xff, v12
	s_delay_alu instid0(VALU_DEP_1)
	v_cmpx_ne_u16_e32 0, v19
	s_cbranch_execz .LBB6_5587
; %bb.5578:                             ;   in Loop: Header=BB6_5167 Depth=3
	v_bfrev_b32_e32 v13, 1
	s_mov_b32 s43, exec_lo
	v_cmpx_ne_u16_e32 0x80, v19
	s_cbranch_execz .LBB6_5586
; %bb.5579:                             ;   in Loop: Header=BB6_5167 Depth=3
	v_and_b32_e32 v13, 0x7c0000, v38
	v_bfe_u32 v19, v38, 16, 2
	s_delay_alu instid0(VALU_DEP_2) | instskip(SKIP_1) | instid1(SALU_CYCLE_1)
	v_cmp_ne_u32_e32 vcc_lo, 0x7c0000, v13
                                        ; implicit-def: $vgpr13
	s_and_saveexec_b32 s13, vcc_lo
	s_xor_b32 s13, exec_lo, s13
	s_cbranch_execz .LBB6_5583
; %bb.5580:                             ;   in Loop: Header=BB6_5167 Depth=3
	v_bfe_u32 v13, v38, 18, 5
	s_mov_b32 s72, exec_lo
	s_delay_alu instid0(VALU_DEP_1)
	v_cmpx_eq_u32_e32 0, v13
; %bb.5581:                             ;   in Loop: Header=BB6_5167 Depth=3
	v_clz_i32_u32_e32 v13, v19
	s_delay_alu instid0(VALU_DEP_1) | instskip(NEXT) | instid1(VALU_DEP_1)
	v_min_u32_e32 v13, 32, v13
	v_subrev_nc_u32_e32 v19, 29, v13
	s_delay_alu instid0(VALU_DEP_1) | instskip(NEXT) | instid1(VALU_DEP_1)
	v_lshlrev_b64_e32 v[22:23], v19, v[12:13]
	v_dual_sub_nc_u32 v13, 30, v13 :: v_dual_bitop2_b32 v19, 3, v22 bitop3:0x40
; %bb.5582:                             ;   in Loop: Header=BB6_5167 Depth=3
	s_or_b32 exec_lo, exec_lo, s72
	v_lshlrev_b32_e32 v12, 24, v12
	s_delay_alu instid0(VALU_DEP_1) | instskip(NEXT) | instid1(VALU_DEP_1)
	v_and_b32_e32 v12, 0x80000000, v12
	v_lshl_add_u32 v12, v13, 23, v12
	s_delay_alu instid0(VALU_DEP_1) | instskip(NEXT) | instid1(VALU_DEP_1)
	v_lshl_or_b32 v12, v19, 21, v12
                                        ; implicit-def: $vgpr19
	v_add_nc_u32_e32 v13, 0x38000000, v12
                                        ; implicit-def: $vgpr12
.LBB6_5583:                             ;   in Loop: Header=BB6_5167 Depth=3
	s_and_not1_saveexec_b32 s72, s13
; %bb.5584:                             ;   in Loop: Header=BB6_5167 Depth=3
	v_bfe_i32 v12, v12, 0, 8
	v_cmp_eq_u32_e32 vcc_lo, 0, v19
	s_delay_alu instid0(VALU_DEP_2) | instskip(SKIP_1) | instid1(VALU_DEP_1)
	v_cmp_lt_i16_e64 s13, -1, v12
	v_mov_b32_e32 v12, 0x7f800000
	v_cndmask_b32_e64 v12, 0xff800000, v12, s13
	s_delay_alu instid0(VALU_DEP_1)
	v_cndmask_b32_e32 v13, 0x7f800001, v12, vcc_lo
; %bb.5585:                             ;   in Loop: Header=BB6_5167 Depth=3
	s_or_b32 exec_lo, exec_lo, s72
.LBB6_5586:                             ;   in Loop: Header=BB6_5167 Depth=3
	s_delay_alu instid0(SALU_CYCLE_1)
	s_or_b32 exec_lo, exec_lo, s43
.LBB6_5587:                             ;   in Loop: Header=BB6_5167 Depth=3
	s_delay_alu instid0(SALU_CYCLE_1) | instskip(NEXT) | instid1(VALU_DEP_1)
	s_or_b32 exec_lo, exec_lo, s42
	v_dual_mul_f32 v18, v18, v13 :: v_dual_mov_b32 v23, v21
	v_mov_b32_e32 v13, v21
                                        ; implicit-def: $vgpr49
	s_mov_b32 s13, exec_lo
	s_delay_alu instid0(VALU_DEP_2) | instskip(SKIP_2) | instid1(VALU_DEP_3)
	v_and_b32_e32 v22, 0x7f800000, v18
	v_and_b32_e32 v12, 0x7fffff, v18
	v_lshrrev_b32_e32 v19, 24, v18
	v_cmpx_ne_u64_e32 0x7f800000, v[22:23]
	s_xor_b32 s42, exec_lo, s13
	s_cbranch_execz .LBB6_5601
; %bb.5588:                             ;   in Loop: Header=BB6_5167 Depth=3
	v_and_b32_e32 v22, 0x7fffffff, v18
	v_mov_b32_e32 v23, v21
	v_and_b32_e32 v20, 0x80, v19
                                        ; implicit-def: $vgpr49
	s_mov_b32 s13, exec_lo
	s_delay_alu instid0(VALU_DEP_2)
	v_cmpx_gt_u64_e32 0x47600001, v[22:23]
	s_xor_b32 s43, exec_lo, s13
	s_cbranch_execz .LBB6_5598
; %bb.5589:                             ;   in Loop: Header=BB6_5167 Depth=3
	v_mov_b32_e32 v49, 0
	s_mov_b32 s72, exec_lo
	v_cmpx_ne_u32_e32 0, v18
	s_cbranch_execz .LBB6_5597
; %bb.5590:                             ;   in Loop: Header=BB6_5167 Depth=3
	v_bfe_u32 v22, v18, 23, 8
	v_or_b32_e32 v19, 0x800000, v12
	s_delay_alu instid0(VALU_DEP_2) | instskip(SKIP_2) | instid1(VALU_DEP_2)
	v_cmp_gt_u32_e64 s13, 0x72, v22
	v_sub_nc_u32_e32 v18, 0x71, v22
	v_cmp_eq_u32_e32 vcc_lo, 0, v22
	v_dual_cndmask_b32 v18, 0, v18, s13 :: v_dual_cndmask_b32 v12, v19, v12, vcc_lo
	s_delay_alu instid0(VALU_DEP_1) | instskip(NEXT) | instid1(VALU_DEP_1)
	v_cndmask_b32_e64 v23, v18, 0x70, vcc_lo
	v_dual_add_nc_u32 v18, 21, v23 :: v_dual_add_nc_u32 v49, 20, v23
	s_delay_alu instid0(VALU_DEP_1) | instskip(NEXT) | instid1(VALU_DEP_2)
	v_lshlrev_b64_e64 v[18:19], v18, -1
	v_lshlrev_b64_e64 v[66:67], v49, 1
	s_delay_alu instid0(VALU_DEP_2) | instskip(SKIP_1) | instid1(VALU_DEP_4)
	v_bfi_b32 v18, v18, 0, v12
	v_lshrrev_b64 v[12:13], v23, v[12:13]
	v_bfi_b32 v19, v19, 0, 0
	s_delay_alu instid0(VALU_DEP_1) | instskip(NEXT) | instid1(VALU_DEP_3)
	v_cmp_eq_u64_e64 s13, v[18:19], v[66:67]
	v_mov_b64_e32 v[18:19], v[12:13]
	s_and_saveexec_b32 s73, s13
; %bb.5591:                             ;   in Loop: Header=BB6_5167 Depth=3
	v_bfe_u32 v18, v12, 21, 1
	v_mov_b32_e32 v19, v21
	s_delay_alu instid0(VALU_DEP_1) | instskip(NEXT) | instid1(VALU_DEP_1)
	v_add_nc_u64_e32 v[18:19], v[12:13], v[18:19]
	v_add_nc_u64_e32 v[18:19], -1, v[18:19]
; %bb.5592:                             ;   in Loop: Header=BB6_5167 Depth=3
	s_or_b32 exec_lo, exec_lo, s73
	v_add_nc_u32_e32 v13, 0xffffff81, v22
	v_lshrrev_b32_e32 v19, 23, v12
	s_mov_b32 s13, exec_lo
	s_delay_alu instid0(VALU_DEP_2) | instskip(NEXT) | instid1(VALU_DEP_1)
	v_cndmask_b32_e64 v13, v13, 0xffffff82, vcc_lo
	v_add3_u32 v22, v23, v13, v19
	v_and_b32_e32 v13, 0x1fffff, v18
                                        ; implicit-def: $vgpr18
	s_delay_alu instid0(VALU_DEP_1) | instskip(SKIP_1) | instid1(VALU_DEP_2)
	v_dual_add_nc_u32 v19, 14, v22 :: v_dual_add_nc_u32 v12, v13, v12
	v_mov_b32_e32 v13, v21
	v_cmpx_ne_u32_e32 0, v19
	s_xor_b32 s13, exec_lo, s13
; %bb.5593:                             ;   in Loop: Header=BB6_5167 Depth=3
	s_delay_alu instid0(VALU_DEP_2) | instskip(SKIP_1) | instid1(VALU_DEP_1)
	v_cmp_lt_u64_e32 vcc_lo, 0xffffff, v[12:13]
	v_add_nc_u32_e32 v18, 15, v22
	v_cndmask_b32_e32 v18, v19, v18, vcc_lo
	v_cndmask_b32_e64 v19, 0, 1, vcc_lo
	s_delay_alu instid0(VALU_DEP_1)
	v_lshrrev_b64 v[12:13], v19, v[12:13]
; %bb.5594:                             ;   in Loop: Header=BB6_5167 Depth=3
	s_and_not1_saveexec_b32 s13, s13
; %bb.5595:                             ;   in Loop: Header=BB6_5167 Depth=3
	s_delay_alu instid0(VALU_DEP_1)
	v_bfe_u32 v18, v12, 23, 1
; %bb.5596:                             ;   in Loop: Header=BB6_5167 Depth=3
	s_or_b32 exec_lo, exec_lo, s13
	s_delay_alu instid0(VALU_DEP_2) | instskip(NEXT) | instid1(VALU_DEP_2)
	v_lshrrev_b64 v[12:13], 21, v[12:13]
	v_cmp_gt_i32_e32 vcc_lo, 32, v18
	v_min_i32_e32 v19, 31, v18
	v_cmp_eq_u32_e64 s13, 0, v18
	s_delay_alu instid0(VALU_DEP_2) | instskip(SKIP_1) | instid1(VALU_DEP_2)
	v_dual_cndmask_b32 v13, 0, v13, vcc_lo :: v_dual_lshlrev_b32 v19, 2, v19
	v_cndmask_b32_e32 v12, 3, v12, vcc_lo
	v_and_b32_e32 v19, 0xfc, v19
	s_delay_alu instid0(VALU_DEP_2) | instskip(NEXT) | instid1(VALU_DEP_2)
	v_cmp_eq_u64_e32 vcc_lo, 0, v[12:13]
	v_and_or_b32 v12, v12, 3, v19
	s_and_b32 s13, s13, vcc_lo
	s_delay_alu instid0(VALU_DEP_1) | instid1(SALU_CYCLE_1)
	v_cndmask_b32_e64 v12, v12, 0, s13
	s_delay_alu instid0(VALU_DEP_1)
	v_or_b32_e32 v49, v12, v20
.LBB6_5597:                             ;   in Loop: Header=BB6_5167 Depth=3
	s_or_b32 exec_lo, exec_lo, s72
                                        ; implicit-def: $vgpr20
.LBB6_5598:                             ;   in Loop: Header=BB6_5167 Depth=3
	s_and_not1_saveexec_b32 s13, s43
; %bb.5599:                             ;   in Loop: Header=BB6_5167 Depth=3
	v_or_b32_e32 v49, 0x7b, v20
; %bb.5600:                             ;   in Loop: Header=BB6_5167 Depth=3
	s_or_b32 exec_lo, exec_lo, s13
                                        ; implicit-def: $vgpr18
                                        ; implicit-def: $vgpr12_vgpr13
                                        ; implicit-def: $vgpr19
.LBB6_5601:                             ;   in Loop: Header=BB6_5167 Depth=3
	s_and_not1_saveexec_b32 s13, s42
	s_cbranch_execz .LBB6_5607
; %bb.5602:                             ;   in Loop: Header=BB6_5167 Depth=3
	s_mov_b32 s42, exec_lo
                                        ; implicit-def: $vgpr49
	v_cmpx_ne_u64_e32 0, v[12:13]
	s_xor_b32 s42, exec_lo, s42
; %bb.5603:                             ;   in Loop: Header=BB6_5167 Depth=3
	v_or_b32_e32 v49, 0x7f, v19
                                        ; implicit-def: $vgpr18
; %bb.5604:                             ;   in Loop: Header=BB6_5167 Depth=3
	s_and_not1_saveexec_b32 s42, s42
; %bb.5605:                             ;   in Loop: Header=BB6_5167 Depth=3
	v_cmp_lt_i32_e32 vcc_lo, -1, v18
	v_mov_b32_e32 v12, 0x7c
	s_delay_alu instid0(VALU_DEP_1)
	v_cndmask_b32_e32 v49, 0xfc, v12, vcc_lo
; %bb.5606:                             ;   in Loop: Header=BB6_5167 Depth=3
	s_or_b32 exec_lo, exec_lo, s42
.LBB6_5607:                             ;   in Loop: Header=BB6_5167 Depth=3
	s_delay_alu instid0(SALU_CYCLE_1)
	s_or_b32 exec_lo, exec_lo, s13
	v_dual_mov_b32 v13, 0 :: v_dual_mov_b32 v18, 0
	s_mov_b32 s42, exec_lo
	v_cmpx_lt_u32_e32 0xffffff, v50
	s_cbranch_execz .LBB6_5617
; %bb.5608:                             ;   in Loop: Header=BB6_5167 Depth=3
	v_lshrrev_b32_e32 v12, 24, v50
	v_bfrev_b32_e32 v18, 1
	s_mov_b32 s43, exec_lo
	s_delay_alu instid0(VALU_DEP_2)
	v_cmpx_ne_u32_e32 0x80, v12
	s_cbranch_execz .LBB6_5616
; %bb.5609:                             ;   in Loop: Header=BB6_5167 Depth=3
	v_and_b32_e32 v18, 0x7c000000, v50
	v_bfe_u32 v19, v50, 24, 2
	s_delay_alu instid0(VALU_DEP_2) | instskip(SKIP_1) | instid1(SALU_CYCLE_1)
	v_cmp_ne_u32_e32 vcc_lo, 0x7c000000, v18
                                        ; implicit-def: $vgpr18
	s_and_saveexec_b32 s13, vcc_lo
	s_xor_b32 s13, exec_lo, s13
	s_cbranch_execz .LBB6_5613
; %bb.5610:                             ;   in Loop: Header=BB6_5167 Depth=3
	v_bfe_u32 v18, v50, 26, 5
	s_mov_b32 s72, exec_lo
	s_delay_alu instid0(VALU_DEP_1)
	v_cmpx_eq_u32_e32 0, v18
; %bb.5611:                             ;   in Loop: Header=BB6_5167 Depth=3
	v_clz_i32_u32_e32 v18, v19
	s_delay_alu instid0(VALU_DEP_1) | instskip(NEXT) | instid1(VALU_DEP_1)
	v_min_u32_e32 v18, 32, v18
	v_subrev_nc_u32_e32 v19, 29, v18
	v_sub_nc_u32_e32 v18, 30, v18
	s_delay_alu instid0(VALU_DEP_2) | instskip(NEXT) | instid1(VALU_DEP_1)
	v_lshlrev_b64_e32 v[22:23], v19, v[12:13]
	v_and_b32_e32 v19, 3, v22
; %bb.5612:                             ;   in Loop: Header=BB6_5167 Depth=3
	s_or_b32 exec_lo, exec_lo, s72
	v_and_b32_e32 v12, 0x80000000, v50
	s_delay_alu instid0(VALU_DEP_1) | instskip(NEXT) | instid1(VALU_DEP_1)
	v_lshl_add_u32 v12, v18, 23, v12
	v_lshl_or_b32 v12, v19, 21, v12
                                        ; implicit-def: $vgpr19
	s_delay_alu instid0(VALU_DEP_1)
	v_add_nc_u32_e32 v18, 0x38000000, v12
.LBB6_5613:                             ;   in Loop: Header=BB6_5167 Depth=3
	s_and_not1_saveexec_b32 s72, s13
; %bb.5614:                             ;   in Loop: Header=BB6_5167 Depth=3
	v_cmp_lt_i32_e64 s13, -1, v50
	v_mov_b32_e32 v12, 0x7f800000
	v_cmp_eq_u32_e32 vcc_lo, 0, v19
	s_delay_alu instid0(VALU_DEP_2) | instskip(NEXT) | instid1(VALU_DEP_1)
	v_cndmask_b32_e64 v12, 0xff800000, v12, s13
	v_cndmask_b32_e32 v18, 0x7f800001, v12, vcc_lo
; %bb.5615:                             ;   in Loop: Header=BB6_5167 Depth=3
	s_or_b32 exec_lo, exec_lo, s72
.LBB6_5616:                             ;   in Loop: Header=BB6_5167 Depth=3
	s_delay_alu instid0(SALU_CYCLE_1)
	s_or_b32 exec_lo, exec_lo, s43
.LBB6_5617:                             ;   in Loop: Header=BB6_5167 Depth=3
	s_delay_alu instid0(SALU_CYCLE_1) | instskip(NEXT) | instid1(SALU_CYCLE_1)
	s_or_b32 exec_lo, exec_lo, s42
	s_mov_b32 s42, exec_lo
	v_cmpx_lt_u32_e32 0xffffff, v38
	s_cbranch_execz .LBB6_5627
; %bb.5618:                             ;   in Loop: Header=BB6_5167 Depth=3
	v_lshrrev_b32_e32 v12, 24, v38
	v_bfrev_b32_e32 v13, 1
	s_mov_b32 s43, exec_lo
	s_delay_alu instid0(VALU_DEP_2)
	v_cmpx_ne_u32_e32 0x80, v12
	s_cbranch_execz .LBB6_5626
; %bb.5619:                             ;   in Loop: Header=BB6_5167 Depth=3
	v_and_b32_e32 v13, 0x7c000000, v38
	v_bfe_u32 v19, v38, 24, 2
	s_delay_alu instid0(VALU_DEP_2) | instskip(SKIP_1) | instid1(SALU_CYCLE_1)
	v_cmp_ne_u32_e32 vcc_lo, 0x7c000000, v13
                                        ; implicit-def: $vgpr13
	s_and_saveexec_b32 s13, vcc_lo
	s_xor_b32 s13, exec_lo, s13
	s_cbranch_execz .LBB6_5623
; %bb.5620:                             ;   in Loop: Header=BB6_5167 Depth=3
	v_bfe_u32 v13, v38, 26, 5
	s_mov_b32 s72, exec_lo
	s_delay_alu instid0(VALU_DEP_1)
	v_cmpx_eq_u32_e32 0, v13
; %bb.5621:                             ;   in Loop: Header=BB6_5167 Depth=3
	v_clz_i32_u32_e32 v13, v19
	s_delay_alu instid0(VALU_DEP_1) | instskip(NEXT) | instid1(VALU_DEP_1)
	v_min_u32_e32 v19, 32, v13
	v_subrev_nc_u32_e32 v13, 29, v19
	s_delay_alu instid0(VALU_DEP_1) | instskip(NEXT) | instid1(VALU_DEP_1)
	v_lshlrev_b64_e32 v[12:13], v13, v[12:13]
	v_dual_sub_nc_u32 v13, 30, v19 :: v_dual_bitop2_b32 v19, 3, v12 bitop3:0x40
; %bb.5622:                             ;   in Loop: Header=BB6_5167 Depth=3
	s_or_b32 exec_lo, exec_lo, s72
	v_and_b32_e32 v12, 0x80000000, v38
	s_delay_alu instid0(VALU_DEP_1) | instskip(NEXT) | instid1(VALU_DEP_1)
	v_lshl_add_u32 v12, v13, 23, v12
	v_lshl_or_b32 v12, v19, 21, v12
                                        ; implicit-def: $vgpr19
	s_delay_alu instid0(VALU_DEP_1)
	v_add_nc_u32_e32 v13, 0x38000000, v12
.LBB6_5623:                             ;   in Loop: Header=BB6_5167 Depth=3
	s_and_not1_saveexec_b32 s72, s13
; %bb.5624:                             ;   in Loop: Header=BB6_5167 Depth=3
	v_cmp_lt_i32_e64 s13, -1, v38
	v_mov_b32_e32 v12, 0x7f800000
	v_cmp_eq_u32_e32 vcc_lo, 0, v19
	s_delay_alu instid0(VALU_DEP_2) | instskip(NEXT) | instid1(VALU_DEP_1)
	v_cndmask_b32_e64 v12, 0xff800000, v12, s13
	v_cndmask_b32_e32 v13, 0x7f800001, v12, vcc_lo
; %bb.5625:                             ;   in Loop: Header=BB6_5167 Depth=3
	s_or_b32 exec_lo, exec_lo, s72
.LBB6_5626:                             ;   in Loop: Header=BB6_5167 Depth=3
	s_delay_alu instid0(SALU_CYCLE_1)
	s_or_b32 exec_lo, exec_lo, s43
.LBB6_5627:                             ;   in Loop: Header=BB6_5167 Depth=3
	s_delay_alu instid0(SALU_CYCLE_1) | instskip(NEXT) | instid1(VALU_DEP_1)
	s_or_b32 exec_lo, exec_lo, s42
	v_dual_mul_f32 v18, v18, v13 :: v_dual_mov_b32 v23, v21
	v_mov_b32_e32 v13, v21
                                        ; implicit-def: $vgpr65
	s_mov_b32 s13, exec_lo
	s_delay_alu instid0(VALU_DEP_2) | instskip(SKIP_2) | instid1(VALU_DEP_3)
	v_and_b32_e32 v22, 0x7f800000, v18
	v_and_b32_e32 v12, 0x7fffff, v18
	v_lshrrev_b32_e32 v19, 24, v18
	v_cmpx_ne_u64_e32 0x7f800000, v[22:23]
	s_xor_b32 s42, exec_lo, s13
	s_cbranch_execz .LBB6_5641
; %bb.5628:                             ;   in Loop: Header=BB6_5167 Depth=3
	v_and_b32_e32 v22, 0x7fffffff, v18
	v_mov_b32_e32 v23, v21
	v_and_b32_e32 v20, 0x80, v19
                                        ; implicit-def: $vgpr65
	s_mov_b32 s13, exec_lo
	s_delay_alu instid0(VALU_DEP_2)
	v_cmpx_gt_u64_e32 0x47600001, v[22:23]
	s_xor_b32 s43, exec_lo, s13
	s_cbranch_execz .LBB6_5638
; %bb.5629:                             ;   in Loop: Header=BB6_5167 Depth=3
	v_mov_b32_e32 v65, 0
	s_mov_b32 s72, exec_lo
	v_cmpx_ne_u32_e32 0, v18
	s_cbranch_execz .LBB6_5637
; %bb.5630:                             ;   in Loop: Header=BB6_5167 Depth=3
	v_bfe_u32 v22, v18, 23, 8
	v_or_b32_e32 v19, 0x800000, v12
	s_delay_alu instid0(VALU_DEP_2) | instskip(SKIP_2) | instid1(VALU_DEP_2)
	v_cmp_gt_u32_e64 s13, 0x72, v22
	v_sub_nc_u32_e32 v18, 0x71, v22
	v_cmp_eq_u32_e32 vcc_lo, 0, v22
	v_dual_cndmask_b32 v18, 0, v18, s13 :: v_dual_cndmask_b32 v12, v19, v12, vcc_lo
	s_delay_alu instid0(VALU_DEP_1) | instskip(NEXT) | instid1(VALU_DEP_1)
	v_cndmask_b32_e64 v23, v18, 0x70, vcc_lo
	v_dual_add_nc_u32 v18, 21, v23 :: v_dual_add_nc_u32 v65, 20, v23
	s_delay_alu instid0(VALU_DEP_1) | instskip(NEXT) | instid1(VALU_DEP_2)
	v_lshlrev_b64_e64 v[18:19], v18, -1
	v_lshlrev_b64_e64 v[66:67], v65, 1
	s_delay_alu instid0(VALU_DEP_2) | instskip(SKIP_1) | instid1(VALU_DEP_4)
	v_bfi_b32 v18, v18, 0, v12
	v_lshrrev_b64 v[12:13], v23, v[12:13]
	v_bfi_b32 v19, v19, 0, 0
	s_delay_alu instid0(VALU_DEP_1) | instskip(NEXT) | instid1(VALU_DEP_3)
	v_cmp_eq_u64_e64 s13, v[18:19], v[66:67]
	v_mov_b64_e32 v[18:19], v[12:13]
	s_and_saveexec_b32 s73, s13
; %bb.5631:                             ;   in Loop: Header=BB6_5167 Depth=3
	v_bfe_u32 v18, v12, 21, 1
	v_mov_b32_e32 v19, v21
	s_delay_alu instid0(VALU_DEP_1) | instskip(NEXT) | instid1(VALU_DEP_1)
	v_add_nc_u64_e32 v[18:19], v[12:13], v[18:19]
	v_add_nc_u64_e32 v[18:19], -1, v[18:19]
; %bb.5632:                             ;   in Loop: Header=BB6_5167 Depth=3
	s_or_b32 exec_lo, exec_lo, s73
	v_add_nc_u32_e32 v13, 0xffffff81, v22
	v_lshrrev_b32_e32 v19, 23, v12
	s_mov_b32 s13, exec_lo
	s_delay_alu instid0(VALU_DEP_2) | instskip(NEXT) | instid1(VALU_DEP_1)
	v_cndmask_b32_e64 v13, v13, 0xffffff82, vcc_lo
	v_add3_u32 v22, v23, v13, v19
	v_and_b32_e32 v13, 0x1fffff, v18
                                        ; implicit-def: $vgpr18
	s_delay_alu instid0(VALU_DEP_1) | instskip(SKIP_1) | instid1(VALU_DEP_2)
	v_dual_add_nc_u32 v19, 14, v22 :: v_dual_add_nc_u32 v12, v13, v12
	v_mov_b32_e32 v13, v21
	v_cmpx_ne_u32_e32 0, v19
	s_xor_b32 s13, exec_lo, s13
; %bb.5633:                             ;   in Loop: Header=BB6_5167 Depth=3
	s_delay_alu instid0(VALU_DEP_2) | instskip(SKIP_1) | instid1(VALU_DEP_1)
	v_cmp_lt_u64_e32 vcc_lo, 0xffffff, v[12:13]
	v_add_nc_u32_e32 v18, 15, v22
	v_cndmask_b32_e32 v18, v19, v18, vcc_lo
	v_cndmask_b32_e64 v19, 0, 1, vcc_lo
	s_delay_alu instid0(VALU_DEP_1)
	v_lshrrev_b64 v[12:13], v19, v[12:13]
; %bb.5634:                             ;   in Loop: Header=BB6_5167 Depth=3
	s_and_not1_saveexec_b32 s13, s13
; %bb.5635:                             ;   in Loop: Header=BB6_5167 Depth=3
	s_delay_alu instid0(VALU_DEP_1)
	v_bfe_u32 v18, v12, 23, 1
; %bb.5636:                             ;   in Loop: Header=BB6_5167 Depth=3
	s_or_b32 exec_lo, exec_lo, s13
	s_delay_alu instid0(VALU_DEP_2) | instskip(NEXT) | instid1(VALU_DEP_2)
	v_lshrrev_b64 v[12:13], 21, v[12:13]
	v_cmp_gt_i32_e32 vcc_lo, 32, v18
	v_min_i32_e32 v19, 31, v18
	v_cmp_eq_u32_e64 s13, 0, v18
	s_delay_alu instid0(VALU_DEP_2) | instskip(SKIP_1) | instid1(VALU_DEP_2)
	v_dual_cndmask_b32 v13, 0, v13, vcc_lo :: v_dual_lshlrev_b32 v19, 2, v19
	v_cndmask_b32_e32 v12, 3, v12, vcc_lo
	v_and_b32_e32 v19, 0xfc, v19
	s_delay_alu instid0(VALU_DEP_2) | instskip(NEXT) | instid1(VALU_DEP_2)
	v_cmp_eq_u64_e32 vcc_lo, 0, v[12:13]
	v_and_or_b32 v12, v12, 3, v19
	s_and_b32 s13, s13, vcc_lo
	s_delay_alu instid0(VALU_DEP_1) | instid1(SALU_CYCLE_1)
	v_cndmask_b32_e64 v12, v12, 0, s13
	s_delay_alu instid0(VALU_DEP_1)
	v_or_b32_e32 v65, v12, v20
.LBB6_5637:                             ;   in Loop: Header=BB6_5167 Depth=3
	s_or_b32 exec_lo, exec_lo, s72
                                        ; implicit-def: $vgpr20
.LBB6_5638:                             ;   in Loop: Header=BB6_5167 Depth=3
	s_and_not1_saveexec_b32 s13, s43
; %bb.5639:                             ;   in Loop: Header=BB6_5167 Depth=3
	v_or_b32_e32 v65, 0x7b, v20
; %bb.5640:                             ;   in Loop: Header=BB6_5167 Depth=3
	s_or_b32 exec_lo, exec_lo, s13
                                        ; implicit-def: $vgpr18
                                        ; implicit-def: $vgpr12_vgpr13
                                        ; implicit-def: $vgpr19
.LBB6_5641:                             ;   in Loop: Header=BB6_5167 Depth=3
	s_and_not1_saveexec_b32 s13, s42
	s_cbranch_execz .LBB6_5647
; %bb.5642:                             ;   in Loop: Header=BB6_5167 Depth=3
	s_mov_b32 s42, exec_lo
                                        ; implicit-def: $vgpr65
	v_cmpx_ne_u64_e32 0, v[12:13]
	s_xor_b32 s42, exec_lo, s42
; %bb.5643:                             ;   in Loop: Header=BB6_5167 Depth=3
	v_or_b32_e32 v65, 0x7f, v19
                                        ; implicit-def: $vgpr18
; %bb.5644:                             ;   in Loop: Header=BB6_5167 Depth=3
	s_and_not1_saveexec_b32 s42, s42
; %bb.5645:                             ;   in Loop: Header=BB6_5167 Depth=3
	v_cmp_lt_i32_e32 vcc_lo, -1, v18
	v_mov_b32_e32 v12, 0x7c
	s_delay_alu instid0(VALU_DEP_1)
	v_cndmask_b32_e32 v65, 0xfc, v12, vcc_lo
; %bb.5646:                             ;   in Loop: Header=BB6_5167 Depth=3
	s_or_b32 exec_lo, exec_lo, s42
.LBB6_5647:                             ;   in Loop: Header=BB6_5167 Depth=3
	s_delay_alu instid0(SALU_CYCLE_1) | instskip(SKIP_4) | instid1(VALU_DEP_3)
	s_or_b32 exec_lo, exec_lo, s13
	v_and_b32_e32 v20, 0xff, v51
	v_dual_mov_b32 v12, v51 :: v_dual_mov_b32 v13, v21
	v_dual_mov_b32 v19, 0 :: v_dual_mov_b32 v18, 0
	s_mov_b32 s42, exec_lo
	v_cmpx_ne_u16_e32 0, v20
	s_cbranch_execz .LBB6_5657
; %bb.5648:                             ;   in Loop: Header=BB6_5167 Depth=3
	v_bfrev_b32_e32 v18, 1
	s_mov_b32 s43, exec_lo
	v_cmpx_ne_u16_e32 0x80, v20
	s_cbranch_execz .LBB6_5656
; %bb.5649:                             ;   in Loop: Header=BB6_5167 Depth=3
	v_and_b32_e32 v18, 0x7c, v51
	v_and_b32_e32 v20, 3, v51
	s_delay_alu instid0(VALU_DEP_2) | instskip(SKIP_1) | instid1(SALU_CYCLE_1)
	v_cmp_ne_u32_e32 vcc_lo, 0x7c, v18
                                        ; implicit-def: $vgpr18
	s_and_saveexec_b32 s13, vcc_lo
	s_xor_b32 s13, exec_lo, s13
	s_cbranch_execz .LBB6_5653
; %bb.5650:                             ;   in Loop: Header=BB6_5167 Depth=3
	v_bfe_u32 v18, v51, 2, 5
	s_mov_b32 s72, exec_lo
	s_delay_alu instid0(VALU_DEP_1)
	v_cmpx_eq_u32_e32 0, v18
; %bb.5651:                             ;   in Loop: Header=BB6_5167 Depth=3
	v_clz_i32_u32_e32 v18, v20
	s_delay_alu instid0(VALU_DEP_1) | instskip(NEXT) | instid1(VALU_DEP_1)
	v_min_u32_e32 v18, 32, v18
	v_subrev_nc_u32_e32 v20, 29, v18
	v_sub_nc_u32_e32 v18, 30, v18
	s_delay_alu instid0(VALU_DEP_2) | instskip(NEXT) | instid1(VALU_DEP_1)
	v_lshlrev_b64_e32 v[22:23], v20, v[12:13]
	v_and_b32_e32 v20, 3, v22
; %bb.5652:                             ;   in Loop: Header=BB6_5167 Depth=3
	s_or_b32 exec_lo, exec_lo, s72
	v_lshlrev_b32_e32 v13, 24, v51
	s_delay_alu instid0(VALU_DEP_1) | instskip(NEXT) | instid1(VALU_DEP_1)
	v_and_b32_e32 v13, 0x80000000, v13
	v_lshl_add_u32 v13, v18, 23, v13
	s_delay_alu instid0(VALU_DEP_1) | instskip(NEXT) | instid1(VALU_DEP_1)
	v_lshl_or_b32 v13, v20, 21, v13
                                        ; implicit-def: $vgpr20
	v_add_nc_u32_e32 v18, 0x38000000, v13
.LBB6_5653:                             ;   in Loop: Header=BB6_5167 Depth=3
	s_and_not1_saveexec_b32 s72, s13
; %bb.5654:                             ;   in Loop: Header=BB6_5167 Depth=3
	v_bfe_i32 v13, v51, 0, 8
	v_cmp_eq_u32_e32 vcc_lo, 0, v20
	s_delay_alu instid0(VALU_DEP_2) | instskip(SKIP_1) | instid1(VALU_DEP_1)
	v_cmp_lt_i16_e64 s13, -1, v13
	v_mov_b32_e32 v13, 0x7f800000
	v_cndmask_b32_e64 v13, 0xff800000, v13, s13
	s_delay_alu instid0(VALU_DEP_1)
	v_cndmask_b32_e32 v18, 0x7f800001, v13, vcc_lo
; %bb.5655:                             ;   in Loop: Header=BB6_5167 Depth=3
	s_or_b32 exec_lo, exec_lo, s72
.LBB6_5656:                             ;   in Loop: Header=BB6_5167 Depth=3
	s_delay_alu instid0(SALU_CYCLE_1)
	s_or_b32 exec_lo, exec_lo, s43
.LBB6_5657:                             ;   in Loop: Header=BB6_5167 Depth=3
	s_delay_alu instid0(SALU_CYCLE_1) | instskip(SKIP_2) | instid1(VALU_DEP_1)
	s_or_b32 exec_lo, exec_lo, s42
	v_and_b32_e32 v13, 0xff, v39
	s_mov_b32 s42, exec_lo
	v_cmpx_ne_u16_e32 0, v13
	s_cbranch_execz .LBB6_5667
; %bb.5658:                             ;   in Loop: Header=BB6_5167 Depth=3
	v_bfrev_b32_e32 v19, 1
	s_mov_b32 s43, exec_lo
	v_cmpx_ne_u16_e32 0x80, v13
	s_cbranch_execz .LBB6_5666
; %bb.5659:                             ;   in Loop: Header=BB6_5167 Depth=3
	v_and_b32_e32 v19, 0x7c, v39
	v_and_b32_e32 v13, 3, v39
	s_delay_alu instid0(VALU_DEP_2) | instskip(SKIP_1) | instid1(SALU_CYCLE_1)
	v_cmp_ne_u32_e32 vcc_lo, 0x7c, v19
                                        ; implicit-def: $vgpr19
	s_and_saveexec_b32 s13, vcc_lo
	s_xor_b32 s13, exec_lo, s13
	s_cbranch_execz .LBB6_5663
; %bb.5660:                             ;   in Loop: Header=BB6_5167 Depth=3
	v_bfe_u32 v19, v39, 2, 5
	s_mov_b32 s72, exec_lo
	s_delay_alu instid0(VALU_DEP_1)
	v_cmpx_eq_u32_e32 0, v19
; %bb.5661:                             ;   in Loop: Header=BB6_5167 Depth=3
	v_clz_i32_u32_e32 v13, v13
	v_dual_mov_b32 v22, v39 :: v_dual_mov_b32 v23, v21
	s_delay_alu instid0(VALU_DEP_2) | instskip(NEXT) | instid1(VALU_DEP_1)
	v_min_u32_e32 v13, 32, v13
	v_subrev_nc_u32_e32 v19, 29, v13
	s_delay_alu instid0(VALU_DEP_1) | instskip(NEXT) | instid1(VALU_DEP_1)
	v_lshlrev_b64_e32 v[22:23], v19, v[22:23]
	v_dual_sub_nc_u32 v19, 30, v13 :: v_dual_bitop2_b32 v13, 3, v22 bitop3:0x40
; %bb.5662:                             ;   in Loop: Header=BB6_5167 Depth=3
	s_or_b32 exec_lo, exec_lo, s72
	v_lshlrev_b32_e32 v20, 24, v39
	s_delay_alu instid0(VALU_DEP_1) | instskip(NEXT) | instid1(VALU_DEP_1)
	v_and_b32_e32 v20, 0x80000000, v20
	v_lshl_add_u32 v19, v19, 23, v20
	s_delay_alu instid0(VALU_DEP_1) | instskip(NEXT) | instid1(VALU_DEP_1)
	v_lshl_or_b32 v13, v13, 21, v19
	v_add_nc_u32_e32 v19, 0x38000000, v13
                                        ; implicit-def: $vgpr13
.LBB6_5663:                             ;   in Loop: Header=BB6_5167 Depth=3
	s_and_not1_saveexec_b32 s72, s13
; %bb.5664:                             ;   in Loop: Header=BB6_5167 Depth=3
	v_bfe_i32 v19, v39, 0, 8
	v_cmp_eq_u32_e32 vcc_lo, 0, v13
	v_mov_b32_e32 v13, 0x7f800000
	s_delay_alu instid0(VALU_DEP_3) | instskip(NEXT) | instid1(VALU_DEP_1)
	v_cmp_lt_i16_e64 s13, -1, v19
	v_cndmask_b32_e64 v13, 0xff800000, v13, s13
	s_delay_alu instid0(VALU_DEP_1)
	v_cndmask_b32_e32 v19, 0x7f800001, v13, vcc_lo
; %bb.5665:                             ;   in Loop: Header=BB6_5167 Depth=3
	s_or_b32 exec_lo, exec_lo, s72
.LBB6_5666:                             ;   in Loop: Header=BB6_5167 Depth=3
	s_delay_alu instid0(SALU_CYCLE_1)
	s_or_b32 exec_lo, exec_lo, s43
.LBB6_5667:                             ;   in Loop: Header=BB6_5167 Depth=3
	s_delay_alu instid0(SALU_CYCLE_1) | instskip(NEXT) | instid1(VALU_DEP_1)
	s_or_b32 exec_lo, exec_lo, s42
	v_dual_mul_f32 v20, v18, v19 :: v_dual_mov_b32 v23, v21
	v_mov_b32_e32 v19, v21
                                        ; implicit-def: $vgpr66
	s_mov_b32 s13, exec_lo
	s_delay_alu instid0(VALU_DEP_2) | instskip(SKIP_2) | instid1(VALU_DEP_3)
	v_and_b32_e32 v22, 0x7f800000, v20
	v_and_b32_e32 v18, 0x7fffff, v20
	v_lshrrev_b32_e32 v13, 24, v20
	v_cmpx_ne_u64_e32 0x7f800000, v[22:23]
	s_xor_b32 s42, exec_lo, s13
	s_cbranch_execz .LBB6_5681
; %bb.5668:                             ;   in Loop: Header=BB6_5167 Depth=3
	v_and_b32_e32 v22, 0x7fffffff, v20
	v_mov_b32_e32 v23, v21
	v_and_b32_e32 v13, 0x80, v13
                                        ; implicit-def: $vgpr66
	s_mov_b32 s13, exec_lo
	s_delay_alu instid0(VALU_DEP_2)
	v_cmpx_gt_u64_e32 0x47600001, v[22:23]
	s_xor_b32 s43, exec_lo, s13
	s_cbranch_execz .LBB6_5678
; %bb.5669:                             ;   in Loop: Header=BB6_5167 Depth=3
	v_mov_b32_e32 v66, 0
	s_mov_b32 s72, exec_lo
	v_cmpx_ne_u32_e32 0, v20
	s_cbranch_execz .LBB6_5677
; %bb.5670:                             ;   in Loop: Header=BB6_5167 Depth=3
	v_bfe_u32 v20, v20, 23, 8
	v_or_b32_e32 v23, 0x800000, v18
	s_delay_alu instid0(VALU_DEP_2) | instskip(SKIP_2) | instid1(VALU_DEP_2)
	v_cmp_gt_u32_e64 s13, 0x72, v20
	v_sub_nc_u32_e32 v22, 0x71, v20
	v_cmp_eq_u32_e32 vcc_lo, 0, v20
	v_cndmask_b32_e64 v22, 0, v22, s13
	v_cndmask_b32_e32 v18, v23, v18, vcc_lo
	s_delay_alu instid0(VALU_DEP_2) | instskip(NEXT) | instid1(VALU_DEP_1)
	v_cndmask_b32_e64 v66, v22, 0x70, vcc_lo
	v_dual_add_nc_u32 v22, 21, v66 :: v_dual_add_nc_u32 v67, 20, v66
	s_delay_alu instid0(VALU_DEP_1) | instskip(NEXT) | instid1(VALU_DEP_2)
	v_lshlrev_b64_e64 v[22:23], v22, -1
	v_lshlrev_b64_e64 v[68:69], v67, 1
	s_delay_alu instid0(VALU_DEP_2) | instskip(SKIP_1) | instid1(VALU_DEP_4)
	v_bfi_b32 v22, v22, 0, v18
	v_lshrrev_b64 v[18:19], v66, v[18:19]
	v_bfi_b32 v23, v23, 0, 0
	s_delay_alu instid0(VALU_DEP_1) | instskip(NEXT) | instid1(VALU_DEP_3)
	v_cmp_eq_u64_e64 s13, v[22:23], v[68:69]
	v_mov_b64_e32 v[22:23], v[18:19]
	s_and_saveexec_b32 s73, s13
; %bb.5671:                             ;   in Loop: Header=BB6_5167 Depth=3
	v_bfe_u32 v22, v18, 21, 1
	v_mov_b32_e32 v23, v21
	s_delay_alu instid0(VALU_DEP_1) | instskip(NEXT) | instid1(VALU_DEP_1)
	v_add_nc_u64_e32 v[22:23], v[18:19], v[22:23]
	v_add_nc_u64_e32 v[22:23], -1, v[22:23]
; %bb.5672:                             ;   in Loop: Header=BB6_5167 Depth=3
	s_or_b32 exec_lo, exec_lo, s73
	v_add_nc_u32_e32 v19, 0xffffff81, v20
	v_lshrrev_b32_e32 v20, 23, v18
	s_mov_b32 s13, exec_lo
	s_delay_alu instid0(VALU_DEP_2) | instskip(NEXT) | instid1(VALU_DEP_1)
	v_cndmask_b32_e64 v19, v19, 0xffffff82, vcc_lo
	v_add3_u32 v23, v66, v19, v20
	v_and_b32_e32 v19, 0x1fffff, v22
                                        ; implicit-def: $vgpr20
	s_delay_alu instid0(VALU_DEP_1) | instskip(SKIP_1) | instid1(VALU_DEP_2)
	v_dual_add_nc_u32 v22, 14, v23 :: v_dual_add_nc_u32 v18, v19, v18
	v_mov_b32_e32 v19, v21
	v_cmpx_ne_u32_e32 0, v22
	s_xor_b32 s13, exec_lo, s13
; %bb.5673:                             ;   in Loop: Header=BB6_5167 Depth=3
	s_delay_alu instid0(VALU_DEP_2) | instskip(SKIP_1) | instid1(VALU_DEP_1)
	v_cmp_lt_u64_e32 vcc_lo, 0xffffff, v[18:19]
	v_add_nc_u32_e32 v20, 15, v23
	v_cndmask_b32_e32 v20, v22, v20, vcc_lo
	v_cndmask_b32_e64 v22, 0, 1, vcc_lo
	s_delay_alu instid0(VALU_DEP_1)
	v_lshrrev_b64 v[18:19], v22, v[18:19]
; %bb.5674:                             ;   in Loop: Header=BB6_5167 Depth=3
	s_and_not1_saveexec_b32 s13, s13
; %bb.5675:                             ;   in Loop: Header=BB6_5167 Depth=3
	s_delay_alu instid0(VALU_DEP_1)
	v_bfe_u32 v20, v18, 23, 1
; %bb.5676:                             ;   in Loop: Header=BB6_5167 Depth=3
	s_or_b32 exec_lo, exec_lo, s13
	s_delay_alu instid0(VALU_DEP_2) | instskip(NEXT) | instid1(VALU_DEP_2)
	v_lshrrev_b64 v[18:19], 21, v[18:19]
	v_cmp_gt_i32_e32 vcc_lo, 32, v20
	v_min_i32_e32 v22, 31, v20
	v_cmp_eq_u32_e64 s13, 0, v20
	s_delay_alu instid0(VALU_DEP_2) | instskip(SKIP_1) | instid1(VALU_DEP_2)
	v_dual_cndmask_b32 v19, 0, v19 :: v_dual_lshlrev_b32 v22, 2, v22
	v_cndmask_b32_e32 v18, 3, v18, vcc_lo
	v_and_b32_e32 v22, 0xfc, v22
	s_delay_alu instid0(VALU_DEP_2) | instskip(NEXT) | instid1(VALU_DEP_2)
	v_cmp_eq_u64_e32 vcc_lo, 0, v[18:19]
	v_and_or_b32 v18, v18, 3, v22
	s_and_b32 s13, s13, vcc_lo
	s_delay_alu instid0(VALU_DEP_1) | instid1(SALU_CYCLE_1)
	v_cndmask_b32_e64 v18, v18, 0, s13
	s_delay_alu instid0(VALU_DEP_1)
	v_or_b32_e32 v66, v18, v13
.LBB6_5677:                             ;   in Loop: Header=BB6_5167 Depth=3
	s_or_b32 exec_lo, exec_lo, s72
                                        ; implicit-def: $vgpr13
.LBB6_5678:                             ;   in Loop: Header=BB6_5167 Depth=3
	s_and_not1_saveexec_b32 s13, s43
; %bb.5679:                             ;   in Loop: Header=BB6_5167 Depth=3
	v_or_b32_e32 v66, 0x7b, v13
; %bb.5680:                             ;   in Loop: Header=BB6_5167 Depth=3
	s_or_b32 exec_lo, exec_lo, s13
                                        ; implicit-def: $vgpr20
                                        ; implicit-def: $vgpr18_vgpr19
                                        ; implicit-def: $vgpr13
.LBB6_5681:                             ;   in Loop: Header=BB6_5167 Depth=3
	s_and_not1_saveexec_b32 s13, s42
	s_cbranch_execz .LBB6_5687
; %bb.5682:                             ;   in Loop: Header=BB6_5167 Depth=3
	s_mov_b32 s42, exec_lo
                                        ; implicit-def: $vgpr66
	v_cmpx_ne_u64_e32 0, v[18:19]
	s_xor_b32 s42, exec_lo, s42
; %bb.5683:                             ;   in Loop: Header=BB6_5167 Depth=3
	v_or_b32_e32 v66, 0x7f, v13
                                        ; implicit-def: $vgpr20
; %bb.5684:                             ;   in Loop: Header=BB6_5167 Depth=3
	s_and_not1_saveexec_b32 s42, s42
; %bb.5685:                             ;   in Loop: Header=BB6_5167 Depth=3
	v_cmp_lt_i32_e32 vcc_lo, -1, v20
	v_mov_b32_e32 v13, 0x7c
	s_delay_alu instid0(VALU_DEP_1)
	v_cndmask_b32_e32 v66, 0xfc, v13, vcc_lo
; %bb.5686:                             ;   in Loop: Header=BB6_5167 Depth=3
	s_or_b32 exec_lo, exec_lo, s42
.LBB6_5687:                             ;   in Loop: Header=BB6_5167 Depth=3
	s_delay_alu instid0(SALU_CYCLE_1) | instskip(SKIP_3) | instid1(VALU_DEP_2)
	s_or_b32 exec_lo, exec_lo, s13
	v_lshrrev_b16 v18, 8, v12
	v_dual_mov_b32 v20, 0 :: v_dual_mov_b32 v19, 0
	s_mov_b32 s42, exec_lo
	v_cmpx_ne_u16_e32 0, v18
	s_cbranch_execz .LBB6_5697
; %bb.5688:                             ;   in Loop: Header=BB6_5167 Depth=3
	v_bfrev_b32_e32 v19, 1
	s_mov_b32 s43, exec_lo
	v_cmpx_ne_u16_e32 0x80, v18
	s_cbranch_execz .LBB6_5696
; %bb.5689:                             ;   in Loop: Header=BB6_5167 Depth=3
	v_and_b32_e32 v13, 0xffff, v18
	s_delay_alu instid0(VALU_DEP_1) | instskip(SKIP_1) | instid1(VALU_DEP_2)
	v_and_b32_e32 v19, 0x7c, v13
	v_and_b32_e32 v22, 3, v13
	v_cmp_ne_u32_e32 vcc_lo, 0x7c, v19
                                        ; implicit-def: $vgpr19
	s_and_saveexec_b32 s13, vcc_lo
	s_delay_alu instid0(SALU_CYCLE_1)
	s_xor_b32 s13, exec_lo, s13
	s_cbranch_execz .LBB6_5693
; %bb.5690:                             ;   in Loop: Header=BB6_5167 Depth=3
	v_bfe_u32 v13, v13, 2, 5
	s_mov_b32 s72, exec_lo
	s_delay_alu instid0(VALU_DEP_1)
	v_cmpx_eq_u32_e32 0, v13
	s_cbranch_execz .LBB6_5692
; %bb.5691:                             ;   in Loop: Header=BB6_5167 Depth=3
	v_clz_i32_u32_e32 v13, v22
	s_delay_alu instid0(VALU_DEP_1) | instskip(SKIP_1) | instid1(VALU_DEP_2)
	v_min_u32_e32 v13, 32, v13
	v_mov_b32_e32 v19, v21
	v_subrev_nc_u32_e32 v22, 29, v13
	v_sub_nc_u32_e32 v13, 30, v13
	s_delay_alu instid0(VALU_DEP_2) | instskip(NEXT) | instid1(VALU_DEP_1)
	v_lshlrev_b64_e32 v[18:19], v22, v[18:19]
	v_and_b32_e32 v22, 3, v18
.LBB6_5692:                             ;   in Loop: Header=BB6_5167 Depth=3
	s_or_b32 exec_lo, exec_lo, s72
	v_lshlrev_b32_e32 v12, 16, v12
	s_delay_alu instid0(VALU_DEP_1) | instskip(NEXT) | instid1(VALU_DEP_1)
	v_and_b32_e32 v12, 0x80000000, v12
	v_lshl_add_u32 v12, v13, 23, v12
	s_delay_alu instid0(VALU_DEP_1) | instskip(NEXT) | instid1(VALU_DEP_1)
	v_lshl_or_b32 v12, v22, 21, v12
                                        ; implicit-def: $vgpr22
	v_add_nc_u32_e32 v19, 0x38000000, v12
                                        ; implicit-def: $vgpr12_vgpr13
.LBB6_5693:                             ;   in Loop: Header=BB6_5167 Depth=3
	s_and_not1_saveexec_b32 s72, s13
; %bb.5694:                             ;   in Loop: Header=BB6_5167 Depth=3
	v_cmp_lt_i16_e64 s13, -1, v12
	v_mov_b32_e32 v12, 0x7f800000
	v_cmp_eq_u32_e32 vcc_lo, 0, v22
	s_delay_alu instid0(VALU_DEP_2) | instskip(NEXT) | instid1(VALU_DEP_1)
	v_cndmask_b32_e64 v12, 0xff800000, v12, s13
	v_cndmask_b32_e32 v19, 0x7f800001, v12, vcc_lo
; %bb.5695:                             ;   in Loop: Header=BB6_5167 Depth=3
	s_or_b32 exec_lo, exec_lo, s72
.LBB6_5696:                             ;   in Loop: Header=BB6_5167 Depth=3
	s_delay_alu instid0(SALU_CYCLE_1)
	s_or_b32 exec_lo, exec_lo, s43
.LBB6_5697:                             ;   in Loop: Header=BB6_5167 Depth=3
	s_delay_alu instid0(SALU_CYCLE_1) | instskip(SKIP_2) | instid1(VALU_DEP_1)
	s_or_b32 exec_lo, exec_lo, s42
	v_lshrrev_b16 v12, 8, v39
	s_mov_b32 s42, exec_lo
	v_cmpx_ne_u16_e32 0, v12
	s_cbranch_execz .LBB6_5707
; %bb.5698:                             ;   in Loop: Header=BB6_5167 Depth=3
	v_bfrev_b32_e32 v20, 1
	s_mov_b32 s43, exec_lo
	v_cmpx_ne_u16_e32 0x80, v12
	s_cbranch_execz .LBB6_5706
; %bb.5699:                             ;   in Loop: Header=BB6_5167 Depth=3
	v_and_b32_e32 v18, 0xffff, v12
	s_delay_alu instid0(VALU_DEP_1) | instskip(SKIP_1) | instid1(VALU_DEP_2)
	v_and_b32_e32 v20, 0x7c, v18
	v_and_b32_e32 v13, 3, v18
	v_cmp_ne_u32_e32 vcc_lo, 0x7c, v20
                                        ; implicit-def: $vgpr20
	s_and_saveexec_b32 s13, vcc_lo
	s_delay_alu instid0(SALU_CYCLE_1)
	s_xor_b32 s13, exec_lo, s13
	s_cbranch_execz .LBB6_5703
; %bb.5700:                             ;   in Loop: Header=BB6_5167 Depth=3
	v_bfe_u32 v18, v18, 2, 5
	s_mov_b32 s72, exec_lo
	s_delay_alu instid0(VALU_DEP_1)
	v_cmpx_eq_u32_e32 0, v18
	s_cbranch_execz .LBB6_5702
; %bb.5701:                             ;   in Loop: Header=BB6_5167 Depth=3
	v_clz_i32_u32_e32 v13, v13
	s_delay_alu instid0(VALU_DEP_1) | instskip(SKIP_1) | instid1(VALU_DEP_2)
	v_min_u32_e32 v18, 32, v13
	v_mov_b32_e32 v13, v21
	v_subrev_nc_u32_e32 v20, 29, v18
	v_sub_nc_u32_e32 v18, 30, v18
	s_delay_alu instid0(VALU_DEP_2) | instskip(NEXT) | instid1(VALU_DEP_1)
	v_lshlrev_b64_e32 v[12:13], v20, v[12:13]
	v_and_b32_e32 v13, 3, v12
.LBB6_5702:                             ;   in Loop: Header=BB6_5167 Depth=3
	s_or_b32 exec_lo, exec_lo, s72
	v_lshlrev_b32_e32 v12, 16, v39
	s_delay_alu instid0(VALU_DEP_1) | instskip(NEXT) | instid1(VALU_DEP_1)
	v_and_b32_e32 v12, 0x80000000, v12
	v_lshl_add_u32 v12, v18, 23, v12
	s_delay_alu instid0(VALU_DEP_1) | instskip(NEXT) | instid1(VALU_DEP_1)
	v_lshl_or_b32 v12, v13, 21, v12
                                        ; implicit-def: $vgpr13
	v_add_nc_u32_e32 v20, 0x38000000, v12
.LBB6_5703:                             ;   in Loop: Header=BB6_5167 Depth=3
	s_and_not1_saveexec_b32 s72, s13
; %bb.5704:                             ;   in Loop: Header=BB6_5167 Depth=3
	v_cmp_lt_i16_e64 s13, -1, v39
	v_mov_b32_e32 v12, 0x7f800000
	v_cmp_eq_u32_e32 vcc_lo, 0, v13
	s_delay_alu instid0(VALU_DEP_2) | instskip(NEXT) | instid1(VALU_DEP_1)
	v_cndmask_b32_e64 v12, 0xff800000, v12, s13
	v_cndmask_b32_e32 v20, 0x7f800001, v12, vcc_lo
; %bb.5705:                             ;   in Loop: Header=BB6_5167 Depth=3
	s_or_b32 exec_lo, exec_lo, s72
.LBB6_5706:                             ;   in Loop: Header=BB6_5167 Depth=3
	s_delay_alu instid0(SALU_CYCLE_1)
	s_or_b32 exec_lo, exec_lo, s43
.LBB6_5707:                             ;   in Loop: Header=BB6_5167 Depth=3
	s_delay_alu instid0(SALU_CYCLE_1) | instskip(NEXT) | instid1(VALU_DEP_1)
	s_or_b32 exec_lo, exec_lo, s42
	v_dual_mul_f32 v18, v19, v20 :: v_dual_mov_b32 v23, v21
	v_mov_b32_e32 v13, v21
                                        ; implicit-def: $vgpr67
	s_mov_b32 s13, exec_lo
	s_delay_alu instid0(VALU_DEP_2) | instskip(SKIP_2) | instid1(VALU_DEP_3)
	v_and_b32_e32 v22, 0x7f800000, v18
	v_and_b32_e32 v12, 0x7fffff, v18
	v_lshrrev_b32_e32 v19, 24, v18
	v_cmpx_ne_u64_e32 0x7f800000, v[22:23]
	s_xor_b32 s42, exec_lo, s13
	s_cbranch_execz .LBB6_5721
; %bb.5708:                             ;   in Loop: Header=BB6_5167 Depth=3
	v_and_b32_e32 v22, 0x7fffffff, v18
	v_mov_b32_e32 v23, v21
	v_and_b32_e32 v20, 0x80, v19
                                        ; implicit-def: $vgpr67
	s_mov_b32 s13, exec_lo
	s_delay_alu instid0(VALU_DEP_2)
	v_cmpx_gt_u64_e32 0x47600001, v[22:23]
	s_xor_b32 s43, exec_lo, s13
	s_cbranch_execz .LBB6_5718
; %bb.5709:                             ;   in Loop: Header=BB6_5167 Depth=3
	v_mov_b32_e32 v67, 0
	s_mov_b32 s72, exec_lo
	v_cmpx_ne_u32_e32 0, v18
	s_cbranch_execz .LBB6_5717
; %bb.5710:                             ;   in Loop: Header=BB6_5167 Depth=3
	v_bfe_u32 v22, v18, 23, 8
	v_or_b32_e32 v19, 0x800000, v12
	s_delay_alu instid0(VALU_DEP_2) | instskip(SKIP_2) | instid1(VALU_DEP_2)
	v_cmp_gt_u32_e64 s13, 0x72, v22
	v_sub_nc_u32_e32 v18, 0x71, v22
	v_cmp_eq_u32_e32 vcc_lo, 0, v22
	v_dual_cndmask_b32 v18, 0, v18, s13 :: v_dual_cndmask_b32 v12, v19, v12, vcc_lo
	s_delay_alu instid0(VALU_DEP_1) | instskip(NEXT) | instid1(VALU_DEP_1)
	v_cndmask_b32_e64 v23, v18, 0x70, vcc_lo
	v_dual_add_nc_u32 v18, 21, v23 :: v_dual_add_nc_u32 v67, 20, v23
	s_delay_alu instid0(VALU_DEP_1) | instskip(NEXT) | instid1(VALU_DEP_2)
	v_lshlrev_b64_e64 v[18:19], v18, -1
	v_lshlrev_b64_e64 v[68:69], v67, 1
	s_delay_alu instid0(VALU_DEP_2) | instskip(SKIP_1) | instid1(VALU_DEP_4)
	v_bfi_b32 v18, v18, 0, v12
	v_lshrrev_b64 v[12:13], v23, v[12:13]
	v_bfi_b32 v19, v19, 0, 0
	s_delay_alu instid0(VALU_DEP_1) | instskip(NEXT) | instid1(VALU_DEP_3)
	v_cmp_eq_u64_e64 s13, v[18:19], v[68:69]
	v_mov_b64_e32 v[18:19], v[12:13]
	s_and_saveexec_b32 s73, s13
; %bb.5711:                             ;   in Loop: Header=BB6_5167 Depth=3
	v_bfe_u32 v18, v12, 21, 1
	v_mov_b32_e32 v19, v21
	s_delay_alu instid0(VALU_DEP_1) | instskip(NEXT) | instid1(VALU_DEP_1)
	v_add_nc_u64_e32 v[18:19], v[12:13], v[18:19]
	v_add_nc_u64_e32 v[18:19], -1, v[18:19]
; %bb.5712:                             ;   in Loop: Header=BB6_5167 Depth=3
	s_or_b32 exec_lo, exec_lo, s73
	v_add_nc_u32_e32 v13, 0xffffff81, v22
	v_lshrrev_b32_e32 v19, 23, v12
	s_mov_b32 s13, exec_lo
	s_delay_alu instid0(VALU_DEP_2) | instskip(NEXT) | instid1(VALU_DEP_1)
	v_cndmask_b32_e64 v13, v13, 0xffffff82, vcc_lo
	v_add3_u32 v22, v23, v13, v19
	v_and_b32_e32 v13, 0x1fffff, v18
                                        ; implicit-def: $vgpr18
	s_delay_alu instid0(VALU_DEP_1) | instskip(SKIP_1) | instid1(VALU_DEP_2)
	v_dual_add_nc_u32 v19, 14, v22 :: v_dual_add_nc_u32 v12, v13, v12
	v_mov_b32_e32 v13, v21
	v_cmpx_ne_u32_e32 0, v19
	s_xor_b32 s13, exec_lo, s13
; %bb.5713:                             ;   in Loop: Header=BB6_5167 Depth=3
	s_delay_alu instid0(VALU_DEP_2) | instskip(SKIP_1) | instid1(VALU_DEP_1)
	v_cmp_lt_u64_e32 vcc_lo, 0xffffff, v[12:13]
	v_add_nc_u32_e32 v18, 15, v22
	v_cndmask_b32_e32 v18, v19, v18, vcc_lo
	v_cndmask_b32_e64 v19, 0, 1, vcc_lo
	s_delay_alu instid0(VALU_DEP_1)
	v_lshrrev_b64 v[12:13], v19, v[12:13]
; %bb.5714:                             ;   in Loop: Header=BB6_5167 Depth=3
	s_and_not1_saveexec_b32 s13, s13
; %bb.5715:                             ;   in Loop: Header=BB6_5167 Depth=3
	s_delay_alu instid0(VALU_DEP_1)
	v_bfe_u32 v18, v12, 23, 1
; %bb.5716:                             ;   in Loop: Header=BB6_5167 Depth=3
	s_or_b32 exec_lo, exec_lo, s13
	s_delay_alu instid0(VALU_DEP_2) | instskip(NEXT) | instid1(VALU_DEP_2)
	v_lshrrev_b64 v[12:13], 21, v[12:13]
	v_cmp_gt_i32_e32 vcc_lo, 32, v18
	v_min_i32_e32 v19, 31, v18
	v_cmp_eq_u32_e64 s13, 0, v18
	s_delay_alu instid0(VALU_DEP_2) | instskip(SKIP_1) | instid1(VALU_DEP_2)
	v_dual_cndmask_b32 v13, 0, v13, vcc_lo :: v_dual_lshlrev_b32 v19, 2, v19
	v_cndmask_b32_e32 v12, 3, v12, vcc_lo
	v_and_b32_e32 v19, 0xfc, v19
	s_delay_alu instid0(VALU_DEP_2) | instskip(NEXT) | instid1(VALU_DEP_2)
	v_cmp_eq_u64_e32 vcc_lo, 0, v[12:13]
	v_and_or_b32 v12, v12, 3, v19
	s_and_b32 s13, s13, vcc_lo
	s_delay_alu instid0(VALU_DEP_1) | instid1(SALU_CYCLE_1)
	v_cndmask_b32_e64 v12, v12, 0, s13
	s_delay_alu instid0(VALU_DEP_1)
	v_or_b32_e32 v67, v12, v20
.LBB6_5717:                             ;   in Loop: Header=BB6_5167 Depth=3
	s_or_b32 exec_lo, exec_lo, s72
                                        ; implicit-def: $vgpr20
.LBB6_5718:                             ;   in Loop: Header=BB6_5167 Depth=3
	s_and_not1_saveexec_b32 s13, s43
; %bb.5719:                             ;   in Loop: Header=BB6_5167 Depth=3
	v_or_b32_e32 v67, 0x7b, v20
; %bb.5720:                             ;   in Loop: Header=BB6_5167 Depth=3
	s_or_b32 exec_lo, exec_lo, s13
                                        ; implicit-def: $vgpr18
                                        ; implicit-def: $vgpr12_vgpr13
                                        ; implicit-def: $vgpr19
.LBB6_5721:                             ;   in Loop: Header=BB6_5167 Depth=3
	s_and_not1_saveexec_b32 s13, s42
	s_cbranch_execz .LBB6_5727
; %bb.5722:                             ;   in Loop: Header=BB6_5167 Depth=3
	s_mov_b32 s42, exec_lo
                                        ; implicit-def: $vgpr67
	v_cmpx_ne_u64_e32 0, v[12:13]
	s_xor_b32 s42, exec_lo, s42
; %bb.5723:                             ;   in Loop: Header=BB6_5167 Depth=3
	v_or_b32_e32 v67, 0x7f, v19
                                        ; implicit-def: $vgpr18
; %bb.5724:                             ;   in Loop: Header=BB6_5167 Depth=3
	s_and_not1_saveexec_b32 s42, s42
; %bb.5725:                             ;   in Loop: Header=BB6_5167 Depth=3
	v_cmp_lt_i32_e32 vcc_lo, -1, v18
	v_mov_b32_e32 v12, 0x7c
	s_delay_alu instid0(VALU_DEP_1)
	v_cndmask_b32_e32 v67, 0xfc, v12, vcc_lo
; %bb.5726:                             ;   in Loop: Header=BB6_5167 Depth=3
	s_or_b32 exec_lo, exec_lo, s42
.LBB6_5727:                             ;   in Loop: Header=BB6_5167 Depth=3
	s_delay_alu instid0(SALU_CYCLE_1) | instskip(SKIP_3) | instid1(VALU_DEP_2)
	s_or_b32 exec_lo, exec_lo, s13
	v_dual_mov_b32 v13, 0 :: v_dual_lshrrev_b32 v12, 16, v51
	v_mov_b32_e32 v18, 0
	s_mov_b32 s42, exec_lo
	v_and_b32_e32 v19, 0xff, v12
	s_delay_alu instid0(VALU_DEP_1)
	v_cmpx_ne_u16_e32 0, v19
	s_cbranch_execz .LBB6_5737
; %bb.5728:                             ;   in Loop: Header=BB6_5167 Depth=3
	v_bfrev_b32_e32 v18, 1
	s_mov_b32 s43, exec_lo
	v_cmpx_ne_u16_e32 0x80, v19
	s_cbranch_execz .LBB6_5736
; %bb.5729:                             ;   in Loop: Header=BB6_5167 Depth=3
	v_and_b32_e32 v18, 0x7c0000, v51
	v_bfe_u32 v19, v51, 16, 2
	s_delay_alu instid0(VALU_DEP_2) | instskip(SKIP_1) | instid1(SALU_CYCLE_1)
	v_cmp_ne_u32_e32 vcc_lo, 0x7c0000, v18
                                        ; implicit-def: $vgpr18
	s_and_saveexec_b32 s13, vcc_lo
	s_xor_b32 s13, exec_lo, s13
	s_cbranch_execz .LBB6_5733
; %bb.5730:                             ;   in Loop: Header=BB6_5167 Depth=3
	v_bfe_u32 v18, v51, 18, 5
	s_mov_b32 s72, exec_lo
	s_delay_alu instid0(VALU_DEP_1)
	v_cmpx_eq_u32_e32 0, v18
; %bb.5731:                             ;   in Loop: Header=BB6_5167 Depth=3
	v_clz_i32_u32_e32 v18, v19
	s_delay_alu instid0(VALU_DEP_1) | instskip(NEXT) | instid1(VALU_DEP_1)
	v_min_u32_e32 v18, 32, v18
	v_subrev_nc_u32_e32 v19, 29, v18
	v_sub_nc_u32_e32 v18, 30, v18
	s_delay_alu instid0(VALU_DEP_2) | instskip(NEXT) | instid1(VALU_DEP_1)
	v_lshlrev_b64_e32 v[22:23], v19, v[12:13]
	v_and_b32_e32 v19, 3, v22
; %bb.5732:                             ;   in Loop: Header=BB6_5167 Depth=3
	s_or_b32 exec_lo, exec_lo, s72
	v_lshlrev_b32_e32 v12, 24, v12
	s_delay_alu instid0(VALU_DEP_1) | instskip(NEXT) | instid1(VALU_DEP_1)
	v_and_b32_e32 v12, 0x80000000, v12
	v_lshl_add_u32 v12, v18, 23, v12
	s_delay_alu instid0(VALU_DEP_1) | instskip(NEXT) | instid1(VALU_DEP_1)
	v_lshl_or_b32 v12, v19, 21, v12
                                        ; implicit-def: $vgpr19
	v_add_nc_u32_e32 v18, 0x38000000, v12
                                        ; implicit-def: $vgpr12
.LBB6_5733:                             ;   in Loop: Header=BB6_5167 Depth=3
	s_and_not1_saveexec_b32 s72, s13
; %bb.5734:                             ;   in Loop: Header=BB6_5167 Depth=3
	v_bfe_i32 v12, v12, 0, 8
	v_cmp_eq_u32_e32 vcc_lo, 0, v19
	s_delay_alu instid0(VALU_DEP_2) | instskip(SKIP_1) | instid1(VALU_DEP_1)
	v_cmp_lt_i16_e64 s13, -1, v12
	v_mov_b32_e32 v12, 0x7f800000
	v_cndmask_b32_e64 v12, 0xff800000, v12, s13
	s_delay_alu instid0(VALU_DEP_1)
	v_cndmask_b32_e32 v18, 0x7f800001, v12, vcc_lo
; %bb.5735:                             ;   in Loop: Header=BB6_5167 Depth=3
	s_or_b32 exec_lo, exec_lo, s72
.LBB6_5736:                             ;   in Loop: Header=BB6_5167 Depth=3
	s_delay_alu instid0(SALU_CYCLE_1)
	s_or_b32 exec_lo, exec_lo, s43
.LBB6_5737:                             ;   in Loop: Header=BB6_5167 Depth=3
	s_delay_alu instid0(SALU_CYCLE_1) | instskip(SKIP_2) | instid1(VALU_DEP_1)
	s_or_b32 exec_lo, exec_lo, s42
	v_lshrrev_b32_e32 v12, 16, v39
	s_mov_b32 s42, exec_lo
	v_and_b32_e32 v19, 0xff, v12
	s_delay_alu instid0(VALU_DEP_1)
	v_cmpx_ne_u16_e32 0, v19
	s_cbranch_execz .LBB6_5747
; %bb.5738:                             ;   in Loop: Header=BB6_5167 Depth=3
	v_bfrev_b32_e32 v13, 1
	s_mov_b32 s43, exec_lo
	v_cmpx_ne_u16_e32 0x80, v19
	s_cbranch_execz .LBB6_5746
; %bb.5739:                             ;   in Loop: Header=BB6_5167 Depth=3
	v_and_b32_e32 v13, 0x7c0000, v39
	v_bfe_u32 v19, v39, 16, 2
	s_delay_alu instid0(VALU_DEP_2) | instskip(SKIP_1) | instid1(SALU_CYCLE_1)
	v_cmp_ne_u32_e32 vcc_lo, 0x7c0000, v13
                                        ; implicit-def: $vgpr13
	s_and_saveexec_b32 s13, vcc_lo
	s_xor_b32 s13, exec_lo, s13
	s_cbranch_execz .LBB6_5743
; %bb.5740:                             ;   in Loop: Header=BB6_5167 Depth=3
	v_bfe_u32 v13, v39, 18, 5
	s_mov_b32 s72, exec_lo
	s_delay_alu instid0(VALU_DEP_1)
	v_cmpx_eq_u32_e32 0, v13
; %bb.5741:                             ;   in Loop: Header=BB6_5167 Depth=3
	v_clz_i32_u32_e32 v13, v19
	s_delay_alu instid0(VALU_DEP_1) | instskip(NEXT) | instid1(VALU_DEP_1)
	v_min_u32_e32 v13, 32, v13
	v_subrev_nc_u32_e32 v19, 29, v13
	s_delay_alu instid0(VALU_DEP_1) | instskip(NEXT) | instid1(VALU_DEP_1)
	v_lshlrev_b64_e32 v[22:23], v19, v[12:13]
	v_dual_sub_nc_u32 v13, 30, v13 :: v_dual_bitop2_b32 v19, 3, v22 bitop3:0x40
; %bb.5742:                             ;   in Loop: Header=BB6_5167 Depth=3
	s_or_b32 exec_lo, exec_lo, s72
	v_lshlrev_b32_e32 v12, 24, v12
	s_delay_alu instid0(VALU_DEP_1) | instskip(NEXT) | instid1(VALU_DEP_1)
	v_and_b32_e32 v12, 0x80000000, v12
	v_lshl_add_u32 v12, v13, 23, v12
	s_delay_alu instid0(VALU_DEP_1) | instskip(NEXT) | instid1(VALU_DEP_1)
	v_lshl_or_b32 v12, v19, 21, v12
                                        ; implicit-def: $vgpr19
	v_add_nc_u32_e32 v13, 0x38000000, v12
                                        ; implicit-def: $vgpr12
.LBB6_5743:                             ;   in Loop: Header=BB6_5167 Depth=3
	s_and_not1_saveexec_b32 s72, s13
; %bb.5744:                             ;   in Loop: Header=BB6_5167 Depth=3
	v_bfe_i32 v12, v12, 0, 8
	v_cmp_eq_u32_e32 vcc_lo, 0, v19
	s_delay_alu instid0(VALU_DEP_2) | instskip(SKIP_1) | instid1(VALU_DEP_1)
	v_cmp_lt_i16_e64 s13, -1, v12
	v_mov_b32_e32 v12, 0x7f800000
	v_cndmask_b32_e64 v12, 0xff800000, v12, s13
	s_delay_alu instid0(VALU_DEP_1)
	v_cndmask_b32_e32 v13, 0x7f800001, v12, vcc_lo
; %bb.5745:                             ;   in Loop: Header=BB6_5167 Depth=3
	s_or_b32 exec_lo, exec_lo, s72
.LBB6_5746:                             ;   in Loop: Header=BB6_5167 Depth=3
	s_delay_alu instid0(SALU_CYCLE_1)
	s_or_b32 exec_lo, exec_lo, s43
.LBB6_5747:                             ;   in Loop: Header=BB6_5167 Depth=3
	s_delay_alu instid0(SALU_CYCLE_1) | instskip(NEXT) | instid1(VALU_DEP_1)
	s_or_b32 exec_lo, exec_lo, s42
	v_dual_mul_f32 v18, v18, v13 :: v_dual_mov_b32 v23, v21
	v_mov_b32_e32 v13, v21
                                        ; implicit-def: $vgpr68
	s_mov_b32 s13, exec_lo
	s_delay_alu instid0(VALU_DEP_2) | instskip(SKIP_2) | instid1(VALU_DEP_3)
	v_and_b32_e32 v22, 0x7f800000, v18
	v_and_b32_e32 v12, 0x7fffff, v18
	v_lshrrev_b32_e32 v19, 24, v18
	v_cmpx_ne_u64_e32 0x7f800000, v[22:23]
	s_xor_b32 s42, exec_lo, s13
	s_cbranch_execz .LBB6_5761
; %bb.5748:                             ;   in Loop: Header=BB6_5167 Depth=3
	v_and_b32_e32 v22, 0x7fffffff, v18
	v_mov_b32_e32 v23, v21
	v_and_b32_e32 v20, 0x80, v19
                                        ; implicit-def: $vgpr68
	s_mov_b32 s13, exec_lo
	s_delay_alu instid0(VALU_DEP_2)
	v_cmpx_gt_u64_e32 0x47600001, v[22:23]
	s_xor_b32 s43, exec_lo, s13
	s_cbranch_execz .LBB6_5758
; %bb.5749:                             ;   in Loop: Header=BB6_5167 Depth=3
	v_mov_b32_e32 v68, 0
	s_mov_b32 s72, exec_lo
	v_cmpx_ne_u32_e32 0, v18
	s_cbranch_execz .LBB6_5757
; %bb.5750:                             ;   in Loop: Header=BB6_5167 Depth=3
	v_bfe_u32 v22, v18, 23, 8
	v_or_b32_e32 v19, 0x800000, v12
	s_delay_alu instid0(VALU_DEP_2) | instskip(SKIP_2) | instid1(VALU_DEP_2)
	v_cmp_gt_u32_e64 s13, 0x72, v22
	v_sub_nc_u32_e32 v18, 0x71, v22
	v_cmp_eq_u32_e32 vcc_lo, 0, v22
	v_dual_cndmask_b32 v18, 0, v18, s13 :: v_dual_cndmask_b32 v12, v19, v12, vcc_lo
	s_delay_alu instid0(VALU_DEP_1) | instskip(NEXT) | instid1(VALU_DEP_1)
	v_cndmask_b32_e64 v23, v18, 0x70, vcc_lo
	v_dual_add_nc_u32 v18, 21, v23 :: v_dual_add_nc_u32 v68, 20, v23
	s_delay_alu instid0(VALU_DEP_1) | instskip(NEXT) | instid1(VALU_DEP_2)
	v_lshlrev_b64_e64 v[18:19], v18, -1
	v_lshlrev_b64_e64 v[68:69], v68, 1
	s_delay_alu instid0(VALU_DEP_2) | instskip(SKIP_1) | instid1(VALU_DEP_4)
	v_bfi_b32 v18, v18, 0, v12
	v_lshrrev_b64 v[12:13], v23, v[12:13]
	v_bfi_b32 v19, v19, 0, 0
	s_delay_alu instid0(VALU_DEP_1) | instskip(NEXT) | instid1(VALU_DEP_3)
	v_cmp_eq_u64_e64 s13, v[18:19], v[68:69]
	v_mov_b64_e32 v[18:19], v[12:13]
	s_and_saveexec_b32 s73, s13
; %bb.5751:                             ;   in Loop: Header=BB6_5167 Depth=3
	v_bfe_u32 v18, v12, 21, 1
	v_mov_b32_e32 v19, v21
	s_delay_alu instid0(VALU_DEP_1) | instskip(NEXT) | instid1(VALU_DEP_1)
	v_add_nc_u64_e32 v[18:19], v[12:13], v[18:19]
	v_add_nc_u64_e32 v[18:19], -1, v[18:19]
; %bb.5752:                             ;   in Loop: Header=BB6_5167 Depth=3
	s_or_b32 exec_lo, exec_lo, s73
	v_add_nc_u32_e32 v13, 0xffffff81, v22
	v_lshrrev_b32_e32 v19, 23, v12
	s_mov_b32 s13, exec_lo
	s_delay_alu instid0(VALU_DEP_2) | instskip(NEXT) | instid1(VALU_DEP_1)
	v_cndmask_b32_e64 v13, v13, 0xffffff82, vcc_lo
	v_add3_u32 v22, v23, v13, v19
	v_and_b32_e32 v13, 0x1fffff, v18
                                        ; implicit-def: $vgpr18
	s_delay_alu instid0(VALU_DEP_1) | instskip(SKIP_1) | instid1(VALU_DEP_2)
	v_dual_add_nc_u32 v19, 14, v22 :: v_dual_add_nc_u32 v12, v13, v12
	v_mov_b32_e32 v13, v21
	v_cmpx_ne_u32_e32 0, v19
	s_xor_b32 s13, exec_lo, s13
; %bb.5753:                             ;   in Loop: Header=BB6_5167 Depth=3
	s_delay_alu instid0(VALU_DEP_2) | instskip(SKIP_1) | instid1(VALU_DEP_1)
	v_cmp_lt_u64_e32 vcc_lo, 0xffffff, v[12:13]
	v_add_nc_u32_e32 v18, 15, v22
	v_cndmask_b32_e32 v18, v19, v18, vcc_lo
	v_cndmask_b32_e64 v19, 0, 1, vcc_lo
	s_delay_alu instid0(VALU_DEP_1)
	v_lshrrev_b64 v[12:13], v19, v[12:13]
; %bb.5754:                             ;   in Loop: Header=BB6_5167 Depth=3
	s_and_not1_saveexec_b32 s13, s13
; %bb.5755:                             ;   in Loop: Header=BB6_5167 Depth=3
	s_delay_alu instid0(VALU_DEP_1)
	v_bfe_u32 v18, v12, 23, 1
; %bb.5756:                             ;   in Loop: Header=BB6_5167 Depth=3
	s_or_b32 exec_lo, exec_lo, s13
	s_delay_alu instid0(VALU_DEP_2) | instskip(NEXT) | instid1(VALU_DEP_2)
	v_lshrrev_b64 v[12:13], 21, v[12:13]
	v_cmp_gt_i32_e32 vcc_lo, 32, v18
	v_min_i32_e32 v19, 31, v18
	v_cmp_eq_u32_e64 s13, 0, v18
	s_delay_alu instid0(VALU_DEP_2) | instskip(SKIP_1) | instid1(VALU_DEP_2)
	v_dual_cndmask_b32 v13, 0, v13, vcc_lo :: v_dual_lshlrev_b32 v19, 2, v19
	v_cndmask_b32_e32 v12, 3, v12, vcc_lo
	v_and_b32_e32 v19, 0xfc, v19
	s_delay_alu instid0(VALU_DEP_2) | instskip(NEXT) | instid1(VALU_DEP_2)
	v_cmp_eq_u64_e32 vcc_lo, 0, v[12:13]
	v_and_or_b32 v12, v12, 3, v19
	s_and_b32 s13, s13, vcc_lo
	s_delay_alu instid0(VALU_DEP_1) | instid1(SALU_CYCLE_1)
	v_cndmask_b32_e64 v12, v12, 0, s13
	s_delay_alu instid0(VALU_DEP_1)
	v_or_b32_e32 v68, v12, v20
.LBB6_5757:                             ;   in Loop: Header=BB6_5167 Depth=3
	s_or_b32 exec_lo, exec_lo, s72
                                        ; implicit-def: $vgpr20
.LBB6_5758:                             ;   in Loop: Header=BB6_5167 Depth=3
	s_and_not1_saveexec_b32 s13, s43
; %bb.5759:                             ;   in Loop: Header=BB6_5167 Depth=3
	v_or_b32_e32 v68, 0x7b, v20
; %bb.5760:                             ;   in Loop: Header=BB6_5167 Depth=3
	s_or_b32 exec_lo, exec_lo, s13
                                        ; implicit-def: $vgpr18
                                        ; implicit-def: $vgpr12_vgpr13
                                        ; implicit-def: $vgpr19
.LBB6_5761:                             ;   in Loop: Header=BB6_5167 Depth=3
	s_and_not1_saveexec_b32 s13, s42
	s_cbranch_execz .LBB6_5767
; %bb.5762:                             ;   in Loop: Header=BB6_5167 Depth=3
	s_mov_b32 s42, exec_lo
                                        ; implicit-def: $vgpr68
	v_cmpx_ne_u64_e32 0, v[12:13]
	s_xor_b32 s42, exec_lo, s42
; %bb.5763:                             ;   in Loop: Header=BB6_5167 Depth=3
	v_or_b32_e32 v68, 0x7f, v19
                                        ; implicit-def: $vgpr18
; %bb.5764:                             ;   in Loop: Header=BB6_5167 Depth=3
	s_and_not1_saveexec_b32 s42, s42
; %bb.5765:                             ;   in Loop: Header=BB6_5167 Depth=3
	v_cmp_lt_i32_e32 vcc_lo, -1, v18
	v_mov_b32_e32 v12, 0x7c
	s_delay_alu instid0(VALU_DEP_1)
	v_cndmask_b32_e32 v68, 0xfc, v12, vcc_lo
; %bb.5766:                             ;   in Loop: Header=BB6_5167 Depth=3
	s_or_b32 exec_lo, exec_lo, s42
.LBB6_5767:                             ;   in Loop: Header=BB6_5167 Depth=3
	s_delay_alu instid0(SALU_CYCLE_1)
	s_or_b32 exec_lo, exec_lo, s13
	v_dual_mov_b32 v13, 0 :: v_dual_mov_b32 v18, 0
	s_mov_b32 s42, exec_lo
	v_cmpx_lt_u64_e64 s[22:23], v[50:51]
	s_cbranch_execz .LBB6_5777
; %bb.5768:                             ;   in Loop: Header=BB6_5167 Depth=3
	v_lshrrev_b32_e32 v12, 24, v51
	v_bfrev_b32_e32 v18, 1
	s_mov_b32 s43, exec_lo
	s_delay_alu instid0(VALU_DEP_2)
	v_cmpx_ne_u32_e32 0x80, v12
	s_cbranch_execz .LBB6_5776
; %bb.5769:                             ;   in Loop: Header=BB6_5167 Depth=3
	v_and_b32_e32 v18, 0x7c000000, v51
	v_bfe_u32 v19, v51, 24, 2
	s_delay_alu instid0(VALU_DEP_2) | instskip(SKIP_1) | instid1(SALU_CYCLE_1)
	v_cmp_ne_u32_e32 vcc_lo, 0x7c000000, v18
                                        ; implicit-def: $vgpr18
	s_and_saveexec_b32 s13, vcc_lo
	s_xor_b32 s13, exec_lo, s13
	s_cbranch_execz .LBB6_5773
; %bb.5770:                             ;   in Loop: Header=BB6_5167 Depth=3
	v_bfe_u32 v18, v51, 26, 5
	s_mov_b32 s72, exec_lo
	s_delay_alu instid0(VALU_DEP_1)
	v_cmpx_eq_u32_e32 0, v18
; %bb.5771:                             ;   in Loop: Header=BB6_5167 Depth=3
	v_clz_i32_u32_e32 v18, v19
	s_delay_alu instid0(VALU_DEP_1) | instskip(NEXT) | instid1(VALU_DEP_1)
	v_min_u32_e32 v18, 32, v18
	v_subrev_nc_u32_e32 v19, 29, v18
	v_sub_nc_u32_e32 v18, 30, v18
	s_delay_alu instid0(VALU_DEP_2) | instskip(NEXT) | instid1(VALU_DEP_1)
	v_lshlrev_b64_e32 v[22:23], v19, v[12:13]
	v_and_b32_e32 v19, 3, v22
; %bb.5772:                             ;   in Loop: Header=BB6_5167 Depth=3
	s_or_b32 exec_lo, exec_lo, s72
	v_and_b32_e32 v12, 0x80000000, v51
                                        ; implicit-def: $vgpr50_vgpr51
	s_delay_alu instid0(VALU_DEP_1) | instskip(NEXT) | instid1(VALU_DEP_1)
	v_lshl_add_u32 v12, v18, 23, v12
	v_lshl_or_b32 v12, v19, 21, v12
                                        ; implicit-def: $vgpr19
	s_delay_alu instid0(VALU_DEP_1)
	v_add_nc_u32_e32 v18, 0x38000000, v12
.LBB6_5773:                             ;   in Loop: Header=BB6_5167 Depth=3
	s_and_not1_saveexec_b32 s72, s13
; %bb.5774:                             ;   in Loop: Header=BB6_5167 Depth=3
	v_cmp_lt_i64_e64 s13, -1, v[50:51]
	v_mov_b32_e32 v12, 0x7f800000
	v_cmp_eq_u32_e32 vcc_lo, 0, v19
	s_delay_alu instid0(VALU_DEP_2) | instskip(NEXT) | instid1(VALU_DEP_1)
	v_cndmask_b32_e64 v12, 0xff800000, v12, s13
	v_cndmask_b32_e32 v18, 0x7f800001, v12, vcc_lo
; %bb.5775:                             ;   in Loop: Header=BB6_5167 Depth=3
	s_or_b32 exec_lo, exec_lo, s72
.LBB6_5776:                             ;   in Loop: Header=BB6_5167 Depth=3
	s_delay_alu instid0(SALU_CYCLE_1)
	s_or_b32 exec_lo, exec_lo, s43
.LBB6_5777:                             ;   in Loop: Header=BB6_5167 Depth=3
	s_delay_alu instid0(SALU_CYCLE_1) | instskip(NEXT) | instid1(SALU_CYCLE_1)
	s_or_b32 exec_lo, exec_lo, s42
	s_mov_b32 s42, exec_lo
	v_cmpx_lt_u64_e64 s[22:23], v[38:39]
	s_cbranch_execz .LBB6_5787
; %bb.5778:                             ;   in Loop: Header=BB6_5167 Depth=3
	v_lshrrev_b32_e32 v12, 24, v39
	v_bfrev_b32_e32 v13, 1
	s_mov_b32 s43, exec_lo
	s_delay_alu instid0(VALU_DEP_2)
	v_cmpx_ne_u32_e32 0x80, v12
	s_cbranch_execz .LBB6_5786
; %bb.5779:                             ;   in Loop: Header=BB6_5167 Depth=3
	v_and_b32_e32 v13, 0x7c000000, v39
	v_bfe_u32 v19, v39, 24, 2
	s_delay_alu instid0(VALU_DEP_2) | instskip(SKIP_1) | instid1(SALU_CYCLE_1)
	v_cmp_ne_u32_e32 vcc_lo, 0x7c000000, v13
                                        ; implicit-def: $vgpr13
	s_and_saveexec_b32 s13, vcc_lo
	s_xor_b32 s13, exec_lo, s13
	s_cbranch_execz .LBB6_5783
; %bb.5780:                             ;   in Loop: Header=BB6_5167 Depth=3
	v_bfe_u32 v13, v39, 26, 5
	s_mov_b32 s72, exec_lo
	s_delay_alu instid0(VALU_DEP_1)
	v_cmpx_eq_u32_e32 0, v13
; %bb.5781:                             ;   in Loop: Header=BB6_5167 Depth=3
	v_clz_i32_u32_e32 v13, v19
	s_delay_alu instid0(VALU_DEP_1) | instskip(NEXT) | instid1(VALU_DEP_1)
	v_min_u32_e32 v19, 32, v13
	v_subrev_nc_u32_e32 v13, 29, v19
	s_delay_alu instid0(VALU_DEP_1) | instskip(NEXT) | instid1(VALU_DEP_1)
	v_lshlrev_b64_e32 v[12:13], v13, v[12:13]
	v_dual_sub_nc_u32 v13, 30, v19 :: v_dual_bitop2_b32 v19, 3, v12 bitop3:0x40
; %bb.5782:                             ;   in Loop: Header=BB6_5167 Depth=3
	s_or_b32 exec_lo, exec_lo, s72
	v_and_b32_e32 v12, 0x80000000, v39
                                        ; implicit-def: $vgpr38_vgpr39
	s_delay_alu instid0(VALU_DEP_1) | instskip(NEXT) | instid1(VALU_DEP_1)
	v_lshl_add_u32 v12, v13, 23, v12
	v_lshl_or_b32 v12, v19, 21, v12
                                        ; implicit-def: $vgpr19
	s_delay_alu instid0(VALU_DEP_1)
	v_add_nc_u32_e32 v13, 0x38000000, v12
.LBB6_5783:                             ;   in Loop: Header=BB6_5167 Depth=3
	s_and_not1_saveexec_b32 s72, s13
; %bb.5784:                             ;   in Loop: Header=BB6_5167 Depth=3
	v_cmp_lt_i64_e64 s13, -1, v[38:39]
	v_mov_b32_e32 v12, 0x7f800000
	v_cmp_eq_u32_e32 vcc_lo, 0, v19
	s_delay_alu instid0(VALU_DEP_2) | instskip(NEXT) | instid1(VALU_DEP_1)
	v_cndmask_b32_e64 v12, 0xff800000, v12, s13
	v_cndmask_b32_e32 v13, 0x7f800001, v12, vcc_lo
; %bb.5785:                             ;   in Loop: Header=BB6_5167 Depth=3
	s_or_b32 exec_lo, exec_lo, s72
.LBB6_5786:                             ;   in Loop: Header=BB6_5167 Depth=3
	s_delay_alu instid0(SALU_CYCLE_1)
	s_or_b32 exec_lo, exec_lo, s43
.LBB6_5787:                             ;   in Loop: Header=BB6_5167 Depth=3
	s_delay_alu instid0(SALU_CYCLE_1) | instskip(NEXT) | instid1(VALU_DEP_1)
	s_or_b32 exec_lo, exec_lo, s42
	v_dual_mul_f32 v18, v18, v13 :: v_dual_mov_b32 v23, v21
	v_mov_b32_e32 v13, v21
                                        ; implicit-def: $vgpr38
	s_mov_b32 s13, exec_lo
	s_delay_alu instid0(VALU_DEP_2) | instskip(SKIP_2) | instid1(VALU_DEP_3)
	v_and_b32_e32 v22, 0x7f800000, v18
	v_and_b32_e32 v12, 0x7fffff, v18
	v_lshrrev_b32_e32 v19, 24, v18
	v_cmpx_ne_u64_e32 0x7f800000, v[22:23]
	s_xor_b32 s42, exec_lo, s13
	s_cbranch_execz .LBB6_5801
; %bb.5788:                             ;   in Loop: Header=BB6_5167 Depth=3
	v_and_b32_e32 v22, 0x7fffffff, v18
	v_mov_b32_e32 v23, v21
	v_and_b32_e32 v20, 0x80, v19
                                        ; implicit-def: $vgpr38
	s_mov_b32 s13, exec_lo
	s_delay_alu instid0(VALU_DEP_2)
	v_cmpx_gt_u64_e32 0x47600001, v[22:23]
	s_xor_b32 s43, exec_lo, s13
	s_cbranch_execz .LBB6_5798
; %bb.5789:                             ;   in Loop: Header=BB6_5167 Depth=3
	v_mov_b32_e32 v38, 0
	s_mov_b32 s72, exec_lo
	v_cmpx_ne_u32_e32 0, v18
	s_cbranch_execz .LBB6_5797
; %bb.5790:                             ;   in Loop: Header=BB6_5167 Depth=3
	v_bfe_u32 v22, v18, 23, 8
	v_or_b32_e32 v19, 0x800000, v12
	s_delay_alu instid0(VALU_DEP_2) | instskip(SKIP_2) | instid1(VALU_DEP_2)
	v_cmp_gt_u32_e64 s13, 0x72, v22
	v_sub_nc_u32_e32 v18, 0x71, v22
	v_cmp_eq_u32_e32 vcc_lo, 0, v22
	v_dual_cndmask_b32 v18, 0, v18, s13 :: v_dual_cndmask_b32 v12, v19, v12, vcc_lo
	s_delay_alu instid0(VALU_DEP_1) | instskip(NEXT) | instid1(VALU_DEP_1)
	v_cndmask_b32_e64 v23, v18, 0x70, vcc_lo
	v_dual_add_nc_u32 v18, 21, v23 :: v_dual_add_nc_u32 v38, 20, v23
	s_delay_alu instid0(VALU_DEP_1) | instskip(NEXT) | instid1(VALU_DEP_2)
	v_lshlrev_b64_e64 v[18:19], v18, -1
	v_lshlrev_b64_e64 v[38:39], v38, 1
	s_delay_alu instid0(VALU_DEP_2) | instskip(SKIP_1) | instid1(VALU_DEP_4)
	v_bfi_b32 v18, v18, 0, v12
	v_lshrrev_b64 v[12:13], v23, v[12:13]
	v_bfi_b32 v19, v19, 0, 0
	s_delay_alu instid0(VALU_DEP_1) | instskip(NEXT) | instid1(VALU_DEP_3)
	v_cmp_eq_u64_e64 s13, v[18:19], v[38:39]
	v_mov_b64_e32 v[18:19], v[12:13]
	s_and_saveexec_b32 s73, s13
; %bb.5791:                             ;   in Loop: Header=BB6_5167 Depth=3
	v_bfe_u32 v18, v12, 21, 1
	v_mov_b32_e32 v19, v21
	s_delay_alu instid0(VALU_DEP_1) | instskip(NEXT) | instid1(VALU_DEP_1)
	v_add_nc_u64_e32 v[18:19], v[12:13], v[18:19]
	v_add_nc_u64_e32 v[18:19], -1, v[18:19]
; %bb.5792:                             ;   in Loop: Header=BB6_5167 Depth=3
	s_or_b32 exec_lo, exec_lo, s73
	v_add_nc_u32_e32 v13, 0xffffff81, v22
	v_lshrrev_b32_e32 v19, 23, v12
	s_mov_b32 s13, exec_lo
	s_delay_alu instid0(VALU_DEP_2) | instskip(NEXT) | instid1(VALU_DEP_1)
	v_cndmask_b32_e64 v13, v13, 0xffffff82, vcc_lo
	v_add3_u32 v22, v23, v13, v19
	v_and_b32_e32 v13, 0x1fffff, v18
                                        ; implicit-def: $vgpr18
	s_delay_alu instid0(VALU_DEP_1) | instskip(SKIP_1) | instid1(VALU_DEP_2)
	v_dual_add_nc_u32 v19, 14, v22 :: v_dual_add_nc_u32 v12, v13, v12
	v_mov_b32_e32 v13, v21
	v_cmpx_ne_u32_e32 0, v19
	s_xor_b32 s13, exec_lo, s13
; %bb.5793:                             ;   in Loop: Header=BB6_5167 Depth=3
	s_delay_alu instid0(VALU_DEP_2) | instskip(SKIP_1) | instid1(VALU_DEP_1)
	v_cmp_lt_u64_e32 vcc_lo, 0xffffff, v[12:13]
	v_add_nc_u32_e32 v18, 15, v22
	v_cndmask_b32_e32 v18, v19, v18, vcc_lo
	v_cndmask_b32_e64 v19, 0, 1, vcc_lo
	s_delay_alu instid0(VALU_DEP_1)
	v_lshrrev_b64 v[12:13], v19, v[12:13]
; %bb.5794:                             ;   in Loop: Header=BB6_5167 Depth=3
	s_and_not1_saveexec_b32 s13, s13
; %bb.5795:                             ;   in Loop: Header=BB6_5167 Depth=3
	s_delay_alu instid0(VALU_DEP_1)
	v_bfe_u32 v18, v12, 23, 1
; %bb.5796:                             ;   in Loop: Header=BB6_5167 Depth=3
	s_or_b32 exec_lo, exec_lo, s13
	s_delay_alu instid0(VALU_DEP_2) | instskip(NEXT) | instid1(VALU_DEP_2)
	v_lshrrev_b64 v[12:13], 21, v[12:13]
	v_cmp_gt_i32_e32 vcc_lo, 32, v18
	v_min_i32_e32 v19, 31, v18
	v_cmp_eq_u32_e64 s13, 0, v18
	s_delay_alu instid0(VALU_DEP_2) | instskip(SKIP_1) | instid1(VALU_DEP_2)
	v_dual_cndmask_b32 v13, 0, v13, vcc_lo :: v_dual_lshlrev_b32 v19, 2, v19
	v_cndmask_b32_e32 v12, 3, v12, vcc_lo
	v_and_b32_e32 v19, 0xfc, v19
	s_delay_alu instid0(VALU_DEP_2) | instskip(NEXT) | instid1(VALU_DEP_2)
	v_cmp_eq_u64_e32 vcc_lo, 0, v[12:13]
	v_and_or_b32 v12, v12, 3, v19
	s_and_b32 s13, s13, vcc_lo
	s_delay_alu instid0(VALU_DEP_1) | instid1(SALU_CYCLE_1)
	v_cndmask_b32_e64 v12, v12, 0, s13
	s_delay_alu instid0(VALU_DEP_1)
	v_or_b32_e32 v38, v12, v20
.LBB6_5797:                             ;   in Loop: Header=BB6_5167 Depth=3
	s_or_b32 exec_lo, exec_lo, s72
                                        ; implicit-def: $vgpr20
.LBB6_5798:                             ;   in Loop: Header=BB6_5167 Depth=3
	s_and_not1_saveexec_b32 s13, s43
; %bb.5799:                             ;   in Loop: Header=BB6_5167 Depth=3
	v_or_b32_e32 v38, 0x7b, v20
; %bb.5800:                             ;   in Loop: Header=BB6_5167 Depth=3
	s_or_b32 exec_lo, exec_lo, s13
                                        ; implicit-def: $vgpr18
                                        ; implicit-def: $vgpr12_vgpr13
                                        ; implicit-def: $vgpr19
.LBB6_5801:                             ;   in Loop: Header=BB6_5167 Depth=3
	s_and_not1_saveexec_b32 s13, s42
	s_cbranch_execz .LBB6_5807
; %bb.5802:                             ;   in Loop: Header=BB6_5167 Depth=3
	s_mov_b32 s42, exec_lo
                                        ; implicit-def: $vgpr38
	v_cmpx_ne_u64_e32 0, v[12:13]
	s_xor_b32 s42, exec_lo, s42
; %bb.5803:                             ;   in Loop: Header=BB6_5167 Depth=3
	v_or_b32_e32 v38, 0x7f, v19
                                        ; implicit-def: $vgpr18
; %bb.5804:                             ;   in Loop: Header=BB6_5167 Depth=3
	s_and_not1_saveexec_b32 s42, s42
; %bb.5805:                             ;   in Loop: Header=BB6_5167 Depth=3
	v_cmp_lt_i32_e32 vcc_lo, -1, v18
	v_mov_b32_e32 v12, 0x7c
	s_delay_alu instid0(VALU_DEP_1)
	v_cndmask_b32_e32 v38, 0xfc, v12, vcc_lo
; %bb.5806:                             ;   in Loop: Header=BB6_5167 Depth=3
	s_or_b32 exec_lo, exec_lo, s42
.LBB6_5807:                             ;   in Loop: Header=BB6_5167 Depth=3
	s_delay_alu instid0(SALU_CYCLE_1) | instskip(SKIP_2) | instid1(VALU_DEP_2)
	s_or_b32 exec_lo, exec_lo, s13
	v_and_b32_e32 v13, 0xff, v32
	v_mov_b32_e32 v12, 0
	v_cmp_ne_u16_e32 vcc_lo, 0, v13
	v_mov_b32_e32 v13, 0
	s_and_saveexec_b32 s42, vcc_lo
	s_cbranch_execz .LBB6_5817
; %bb.5808:                             ;   in Loop: Header=BB6_5167 Depth=3
	v_bfe_i32 v19, v32, 0, 8
	v_bfrev_b32_e32 v13, 1
	s_mov_b32 s43, exec_lo
	s_delay_alu instid0(VALU_DEP_2)
	v_cmpx_ne_u16_e32 0xff80, v19
	s_cbranch_execz .LBB6_5816
; %bb.5809:                             ;   in Loop: Header=BB6_5167 Depth=3
	v_and_b32_e32 v13, 0x7c, v32
	v_and_b32_e32 v18, 3, v32
	s_delay_alu instid0(VALU_DEP_2) | instskip(SKIP_1) | instid1(SALU_CYCLE_1)
	v_cmp_ne_u32_e32 vcc_lo, 0x7c, v13
                                        ; implicit-def: $vgpr13
	s_and_saveexec_b32 s13, vcc_lo
	s_xor_b32 s13, exec_lo, s13
	s_cbranch_execz .LBB6_5813
; %bb.5810:                             ;   in Loop: Header=BB6_5167 Depth=3
	v_bfe_u32 v13, v32, 2, 5
	s_mov_b32 s72, exec_lo
	s_delay_alu instid0(VALU_DEP_1)
	v_cmpx_eq_u32_e32 0, v13
; %bb.5811:                             ;   in Loop: Header=BB6_5167 Depth=3
	v_clz_i32_u32_e32 v13, v18
	s_delay_alu instid0(VALU_DEP_1) | instskip(NEXT) | instid1(VALU_DEP_1)
	v_min_u32_e32 v13, 32, v13
	v_subrev_nc_u32_e32 v18, 29, v13
	s_delay_alu instid0(VALU_DEP_1) | instskip(NEXT) | instid1(VALU_DEP_1)
	v_lshlrev_b64_e32 v[18:19], v18, v[32:33]
	v_dual_sub_nc_u32 v13, 30, v13 :: v_dual_bitop2_b32 v18, 3, v18 bitop3:0x40
; %bb.5812:                             ;   in Loop: Header=BB6_5167 Depth=3
	s_or_b32 exec_lo, exec_lo, s72
	v_lshlrev_b32_e32 v19, 24, v32
	s_delay_alu instid0(VALU_DEP_1) | instskip(NEXT) | instid1(VALU_DEP_1)
	v_and_b32_e32 v19, 0x80000000, v19
	v_lshl_add_u32 v13, v13, 23, v19
                                        ; implicit-def: $vgpr19
	s_delay_alu instid0(VALU_DEP_1) | instskip(NEXT) | instid1(VALU_DEP_1)
	v_lshl_or_b32 v13, v18, 21, v13
                                        ; implicit-def: $vgpr18
	v_add_nc_u32_e32 v13, 0x38000000, v13
.LBB6_5813:                             ;   in Loop: Header=BB6_5167 Depth=3
	s_and_not1_saveexec_b32 s72, s13
; %bb.5814:                             ;   in Loop: Header=BB6_5167 Depth=3
	v_cmp_lt_i16_e64 s13, -1, v19
	v_mov_b32_e32 v13, 0x7f800000
	v_cmp_eq_u32_e32 vcc_lo, 0, v18
	s_delay_alu instid0(VALU_DEP_2) | instskip(NEXT) | instid1(VALU_DEP_1)
	v_cndmask_b32_e64 v13, 0xff800000, v13, s13
	v_cndmask_b32_e32 v13, 0x7f800001, v13, vcc_lo
; %bb.5815:                             ;   in Loop: Header=BB6_5167 Depth=3
	s_or_b32 exec_lo, exec_lo, s72
.LBB6_5816:                             ;   in Loop: Header=BB6_5167 Depth=3
	s_delay_alu instid0(SALU_CYCLE_1)
	s_or_b32 exec_lo, exec_lo, s43
.LBB6_5817:                             ;   in Loop: Header=BB6_5167 Depth=3
	s_delay_alu instid0(SALU_CYCLE_1) | instskip(SKIP_3) | instid1(VALU_DEP_1)
	s_or_b32 exec_lo, exec_lo, s42
	s_wait_loadcnt 0x2
	v_and_b32_e32 v18, 0xff, v24
	s_mov_b32 s42, exec_lo
	v_cmpx_ne_u16_e32 0, v18
	s_cbranch_execz .LBB6_5827
; %bb.5818:                             ;   in Loop: Header=BB6_5167 Depth=3
	v_bfe_i32 v19, v24, 0, 8
	v_bfrev_b32_e32 v12, 1
	s_mov_b32 s43, exec_lo
	s_delay_alu instid0(VALU_DEP_2)
	v_cmpx_ne_u16_e32 0xff80, v19
	s_cbranch_execz .LBB6_5826
; %bb.5819:                             ;   in Loop: Header=BB6_5167 Depth=3
	v_and_b32_e32 v12, 0x7c, v24
	v_and_b32_e32 v18, 3, v24
	s_delay_alu instid0(VALU_DEP_2) | instskip(SKIP_1) | instid1(SALU_CYCLE_1)
	v_cmp_ne_u32_e32 vcc_lo, 0x7c, v12
                                        ; implicit-def: $vgpr12
	s_and_saveexec_b32 s13, vcc_lo
	s_xor_b32 s13, exec_lo, s13
	s_cbranch_execz .LBB6_5823
; %bb.5820:                             ;   in Loop: Header=BB6_5167 Depth=3
	v_bfe_u32 v12, v24, 2, 5
	s_mov_b32 s72, exec_lo
	s_delay_alu instid0(VALU_DEP_1)
	v_cmpx_eq_u32_e32 0, v12
; %bb.5821:                             ;   in Loop: Header=BB6_5167 Depth=3
	v_clz_i32_u32_e32 v12, v18
	s_delay_alu instid0(VALU_DEP_1) | instskip(NEXT) | instid1(VALU_DEP_1)
	v_min_u32_e32 v12, 32, v12
	v_subrev_nc_u32_e32 v18, 29, v12
	s_delay_alu instid0(VALU_DEP_1) | instskip(NEXT) | instid1(VALU_DEP_1)
	v_lshlrev_b64_e32 v[18:19], v18, v[24:25]
	v_dual_sub_nc_u32 v12, 30, v12 :: v_dual_bitop2_b32 v18, 3, v18 bitop3:0x40
; %bb.5822:                             ;   in Loop: Header=BB6_5167 Depth=3
	s_or_b32 exec_lo, exec_lo, s72
	v_lshlrev_b32_e32 v19, 24, v24
	s_delay_alu instid0(VALU_DEP_1) | instskip(NEXT) | instid1(VALU_DEP_1)
	v_and_b32_e32 v19, 0x80000000, v19
	v_lshl_add_u32 v12, v12, 23, v19
                                        ; implicit-def: $vgpr19
	s_delay_alu instid0(VALU_DEP_1) | instskip(NEXT) | instid1(VALU_DEP_1)
	v_lshl_or_b32 v12, v18, 21, v12
                                        ; implicit-def: $vgpr18
	v_add_nc_u32_e32 v12, 0x38000000, v12
.LBB6_5823:                             ;   in Loop: Header=BB6_5167 Depth=3
	s_and_not1_saveexec_b32 s72, s13
; %bb.5824:                             ;   in Loop: Header=BB6_5167 Depth=3
	v_cmp_lt_i16_e64 s13, -1, v19
	v_mov_b32_e32 v12, 0x7f800000
	v_cmp_eq_u32_e32 vcc_lo, 0, v18
	s_delay_alu instid0(VALU_DEP_2) | instskip(NEXT) | instid1(VALU_DEP_1)
	v_cndmask_b32_e64 v12, 0xff800000, v12, s13
	v_cndmask_b32_e32 v12, 0x7f800001, v12, vcc_lo
; %bb.5825:                             ;   in Loop: Header=BB6_5167 Depth=3
	s_or_b32 exec_lo, exec_lo, s72
.LBB6_5826:                             ;   in Loop: Header=BB6_5167 Depth=3
	s_delay_alu instid0(SALU_CYCLE_1)
	s_or_b32 exec_lo, exec_lo, s43
.LBB6_5827:                             ;   in Loop: Header=BB6_5167 Depth=3
	s_delay_alu instid0(SALU_CYCLE_1) | instskip(NEXT) | instid1(VALU_DEP_1)
	s_or_b32 exec_lo, exec_lo, s42
	v_mul_f32_e32 v18, v13, v12
	v_dual_mov_b32 v23, v21 :: v_dual_mov_b32 v13, v21
                                        ; implicit-def: $vgpr39
	s_mov_b32 s13, exec_lo
	s_delay_alu instid0(VALU_DEP_2) | instskip(SKIP_2) | instid1(VALU_DEP_3)
	v_and_b32_e32 v22, 0x7f800000, v18
	v_and_b32_e32 v12, 0x7fffff, v18
	v_lshrrev_b32_e32 v19, 24, v18
	v_cmpx_ne_u64_e32 0x7f800000, v[22:23]
	s_xor_b32 s42, exec_lo, s13
	s_cbranch_execz .LBB6_5841
; %bb.5828:                             ;   in Loop: Header=BB6_5167 Depth=3
	v_and_b32_e32 v22, 0x7fffffff, v18
	v_mov_b32_e32 v23, v21
	v_and_b32_e32 v20, 0x80, v19
                                        ; implicit-def: $vgpr39
	s_mov_b32 s13, exec_lo
	s_delay_alu instid0(VALU_DEP_2)
	v_cmpx_gt_u64_e32 0x47600001, v[22:23]
	s_xor_b32 s43, exec_lo, s13
	s_cbranch_execz .LBB6_5838
; %bb.5829:                             ;   in Loop: Header=BB6_5167 Depth=3
	v_mov_b32_e32 v39, 0
	s_mov_b32 s72, exec_lo
	v_cmpx_ne_u32_e32 0, v18
	s_cbranch_execz .LBB6_5837
; %bb.5830:                             ;   in Loop: Header=BB6_5167 Depth=3
	v_bfe_u32 v22, v18, 23, 8
	v_or_b32_e32 v19, 0x800000, v12
	s_delay_alu instid0(VALU_DEP_2) | instskip(SKIP_2) | instid1(VALU_DEP_2)
	v_cmp_gt_u32_e64 s13, 0x72, v22
	v_sub_nc_u32_e32 v18, 0x71, v22
	v_cmp_eq_u32_e32 vcc_lo, 0, v22
	v_dual_cndmask_b32 v18, 0, v18, s13 :: v_dual_cndmask_b32 v12, v19, v12, vcc_lo
	s_delay_alu instid0(VALU_DEP_1) | instskip(NEXT) | instid1(VALU_DEP_1)
	v_cndmask_b32_e64 v23, v18, 0x70, vcc_lo
	v_dual_add_nc_u32 v18, 21, v23 :: v_dual_add_nc_u32 v39, 20, v23
	s_delay_alu instid0(VALU_DEP_1) | instskip(NEXT) | instid1(VALU_DEP_2)
	v_lshlrev_b64_e64 v[18:19], v18, -1
	v_lshlrev_b64_e64 v[50:51], v39, 1
	s_delay_alu instid0(VALU_DEP_2) | instskip(SKIP_1) | instid1(VALU_DEP_4)
	v_bfi_b32 v18, v18, 0, v12
	v_lshrrev_b64 v[12:13], v23, v[12:13]
	v_bfi_b32 v19, v19, 0, 0
	s_delay_alu instid0(VALU_DEP_1) | instskip(NEXT) | instid1(VALU_DEP_3)
	v_cmp_eq_u64_e64 s13, v[18:19], v[50:51]
	v_mov_b64_e32 v[18:19], v[12:13]
	s_and_saveexec_b32 s73, s13
; %bb.5831:                             ;   in Loop: Header=BB6_5167 Depth=3
	v_bfe_u32 v18, v12, 21, 1
	v_mov_b32_e32 v19, v21
	s_delay_alu instid0(VALU_DEP_1) | instskip(NEXT) | instid1(VALU_DEP_1)
	v_add_nc_u64_e32 v[18:19], v[12:13], v[18:19]
	v_add_nc_u64_e32 v[18:19], -1, v[18:19]
; %bb.5832:                             ;   in Loop: Header=BB6_5167 Depth=3
	s_or_b32 exec_lo, exec_lo, s73
	v_add_nc_u32_e32 v13, 0xffffff81, v22
	v_lshrrev_b32_e32 v19, 23, v12
	s_mov_b32 s13, exec_lo
	s_delay_alu instid0(VALU_DEP_2) | instskip(NEXT) | instid1(VALU_DEP_1)
	v_cndmask_b32_e64 v13, v13, 0xffffff82, vcc_lo
	v_add3_u32 v22, v23, v13, v19
	v_and_b32_e32 v13, 0x1fffff, v18
                                        ; implicit-def: $vgpr18
	s_delay_alu instid0(VALU_DEP_1) | instskip(SKIP_1) | instid1(VALU_DEP_2)
	v_dual_add_nc_u32 v19, 14, v22 :: v_dual_add_nc_u32 v12, v13, v12
	v_mov_b32_e32 v13, v21
	v_cmpx_ne_u32_e32 0, v19
	s_xor_b32 s13, exec_lo, s13
; %bb.5833:                             ;   in Loop: Header=BB6_5167 Depth=3
	s_delay_alu instid0(VALU_DEP_2) | instskip(SKIP_1) | instid1(VALU_DEP_1)
	v_cmp_lt_u64_e32 vcc_lo, 0xffffff, v[12:13]
	v_add_nc_u32_e32 v18, 15, v22
	v_cndmask_b32_e32 v18, v19, v18, vcc_lo
	v_cndmask_b32_e64 v19, 0, 1, vcc_lo
	s_delay_alu instid0(VALU_DEP_1)
	v_lshrrev_b64 v[12:13], v19, v[12:13]
; %bb.5834:                             ;   in Loop: Header=BB6_5167 Depth=3
	s_and_not1_saveexec_b32 s13, s13
; %bb.5835:                             ;   in Loop: Header=BB6_5167 Depth=3
	s_delay_alu instid0(VALU_DEP_1)
	v_bfe_u32 v18, v12, 23, 1
; %bb.5836:                             ;   in Loop: Header=BB6_5167 Depth=3
	s_or_b32 exec_lo, exec_lo, s13
	s_delay_alu instid0(VALU_DEP_2) | instskip(NEXT) | instid1(VALU_DEP_2)
	v_lshrrev_b64 v[12:13], 21, v[12:13]
	v_cmp_gt_i32_e32 vcc_lo, 32, v18
	v_min_i32_e32 v19, 31, v18
	v_cmp_eq_u32_e64 s13, 0, v18
	s_delay_alu instid0(VALU_DEP_2) | instskip(SKIP_1) | instid1(VALU_DEP_2)
	v_dual_cndmask_b32 v13, 0, v13, vcc_lo :: v_dual_lshlrev_b32 v19, 2, v19
	v_cndmask_b32_e32 v12, 3, v12, vcc_lo
	v_and_b32_e32 v19, 0xfc, v19
	s_delay_alu instid0(VALU_DEP_2) | instskip(NEXT) | instid1(VALU_DEP_2)
	v_cmp_eq_u64_e32 vcc_lo, 0, v[12:13]
	v_and_or_b32 v12, v12, 3, v19
	s_and_b32 s13, s13, vcc_lo
	s_delay_alu instid0(VALU_DEP_1) | instid1(SALU_CYCLE_1)
	v_cndmask_b32_e64 v12, v12, 0, s13
	s_delay_alu instid0(VALU_DEP_1)
	v_or_b32_e32 v39, v12, v20
.LBB6_5837:                             ;   in Loop: Header=BB6_5167 Depth=3
	s_or_b32 exec_lo, exec_lo, s72
                                        ; implicit-def: $vgpr20
.LBB6_5838:                             ;   in Loop: Header=BB6_5167 Depth=3
	s_and_not1_saveexec_b32 s13, s43
; %bb.5839:                             ;   in Loop: Header=BB6_5167 Depth=3
	v_or_b32_e32 v39, 0x7b, v20
; %bb.5840:                             ;   in Loop: Header=BB6_5167 Depth=3
	s_or_b32 exec_lo, exec_lo, s13
                                        ; implicit-def: $vgpr18
                                        ; implicit-def: $vgpr12_vgpr13
                                        ; implicit-def: $vgpr19
.LBB6_5841:                             ;   in Loop: Header=BB6_5167 Depth=3
	s_and_not1_saveexec_b32 s13, s42
	s_cbranch_execz .LBB6_5847
; %bb.5842:                             ;   in Loop: Header=BB6_5167 Depth=3
	s_mov_b32 s42, exec_lo
                                        ; implicit-def: $vgpr39
	v_cmpx_ne_u64_e32 0, v[12:13]
	s_xor_b32 s42, exec_lo, s42
; %bb.5843:                             ;   in Loop: Header=BB6_5167 Depth=3
	v_or_b32_e32 v39, 0x7f, v19
                                        ; implicit-def: $vgpr18
; %bb.5844:                             ;   in Loop: Header=BB6_5167 Depth=3
	s_and_not1_saveexec_b32 s42, s42
; %bb.5845:                             ;   in Loop: Header=BB6_5167 Depth=3
	v_cmp_lt_i32_e32 vcc_lo, -1, v18
	v_mov_b32_e32 v12, 0x7c
	s_delay_alu instid0(VALU_DEP_1)
	v_cndmask_b32_e32 v39, 0xfc, v12, vcc_lo
; %bb.5846:                             ;   in Loop: Header=BB6_5167 Depth=3
	s_or_b32 exec_lo, exec_lo, s42
.LBB6_5847:                             ;   in Loop: Header=BB6_5167 Depth=3
	s_delay_alu instid0(SALU_CYCLE_1) | instskip(SKIP_3) | instid1(VALU_DEP_2)
	s_or_b32 exec_lo, exec_lo, s13
	v_lshrrev_b16 v12, 8, v32
	v_dual_mov_b32 v18, 0 :: v_dual_mov_b32 v19, 0
	s_mov_b32 s42, exec_lo
	v_cmpx_ne_u16_e32 0, v12
	s_cbranch_execz .LBB6_5857
; %bb.5848:                             ;   in Loop: Header=BB6_5167 Depth=3
	v_bfrev_b32_e32 v19, 1
	s_mov_b32 s43, exec_lo
	v_cmpx_ne_u16_e32 0x80, v12
	s_cbranch_execz .LBB6_5856
; %bb.5849:                             ;   in Loop: Header=BB6_5167 Depth=3
	v_and_b32_e32 v20, 0xffff, v12
	s_delay_alu instid0(VALU_DEP_1) | instskip(SKIP_1) | instid1(VALU_DEP_2)
	v_and_b32_e32 v19, 0x7c, v20
	v_and_b32_e32 v13, 3, v20
	v_cmp_ne_u32_e32 vcc_lo, 0x7c, v19
                                        ; implicit-def: $vgpr19
	s_and_saveexec_b32 s13, vcc_lo
	s_delay_alu instid0(SALU_CYCLE_1)
	s_xor_b32 s13, exec_lo, s13
	s_cbranch_execz .LBB6_5853
; %bb.5850:                             ;   in Loop: Header=BB6_5167 Depth=3
	v_bfe_u32 v19, v20, 2, 5
	s_mov_b32 s72, exec_lo
	s_delay_alu instid0(VALU_DEP_1)
	v_cmpx_eq_u32_e32 0, v19
	s_cbranch_execz .LBB6_5852
; %bb.5851:                             ;   in Loop: Header=BB6_5167 Depth=3
	v_clz_i32_u32_e32 v13, v13
	s_delay_alu instid0(VALU_DEP_1) | instskip(SKIP_1) | instid1(VALU_DEP_2)
	v_min_u32_e32 v19, 32, v13
	v_mov_b32_e32 v13, v21
	v_subrev_nc_u32_e32 v20, 29, v19
	v_sub_nc_u32_e32 v19, 30, v19
	s_delay_alu instid0(VALU_DEP_2) | instskip(NEXT) | instid1(VALU_DEP_1)
	v_lshlrev_b64_e32 v[12:13], v20, v[12:13]
	v_and_b32_e32 v13, 3, v12
.LBB6_5852:                             ;   in Loop: Header=BB6_5167 Depth=3
	s_or_b32 exec_lo, exec_lo, s72
	v_lshlrev_b32_e32 v12, 16, v32
	s_delay_alu instid0(VALU_DEP_1) | instskip(NEXT) | instid1(VALU_DEP_1)
	v_and_b32_e32 v12, 0x80000000, v12
	v_lshl_add_u32 v12, v19, 23, v12
	s_delay_alu instid0(VALU_DEP_1) | instskip(NEXT) | instid1(VALU_DEP_1)
	v_lshl_or_b32 v12, v13, 21, v12
                                        ; implicit-def: $vgpr13
	v_add_nc_u32_e32 v19, 0x38000000, v12
.LBB6_5853:                             ;   in Loop: Header=BB6_5167 Depth=3
	s_and_not1_saveexec_b32 s72, s13
; %bb.5854:                             ;   in Loop: Header=BB6_5167 Depth=3
	v_cmp_lt_i16_e64 s13, -1, v32
	v_mov_b32_e32 v12, 0x7f800000
	v_cmp_eq_u32_e32 vcc_lo, 0, v13
	s_delay_alu instid0(VALU_DEP_2) | instskip(NEXT) | instid1(VALU_DEP_1)
	v_cndmask_b32_e64 v12, 0xff800000, v12, s13
	v_cndmask_b32_e32 v19, 0x7f800001, v12, vcc_lo
; %bb.5855:                             ;   in Loop: Header=BB6_5167 Depth=3
	s_or_b32 exec_lo, exec_lo, s72
.LBB6_5856:                             ;   in Loop: Header=BB6_5167 Depth=3
	s_delay_alu instid0(SALU_CYCLE_1)
	s_or_b32 exec_lo, exec_lo, s43
.LBB6_5857:                             ;   in Loop: Header=BB6_5167 Depth=3
	s_delay_alu instid0(SALU_CYCLE_1) | instskip(SKIP_2) | instid1(VALU_DEP_1)
	s_or_b32 exec_lo, exec_lo, s42
	v_lshrrev_b16 v12, 8, v24
	s_mov_b32 s42, exec_lo
	v_cmpx_ne_u16_e32 0, v12
	s_cbranch_execz .LBB6_5867
; %bb.5858:                             ;   in Loop: Header=BB6_5167 Depth=3
	v_bfrev_b32_e32 v18, 1
	s_mov_b32 s43, exec_lo
	v_cmpx_ne_u16_e32 0x80, v12
	s_cbranch_execz .LBB6_5866
; %bb.5859:                             ;   in Loop: Header=BB6_5167 Depth=3
	v_and_b32_e32 v20, 0xffff, v12
	s_delay_alu instid0(VALU_DEP_1) | instskip(SKIP_1) | instid1(VALU_DEP_2)
	v_and_b32_e32 v18, 0x7c, v20
	v_and_b32_e32 v13, 3, v20
	v_cmp_ne_u32_e32 vcc_lo, 0x7c, v18
                                        ; implicit-def: $vgpr18
	s_and_saveexec_b32 s13, vcc_lo
	s_delay_alu instid0(SALU_CYCLE_1)
	s_xor_b32 s13, exec_lo, s13
	s_cbranch_execz .LBB6_5863
; %bb.5860:                             ;   in Loop: Header=BB6_5167 Depth=3
	v_bfe_u32 v18, v20, 2, 5
	s_mov_b32 s72, exec_lo
	s_delay_alu instid0(VALU_DEP_1)
	v_cmpx_eq_u32_e32 0, v18
	s_cbranch_execz .LBB6_5862
; %bb.5861:                             ;   in Loop: Header=BB6_5167 Depth=3
	v_clz_i32_u32_e32 v13, v13
	s_delay_alu instid0(VALU_DEP_1) | instskip(SKIP_1) | instid1(VALU_DEP_2)
	v_min_u32_e32 v18, 32, v13
	v_mov_b32_e32 v13, v21
	v_subrev_nc_u32_e32 v20, 29, v18
	v_sub_nc_u32_e32 v18, 30, v18
	s_delay_alu instid0(VALU_DEP_2) | instskip(NEXT) | instid1(VALU_DEP_1)
	v_lshlrev_b64_e32 v[12:13], v20, v[12:13]
	v_and_b32_e32 v13, 3, v12
.LBB6_5862:                             ;   in Loop: Header=BB6_5167 Depth=3
	s_or_b32 exec_lo, exec_lo, s72
	v_lshlrev_b32_e32 v12, 16, v24
	s_delay_alu instid0(VALU_DEP_1) | instskip(NEXT) | instid1(VALU_DEP_1)
	v_and_b32_e32 v12, 0x80000000, v12
	v_lshl_add_u32 v12, v18, 23, v12
	s_delay_alu instid0(VALU_DEP_1) | instskip(NEXT) | instid1(VALU_DEP_1)
	v_lshl_or_b32 v12, v13, 21, v12
                                        ; implicit-def: $vgpr13
	v_add_nc_u32_e32 v18, 0x38000000, v12
.LBB6_5863:                             ;   in Loop: Header=BB6_5167 Depth=3
	s_and_not1_saveexec_b32 s72, s13
; %bb.5864:                             ;   in Loop: Header=BB6_5167 Depth=3
	v_cmp_lt_i16_e64 s13, -1, v24
	v_mov_b32_e32 v12, 0x7f800000
	v_cmp_eq_u32_e32 vcc_lo, 0, v13
	s_delay_alu instid0(VALU_DEP_2) | instskip(NEXT) | instid1(VALU_DEP_1)
	v_cndmask_b32_e64 v12, 0xff800000, v12, s13
	v_cndmask_b32_e32 v18, 0x7f800001, v12, vcc_lo
; %bb.5865:                             ;   in Loop: Header=BB6_5167 Depth=3
	s_or_b32 exec_lo, exec_lo, s72
.LBB6_5866:                             ;   in Loop: Header=BB6_5167 Depth=3
	s_delay_alu instid0(SALU_CYCLE_1)
	s_or_b32 exec_lo, exec_lo, s43
.LBB6_5867:                             ;   in Loop: Header=BB6_5167 Depth=3
	s_delay_alu instid0(SALU_CYCLE_1) | instskip(NEXT) | instid1(VALU_DEP_1)
	s_or_b32 exec_lo, exec_lo, s42
	v_dual_mul_f32 v18, v19, v18 :: v_dual_mov_b32 v23, v21
	v_mov_b32_e32 v13, v21
                                        ; implicit-def: $vgpr50
	s_mov_b32 s13, exec_lo
	s_delay_alu instid0(VALU_DEP_2) | instskip(SKIP_2) | instid1(VALU_DEP_3)
	v_and_b32_e32 v22, 0x7f800000, v18
	v_and_b32_e32 v12, 0x7fffff, v18
	v_lshrrev_b32_e32 v19, 24, v18
	v_cmpx_ne_u64_e32 0x7f800000, v[22:23]
	s_xor_b32 s42, exec_lo, s13
	s_cbranch_execz .LBB6_5881
; %bb.5868:                             ;   in Loop: Header=BB6_5167 Depth=3
	v_and_b32_e32 v22, 0x7fffffff, v18
	v_mov_b32_e32 v23, v21
	v_and_b32_e32 v20, 0x80, v19
                                        ; implicit-def: $vgpr50
	s_mov_b32 s13, exec_lo
	s_delay_alu instid0(VALU_DEP_2)
	v_cmpx_gt_u64_e32 0x47600001, v[22:23]
	s_xor_b32 s43, exec_lo, s13
	s_cbranch_execz .LBB6_5878
; %bb.5869:                             ;   in Loop: Header=BB6_5167 Depth=3
	v_mov_b32_e32 v50, 0
	s_mov_b32 s72, exec_lo
	v_cmpx_ne_u32_e32 0, v18
	s_cbranch_execz .LBB6_5877
; %bb.5870:                             ;   in Loop: Header=BB6_5167 Depth=3
	v_bfe_u32 v22, v18, 23, 8
	v_or_b32_e32 v19, 0x800000, v12
	s_delay_alu instid0(VALU_DEP_2) | instskip(SKIP_2) | instid1(VALU_DEP_2)
	v_cmp_gt_u32_e64 s13, 0x72, v22
	v_sub_nc_u32_e32 v18, 0x71, v22
	v_cmp_eq_u32_e32 vcc_lo, 0, v22
	v_dual_cndmask_b32 v18, 0, v18, s13 :: v_dual_cndmask_b32 v12, v19, v12, vcc_lo
	s_delay_alu instid0(VALU_DEP_1) | instskip(NEXT) | instid1(VALU_DEP_1)
	v_cndmask_b32_e64 v23, v18, 0x70, vcc_lo
	v_dual_add_nc_u32 v18, 21, v23 :: v_dual_add_nc_u32 v50, 20, v23
	s_delay_alu instid0(VALU_DEP_1) | instskip(NEXT) | instid1(VALU_DEP_2)
	v_lshlrev_b64_e64 v[18:19], v18, -1
	v_lshlrev_b64_e64 v[50:51], v50, 1
	s_delay_alu instid0(VALU_DEP_2) | instskip(SKIP_1) | instid1(VALU_DEP_4)
	v_bfi_b32 v18, v18, 0, v12
	v_lshrrev_b64 v[12:13], v23, v[12:13]
	v_bfi_b32 v19, v19, 0, 0
	s_delay_alu instid0(VALU_DEP_1) | instskip(NEXT) | instid1(VALU_DEP_3)
	v_cmp_eq_u64_e64 s13, v[18:19], v[50:51]
	v_mov_b64_e32 v[18:19], v[12:13]
	s_and_saveexec_b32 s73, s13
; %bb.5871:                             ;   in Loop: Header=BB6_5167 Depth=3
	v_bfe_u32 v18, v12, 21, 1
	v_mov_b32_e32 v19, v21
	s_delay_alu instid0(VALU_DEP_1) | instskip(NEXT) | instid1(VALU_DEP_1)
	v_add_nc_u64_e32 v[18:19], v[12:13], v[18:19]
	v_add_nc_u64_e32 v[18:19], -1, v[18:19]
; %bb.5872:                             ;   in Loop: Header=BB6_5167 Depth=3
	s_or_b32 exec_lo, exec_lo, s73
	v_add_nc_u32_e32 v13, 0xffffff81, v22
	v_lshrrev_b32_e32 v19, 23, v12
	s_mov_b32 s13, exec_lo
	s_delay_alu instid0(VALU_DEP_2) | instskip(NEXT) | instid1(VALU_DEP_1)
	v_cndmask_b32_e64 v13, v13, 0xffffff82, vcc_lo
	v_add3_u32 v22, v23, v13, v19
	v_and_b32_e32 v13, 0x1fffff, v18
                                        ; implicit-def: $vgpr18
	s_delay_alu instid0(VALU_DEP_1) | instskip(SKIP_1) | instid1(VALU_DEP_2)
	v_dual_add_nc_u32 v19, 14, v22 :: v_dual_add_nc_u32 v12, v13, v12
	v_mov_b32_e32 v13, v21
	v_cmpx_ne_u32_e32 0, v19
	s_xor_b32 s13, exec_lo, s13
; %bb.5873:                             ;   in Loop: Header=BB6_5167 Depth=3
	s_delay_alu instid0(VALU_DEP_2) | instskip(SKIP_1) | instid1(VALU_DEP_1)
	v_cmp_lt_u64_e32 vcc_lo, 0xffffff, v[12:13]
	v_add_nc_u32_e32 v18, 15, v22
	v_cndmask_b32_e32 v18, v19, v18, vcc_lo
	v_cndmask_b32_e64 v19, 0, 1, vcc_lo
	s_delay_alu instid0(VALU_DEP_1)
	v_lshrrev_b64 v[12:13], v19, v[12:13]
; %bb.5874:                             ;   in Loop: Header=BB6_5167 Depth=3
	s_and_not1_saveexec_b32 s13, s13
; %bb.5875:                             ;   in Loop: Header=BB6_5167 Depth=3
	s_delay_alu instid0(VALU_DEP_1)
	v_bfe_u32 v18, v12, 23, 1
; %bb.5876:                             ;   in Loop: Header=BB6_5167 Depth=3
	s_or_b32 exec_lo, exec_lo, s13
	s_delay_alu instid0(VALU_DEP_2) | instskip(NEXT) | instid1(VALU_DEP_2)
	v_lshrrev_b64 v[12:13], 21, v[12:13]
	v_cmp_gt_i32_e32 vcc_lo, 32, v18
	v_min_i32_e32 v19, 31, v18
	v_cmp_eq_u32_e64 s13, 0, v18
	s_delay_alu instid0(VALU_DEP_2) | instskip(SKIP_1) | instid1(VALU_DEP_2)
	v_dual_cndmask_b32 v13, 0, v13, vcc_lo :: v_dual_lshlrev_b32 v19, 2, v19
	v_cndmask_b32_e32 v12, 3, v12, vcc_lo
	v_and_b32_e32 v19, 0xfc, v19
	s_delay_alu instid0(VALU_DEP_2) | instskip(NEXT) | instid1(VALU_DEP_2)
	v_cmp_eq_u64_e32 vcc_lo, 0, v[12:13]
	v_and_or_b32 v12, v12, 3, v19
	s_and_b32 s13, s13, vcc_lo
	s_delay_alu instid0(VALU_DEP_1) | instid1(SALU_CYCLE_1)
	v_cndmask_b32_e64 v12, v12, 0, s13
	s_delay_alu instid0(VALU_DEP_1)
	v_or_b32_e32 v50, v12, v20
.LBB6_5877:                             ;   in Loop: Header=BB6_5167 Depth=3
	s_or_b32 exec_lo, exec_lo, s72
                                        ; implicit-def: $vgpr20
.LBB6_5878:                             ;   in Loop: Header=BB6_5167 Depth=3
	s_and_not1_saveexec_b32 s13, s43
; %bb.5879:                             ;   in Loop: Header=BB6_5167 Depth=3
	v_or_b32_e32 v50, 0x7b, v20
; %bb.5880:                             ;   in Loop: Header=BB6_5167 Depth=3
	s_or_b32 exec_lo, exec_lo, s13
                                        ; implicit-def: $vgpr18
                                        ; implicit-def: $vgpr12_vgpr13
                                        ; implicit-def: $vgpr19
.LBB6_5881:                             ;   in Loop: Header=BB6_5167 Depth=3
	s_and_not1_saveexec_b32 s13, s42
	s_cbranch_execz .LBB6_5887
; %bb.5882:                             ;   in Loop: Header=BB6_5167 Depth=3
	s_mov_b32 s42, exec_lo
                                        ; implicit-def: $vgpr50
	v_cmpx_ne_u64_e32 0, v[12:13]
	s_xor_b32 s42, exec_lo, s42
; %bb.5883:                             ;   in Loop: Header=BB6_5167 Depth=3
	v_or_b32_e32 v50, 0x7f, v19
                                        ; implicit-def: $vgpr18
; %bb.5884:                             ;   in Loop: Header=BB6_5167 Depth=3
	s_and_not1_saveexec_b32 s42, s42
; %bb.5885:                             ;   in Loop: Header=BB6_5167 Depth=3
	v_cmp_lt_i32_e32 vcc_lo, -1, v18
	v_mov_b32_e32 v12, 0x7c
	s_delay_alu instid0(VALU_DEP_1)
	v_cndmask_b32_e32 v50, 0xfc, v12, vcc_lo
; %bb.5886:                             ;   in Loop: Header=BB6_5167 Depth=3
	s_or_b32 exec_lo, exec_lo, s42
.LBB6_5887:                             ;   in Loop: Header=BB6_5167 Depth=3
	s_delay_alu instid0(SALU_CYCLE_1) | instskip(SKIP_3) | instid1(VALU_DEP_2)
	s_or_b32 exec_lo, exec_lo, s13
	v_dual_mov_b32 v13, 0 :: v_dual_lshrrev_b32 v12, 16, v32
	v_mov_b32_e32 v18, 0
	s_mov_b32 s42, exec_lo
	v_and_b32_e32 v19, 0xff, v12
	s_delay_alu instid0(VALU_DEP_1)
	v_cmpx_ne_u16_e32 0, v19
	s_cbranch_execz .LBB6_5897
; %bb.5888:                             ;   in Loop: Header=BB6_5167 Depth=3
	v_bfrev_b32_e32 v18, 1
	s_mov_b32 s43, exec_lo
	v_cmpx_ne_u16_e32 0x80, v19
	s_cbranch_execz .LBB6_5896
; %bb.5889:                             ;   in Loop: Header=BB6_5167 Depth=3
	v_and_b32_e32 v18, 0x7c0000, v32
	v_bfe_u32 v19, v32, 16, 2
	s_delay_alu instid0(VALU_DEP_2) | instskip(SKIP_1) | instid1(SALU_CYCLE_1)
	v_cmp_ne_u32_e32 vcc_lo, 0x7c0000, v18
                                        ; implicit-def: $vgpr18
	s_and_saveexec_b32 s13, vcc_lo
	s_xor_b32 s13, exec_lo, s13
	s_cbranch_execz .LBB6_5893
; %bb.5890:                             ;   in Loop: Header=BB6_5167 Depth=3
	v_bfe_u32 v18, v32, 18, 5
	s_mov_b32 s72, exec_lo
	s_delay_alu instid0(VALU_DEP_1)
	v_cmpx_eq_u32_e32 0, v18
; %bb.5891:                             ;   in Loop: Header=BB6_5167 Depth=3
	v_clz_i32_u32_e32 v18, v19
	s_delay_alu instid0(VALU_DEP_1) | instskip(NEXT) | instid1(VALU_DEP_1)
	v_min_u32_e32 v18, 32, v18
	v_subrev_nc_u32_e32 v19, 29, v18
	v_sub_nc_u32_e32 v18, 30, v18
	s_delay_alu instid0(VALU_DEP_2) | instskip(NEXT) | instid1(VALU_DEP_1)
	v_lshlrev_b64_e32 v[22:23], v19, v[12:13]
	v_and_b32_e32 v19, 3, v22
; %bb.5892:                             ;   in Loop: Header=BB6_5167 Depth=3
	s_or_b32 exec_lo, exec_lo, s72
	v_lshlrev_b32_e32 v12, 24, v12
	s_delay_alu instid0(VALU_DEP_1) | instskip(NEXT) | instid1(VALU_DEP_1)
	v_and_b32_e32 v12, 0x80000000, v12
	v_lshl_add_u32 v12, v18, 23, v12
	s_delay_alu instid0(VALU_DEP_1) | instskip(NEXT) | instid1(VALU_DEP_1)
	v_lshl_or_b32 v12, v19, 21, v12
                                        ; implicit-def: $vgpr19
	v_add_nc_u32_e32 v18, 0x38000000, v12
                                        ; implicit-def: $vgpr12
.LBB6_5893:                             ;   in Loop: Header=BB6_5167 Depth=3
	s_and_not1_saveexec_b32 s72, s13
; %bb.5894:                             ;   in Loop: Header=BB6_5167 Depth=3
	v_bfe_i32 v12, v12, 0, 8
	v_cmp_eq_u32_e32 vcc_lo, 0, v19
	s_delay_alu instid0(VALU_DEP_2) | instskip(SKIP_1) | instid1(VALU_DEP_1)
	v_cmp_lt_i16_e64 s13, -1, v12
	v_mov_b32_e32 v12, 0x7f800000
	v_cndmask_b32_e64 v12, 0xff800000, v12, s13
	s_delay_alu instid0(VALU_DEP_1)
	v_cndmask_b32_e32 v18, 0x7f800001, v12, vcc_lo
; %bb.5895:                             ;   in Loop: Header=BB6_5167 Depth=3
	s_or_b32 exec_lo, exec_lo, s72
.LBB6_5896:                             ;   in Loop: Header=BB6_5167 Depth=3
	s_delay_alu instid0(SALU_CYCLE_1)
	s_or_b32 exec_lo, exec_lo, s43
.LBB6_5897:                             ;   in Loop: Header=BB6_5167 Depth=3
	s_delay_alu instid0(SALU_CYCLE_1) | instskip(SKIP_2) | instid1(VALU_DEP_1)
	s_or_b32 exec_lo, exec_lo, s42
	v_lshrrev_b32_e32 v12, 16, v24
	s_mov_b32 s42, exec_lo
	v_and_b32_e32 v19, 0xff, v12
	s_delay_alu instid0(VALU_DEP_1)
	v_cmpx_ne_u16_e32 0, v19
	s_cbranch_execz .LBB6_5907
; %bb.5898:                             ;   in Loop: Header=BB6_5167 Depth=3
	v_bfrev_b32_e32 v13, 1
	s_mov_b32 s43, exec_lo
	v_cmpx_ne_u16_e32 0x80, v19
	s_cbranch_execz .LBB6_5906
; %bb.5899:                             ;   in Loop: Header=BB6_5167 Depth=3
	v_and_b32_e32 v13, 0x7c0000, v24
	v_bfe_u32 v19, v24, 16, 2
	s_delay_alu instid0(VALU_DEP_2) | instskip(SKIP_1) | instid1(SALU_CYCLE_1)
	v_cmp_ne_u32_e32 vcc_lo, 0x7c0000, v13
                                        ; implicit-def: $vgpr13
	s_and_saveexec_b32 s13, vcc_lo
	s_xor_b32 s13, exec_lo, s13
	s_cbranch_execz .LBB6_5903
; %bb.5900:                             ;   in Loop: Header=BB6_5167 Depth=3
	v_bfe_u32 v13, v24, 18, 5
	s_mov_b32 s72, exec_lo
	s_delay_alu instid0(VALU_DEP_1)
	v_cmpx_eq_u32_e32 0, v13
; %bb.5901:                             ;   in Loop: Header=BB6_5167 Depth=3
	v_clz_i32_u32_e32 v13, v19
	s_delay_alu instid0(VALU_DEP_1) | instskip(NEXT) | instid1(VALU_DEP_1)
	v_min_u32_e32 v13, 32, v13
	v_subrev_nc_u32_e32 v19, 29, v13
	s_delay_alu instid0(VALU_DEP_1) | instskip(NEXT) | instid1(VALU_DEP_1)
	v_lshlrev_b64_e32 v[22:23], v19, v[12:13]
	v_dual_sub_nc_u32 v13, 30, v13 :: v_dual_bitop2_b32 v19, 3, v22 bitop3:0x40
; %bb.5902:                             ;   in Loop: Header=BB6_5167 Depth=3
	s_or_b32 exec_lo, exec_lo, s72
	v_lshlrev_b32_e32 v12, 24, v12
	s_delay_alu instid0(VALU_DEP_1) | instskip(NEXT) | instid1(VALU_DEP_1)
	v_and_b32_e32 v12, 0x80000000, v12
	v_lshl_add_u32 v12, v13, 23, v12
	s_delay_alu instid0(VALU_DEP_1) | instskip(NEXT) | instid1(VALU_DEP_1)
	v_lshl_or_b32 v12, v19, 21, v12
                                        ; implicit-def: $vgpr19
	v_add_nc_u32_e32 v13, 0x38000000, v12
                                        ; implicit-def: $vgpr12
.LBB6_5903:                             ;   in Loop: Header=BB6_5167 Depth=3
	s_and_not1_saveexec_b32 s72, s13
; %bb.5904:                             ;   in Loop: Header=BB6_5167 Depth=3
	v_bfe_i32 v12, v12, 0, 8
	v_cmp_eq_u32_e32 vcc_lo, 0, v19
	s_delay_alu instid0(VALU_DEP_2) | instskip(SKIP_1) | instid1(VALU_DEP_1)
	v_cmp_lt_i16_e64 s13, -1, v12
	v_mov_b32_e32 v12, 0x7f800000
	v_cndmask_b32_e64 v12, 0xff800000, v12, s13
	s_delay_alu instid0(VALU_DEP_1)
	v_cndmask_b32_e32 v13, 0x7f800001, v12, vcc_lo
; %bb.5905:                             ;   in Loop: Header=BB6_5167 Depth=3
	s_or_b32 exec_lo, exec_lo, s72
.LBB6_5906:                             ;   in Loop: Header=BB6_5167 Depth=3
	s_delay_alu instid0(SALU_CYCLE_1)
	s_or_b32 exec_lo, exec_lo, s43
.LBB6_5907:                             ;   in Loop: Header=BB6_5167 Depth=3
	s_delay_alu instid0(SALU_CYCLE_1) | instskip(NEXT) | instid1(VALU_DEP_1)
	s_or_b32 exec_lo, exec_lo, s42
	v_dual_mul_f32 v18, v18, v13 :: v_dual_mov_b32 v23, v21
	v_mov_b32_e32 v13, v21
                                        ; implicit-def: $vgpr51
	s_mov_b32 s13, exec_lo
	s_delay_alu instid0(VALU_DEP_2) | instskip(SKIP_2) | instid1(VALU_DEP_3)
	v_and_b32_e32 v22, 0x7f800000, v18
	v_and_b32_e32 v12, 0x7fffff, v18
	v_lshrrev_b32_e32 v19, 24, v18
	v_cmpx_ne_u64_e32 0x7f800000, v[22:23]
	s_xor_b32 s42, exec_lo, s13
	s_cbranch_execz .LBB6_5921
; %bb.5908:                             ;   in Loop: Header=BB6_5167 Depth=3
	v_and_b32_e32 v22, 0x7fffffff, v18
	v_mov_b32_e32 v23, v21
	v_and_b32_e32 v20, 0x80, v19
                                        ; implicit-def: $vgpr51
	s_mov_b32 s13, exec_lo
	s_delay_alu instid0(VALU_DEP_2)
	v_cmpx_gt_u64_e32 0x47600001, v[22:23]
	s_xor_b32 s43, exec_lo, s13
	s_cbranch_execz .LBB6_5918
; %bb.5909:                             ;   in Loop: Header=BB6_5167 Depth=3
	v_mov_b32_e32 v51, 0
	s_mov_b32 s72, exec_lo
	v_cmpx_ne_u32_e32 0, v18
	s_cbranch_execz .LBB6_5917
; %bb.5910:                             ;   in Loop: Header=BB6_5167 Depth=3
	v_bfe_u32 v22, v18, 23, 8
	v_or_b32_e32 v19, 0x800000, v12
	s_delay_alu instid0(VALU_DEP_2) | instskip(SKIP_2) | instid1(VALU_DEP_2)
	v_cmp_gt_u32_e64 s13, 0x72, v22
	v_sub_nc_u32_e32 v18, 0x71, v22
	v_cmp_eq_u32_e32 vcc_lo, 0, v22
	v_dual_cndmask_b32 v18, 0, v18, s13 :: v_dual_cndmask_b32 v12, v19, v12, vcc_lo
	s_delay_alu instid0(VALU_DEP_1) | instskip(NEXT) | instid1(VALU_DEP_1)
	v_cndmask_b32_e64 v23, v18, 0x70, vcc_lo
	v_dual_add_nc_u32 v18, 21, v23 :: v_dual_add_nc_u32 v51, 20, v23
	s_delay_alu instid0(VALU_DEP_1) | instskip(NEXT) | instid1(VALU_DEP_2)
	v_lshlrev_b64_e64 v[18:19], v18, -1
	v_lshlrev_b64_e64 v[70:71], v51, 1
	s_delay_alu instid0(VALU_DEP_2) | instskip(SKIP_1) | instid1(VALU_DEP_4)
	v_bfi_b32 v18, v18, 0, v12
	v_lshrrev_b64 v[12:13], v23, v[12:13]
	v_bfi_b32 v19, v19, 0, 0
	s_delay_alu instid0(VALU_DEP_1) | instskip(NEXT) | instid1(VALU_DEP_3)
	v_cmp_eq_u64_e64 s13, v[18:19], v[70:71]
	v_mov_b64_e32 v[18:19], v[12:13]
	s_and_saveexec_b32 s73, s13
; %bb.5911:                             ;   in Loop: Header=BB6_5167 Depth=3
	v_bfe_u32 v18, v12, 21, 1
	v_mov_b32_e32 v19, v21
	s_delay_alu instid0(VALU_DEP_1) | instskip(NEXT) | instid1(VALU_DEP_1)
	v_add_nc_u64_e32 v[18:19], v[12:13], v[18:19]
	v_add_nc_u64_e32 v[18:19], -1, v[18:19]
; %bb.5912:                             ;   in Loop: Header=BB6_5167 Depth=3
	s_or_b32 exec_lo, exec_lo, s73
	v_add_nc_u32_e32 v13, 0xffffff81, v22
	v_lshrrev_b32_e32 v19, 23, v12
	s_mov_b32 s13, exec_lo
	s_delay_alu instid0(VALU_DEP_2) | instskip(NEXT) | instid1(VALU_DEP_1)
	v_cndmask_b32_e64 v13, v13, 0xffffff82, vcc_lo
	v_add3_u32 v22, v23, v13, v19
	v_and_b32_e32 v13, 0x1fffff, v18
                                        ; implicit-def: $vgpr18
	s_delay_alu instid0(VALU_DEP_1) | instskip(SKIP_1) | instid1(VALU_DEP_2)
	v_dual_add_nc_u32 v19, 14, v22 :: v_dual_add_nc_u32 v12, v13, v12
	v_mov_b32_e32 v13, v21
	v_cmpx_ne_u32_e32 0, v19
	s_xor_b32 s13, exec_lo, s13
; %bb.5913:                             ;   in Loop: Header=BB6_5167 Depth=3
	s_delay_alu instid0(VALU_DEP_2) | instskip(SKIP_1) | instid1(VALU_DEP_1)
	v_cmp_lt_u64_e32 vcc_lo, 0xffffff, v[12:13]
	v_add_nc_u32_e32 v18, 15, v22
	v_cndmask_b32_e32 v18, v19, v18, vcc_lo
	v_cndmask_b32_e64 v19, 0, 1, vcc_lo
	s_delay_alu instid0(VALU_DEP_1)
	v_lshrrev_b64 v[12:13], v19, v[12:13]
; %bb.5914:                             ;   in Loop: Header=BB6_5167 Depth=3
	s_and_not1_saveexec_b32 s13, s13
; %bb.5915:                             ;   in Loop: Header=BB6_5167 Depth=3
	s_delay_alu instid0(VALU_DEP_1)
	v_bfe_u32 v18, v12, 23, 1
; %bb.5916:                             ;   in Loop: Header=BB6_5167 Depth=3
	s_or_b32 exec_lo, exec_lo, s13
	s_delay_alu instid0(VALU_DEP_2) | instskip(NEXT) | instid1(VALU_DEP_2)
	v_lshrrev_b64 v[12:13], 21, v[12:13]
	v_cmp_gt_i32_e32 vcc_lo, 32, v18
	v_min_i32_e32 v19, 31, v18
	v_cmp_eq_u32_e64 s13, 0, v18
	s_delay_alu instid0(VALU_DEP_2) | instskip(SKIP_1) | instid1(VALU_DEP_2)
	v_dual_cndmask_b32 v13, 0, v13, vcc_lo :: v_dual_lshlrev_b32 v19, 2, v19
	v_cndmask_b32_e32 v12, 3, v12, vcc_lo
	v_and_b32_e32 v19, 0xfc, v19
	s_delay_alu instid0(VALU_DEP_2) | instskip(NEXT) | instid1(VALU_DEP_2)
	v_cmp_eq_u64_e32 vcc_lo, 0, v[12:13]
	v_and_or_b32 v12, v12, 3, v19
	s_and_b32 s13, s13, vcc_lo
	s_delay_alu instid0(VALU_DEP_1) | instid1(SALU_CYCLE_1)
	v_cndmask_b32_e64 v12, v12, 0, s13
	s_delay_alu instid0(VALU_DEP_1)
	v_or_b32_e32 v51, v12, v20
.LBB6_5917:                             ;   in Loop: Header=BB6_5167 Depth=3
	s_or_b32 exec_lo, exec_lo, s72
                                        ; implicit-def: $vgpr20
.LBB6_5918:                             ;   in Loop: Header=BB6_5167 Depth=3
	s_and_not1_saveexec_b32 s13, s43
; %bb.5919:                             ;   in Loop: Header=BB6_5167 Depth=3
	v_or_b32_e32 v51, 0x7b, v20
; %bb.5920:                             ;   in Loop: Header=BB6_5167 Depth=3
	s_or_b32 exec_lo, exec_lo, s13
                                        ; implicit-def: $vgpr18
                                        ; implicit-def: $vgpr12_vgpr13
                                        ; implicit-def: $vgpr19
.LBB6_5921:                             ;   in Loop: Header=BB6_5167 Depth=3
	s_and_not1_saveexec_b32 s13, s42
	s_cbranch_execz .LBB6_5927
; %bb.5922:                             ;   in Loop: Header=BB6_5167 Depth=3
	s_mov_b32 s42, exec_lo
                                        ; implicit-def: $vgpr51
	v_cmpx_ne_u64_e32 0, v[12:13]
	s_xor_b32 s42, exec_lo, s42
; %bb.5923:                             ;   in Loop: Header=BB6_5167 Depth=3
	v_or_b32_e32 v51, 0x7f, v19
                                        ; implicit-def: $vgpr18
; %bb.5924:                             ;   in Loop: Header=BB6_5167 Depth=3
	s_and_not1_saveexec_b32 s42, s42
; %bb.5925:                             ;   in Loop: Header=BB6_5167 Depth=3
	v_cmp_lt_i32_e32 vcc_lo, -1, v18
	v_mov_b32_e32 v12, 0x7c
	s_delay_alu instid0(VALU_DEP_1)
	v_cndmask_b32_e32 v51, 0xfc, v12, vcc_lo
; %bb.5926:                             ;   in Loop: Header=BB6_5167 Depth=3
	s_or_b32 exec_lo, exec_lo, s42
.LBB6_5927:                             ;   in Loop: Header=BB6_5167 Depth=3
	s_delay_alu instid0(SALU_CYCLE_1)
	s_or_b32 exec_lo, exec_lo, s13
	v_dual_mov_b32 v13, 0 :: v_dual_mov_b32 v18, 0
	s_mov_b32 s42, exec_lo
	v_cmpx_lt_u32_e32 0xffffff, v32
	s_cbranch_execz .LBB6_5937
; %bb.5928:                             ;   in Loop: Header=BB6_5167 Depth=3
	v_lshrrev_b32_e32 v12, 24, v32
	v_bfrev_b32_e32 v18, 1
	s_mov_b32 s43, exec_lo
	s_delay_alu instid0(VALU_DEP_2)
	v_cmpx_ne_u32_e32 0x80, v12
	s_cbranch_execz .LBB6_5936
; %bb.5929:                             ;   in Loop: Header=BB6_5167 Depth=3
	v_and_b32_e32 v18, 0x7c000000, v32
	v_bfe_u32 v19, v32, 24, 2
	s_delay_alu instid0(VALU_DEP_2) | instskip(SKIP_1) | instid1(SALU_CYCLE_1)
	v_cmp_ne_u32_e32 vcc_lo, 0x7c000000, v18
                                        ; implicit-def: $vgpr18
	s_and_saveexec_b32 s13, vcc_lo
	s_xor_b32 s13, exec_lo, s13
	s_cbranch_execz .LBB6_5933
; %bb.5930:                             ;   in Loop: Header=BB6_5167 Depth=3
	v_bfe_u32 v18, v32, 26, 5
	s_mov_b32 s72, exec_lo
	s_delay_alu instid0(VALU_DEP_1)
	v_cmpx_eq_u32_e32 0, v18
; %bb.5931:                             ;   in Loop: Header=BB6_5167 Depth=3
	v_clz_i32_u32_e32 v18, v19
	s_delay_alu instid0(VALU_DEP_1) | instskip(NEXT) | instid1(VALU_DEP_1)
	v_min_u32_e32 v18, 32, v18
	v_subrev_nc_u32_e32 v19, 29, v18
	v_sub_nc_u32_e32 v18, 30, v18
	s_delay_alu instid0(VALU_DEP_2) | instskip(NEXT) | instid1(VALU_DEP_1)
	v_lshlrev_b64_e32 v[22:23], v19, v[12:13]
	v_and_b32_e32 v19, 3, v22
; %bb.5932:                             ;   in Loop: Header=BB6_5167 Depth=3
	s_or_b32 exec_lo, exec_lo, s72
	v_and_b32_e32 v12, 0x80000000, v32
	s_delay_alu instid0(VALU_DEP_1) | instskip(NEXT) | instid1(VALU_DEP_1)
	v_lshl_add_u32 v12, v18, 23, v12
	v_lshl_or_b32 v12, v19, 21, v12
                                        ; implicit-def: $vgpr19
	s_delay_alu instid0(VALU_DEP_1)
	v_add_nc_u32_e32 v18, 0x38000000, v12
.LBB6_5933:                             ;   in Loop: Header=BB6_5167 Depth=3
	s_and_not1_saveexec_b32 s72, s13
; %bb.5934:                             ;   in Loop: Header=BB6_5167 Depth=3
	v_cmp_lt_i32_e64 s13, -1, v32
	v_mov_b32_e32 v12, 0x7f800000
	v_cmp_eq_u32_e32 vcc_lo, 0, v19
	s_delay_alu instid0(VALU_DEP_2) | instskip(NEXT) | instid1(VALU_DEP_1)
	v_cndmask_b32_e64 v12, 0xff800000, v12, s13
	v_cndmask_b32_e32 v18, 0x7f800001, v12, vcc_lo
; %bb.5935:                             ;   in Loop: Header=BB6_5167 Depth=3
	s_or_b32 exec_lo, exec_lo, s72
.LBB6_5936:                             ;   in Loop: Header=BB6_5167 Depth=3
	s_delay_alu instid0(SALU_CYCLE_1)
	s_or_b32 exec_lo, exec_lo, s43
.LBB6_5937:                             ;   in Loop: Header=BB6_5167 Depth=3
	s_delay_alu instid0(SALU_CYCLE_1) | instskip(NEXT) | instid1(SALU_CYCLE_1)
	s_or_b32 exec_lo, exec_lo, s42
	s_mov_b32 s42, exec_lo
	v_cmpx_lt_u32_e32 0xffffff, v24
	s_cbranch_execz .LBB6_5947
; %bb.5938:                             ;   in Loop: Header=BB6_5167 Depth=3
	v_lshrrev_b32_e32 v12, 24, v24
	v_bfrev_b32_e32 v13, 1
	s_mov_b32 s43, exec_lo
	s_delay_alu instid0(VALU_DEP_2)
	v_cmpx_ne_u32_e32 0x80, v12
	s_cbranch_execz .LBB6_5946
; %bb.5939:                             ;   in Loop: Header=BB6_5167 Depth=3
	v_and_b32_e32 v13, 0x7c000000, v24
	v_bfe_u32 v19, v24, 24, 2
	s_delay_alu instid0(VALU_DEP_2) | instskip(SKIP_1) | instid1(SALU_CYCLE_1)
	v_cmp_ne_u32_e32 vcc_lo, 0x7c000000, v13
                                        ; implicit-def: $vgpr13
	s_and_saveexec_b32 s13, vcc_lo
	s_xor_b32 s13, exec_lo, s13
	s_cbranch_execz .LBB6_5943
; %bb.5940:                             ;   in Loop: Header=BB6_5167 Depth=3
	v_bfe_u32 v13, v24, 26, 5
	s_mov_b32 s72, exec_lo
	s_delay_alu instid0(VALU_DEP_1)
	v_cmpx_eq_u32_e32 0, v13
; %bb.5941:                             ;   in Loop: Header=BB6_5167 Depth=3
	v_clz_i32_u32_e32 v13, v19
	s_delay_alu instid0(VALU_DEP_1) | instskip(NEXT) | instid1(VALU_DEP_1)
	v_min_u32_e32 v19, 32, v13
	v_subrev_nc_u32_e32 v13, 29, v19
	s_delay_alu instid0(VALU_DEP_1) | instskip(NEXT) | instid1(VALU_DEP_1)
	v_lshlrev_b64_e32 v[12:13], v13, v[12:13]
	v_dual_sub_nc_u32 v13, 30, v19 :: v_dual_bitop2_b32 v19, 3, v12 bitop3:0x40
; %bb.5942:                             ;   in Loop: Header=BB6_5167 Depth=3
	s_or_b32 exec_lo, exec_lo, s72
	v_and_b32_e32 v12, 0x80000000, v24
	s_delay_alu instid0(VALU_DEP_1) | instskip(NEXT) | instid1(VALU_DEP_1)
	v_lshl_add_u32 v12, v13, 23, v12
	v_lshl_or_b32 v12, v19, 21, v12
                                        ; implicit-def: $vgpr19
	s_delay_alu instid0(VALU_DEP_1)
	v_add_nc_u32_e32 v13, 0x38000000, v12
.LBB6_5943:                             ;   in Loop: Header=BB6_5167 Depth=3
	s_and_not1_saveexec_b32 s72, s13
; %bb.5944:                             ;   in Loop: Header=BB6_5167 Depth=3
	v_cmp_lt_i32_e64 s13, -1, v24
	v_mov_b32_e32 v12, 0x7f800000
	v_cmp_eq_u32_e32 vcc_lo, 0, v19
	s_delay_alu instid0(VALU_DEP_2) | instskip(NEXT) | instid1(VALU_DEP_1)
	v_cndmask_b32_e64 v12, 0xff800000, v12, s13
	v_cndmask_b32_e32 v13, 0x7f800001, v12, vcc_lo
; %bb.5945:                             ;   in Loop: Header=BB6_5167 Depth=3
	s_or_b32 exec_lo, exec_lo, s72
.LBB6_5946:                             ;   in Loop: Header=BB6_5167 Depth=3
	s_delay_alu instid0(SALU_CYCLE_1)
	s_or_b32 exec_lo, exec_lo, s43
.LBB6_5947:                             ;   in Loop: Header=BB6_5167 Depth=3
	s_delay_alu instid0(SALU_CYCLE_1) | instskip(NEXT) | instid1(VALU_DEP_1)
	s_or_b32 exec_lo, exec_lo, s42
	v_dual_mul_f32 v18, v18, v13 :: v_dual_mov_b32 v23, v21
	v_mov_b32_e32 v13, v21
                                        ; implicit-def: $vgpr69
	s_mov_b32 s13, exec_lo
	s_delay_alu instid0(VALU_DEP_2) | instskip(SKIP_2) | instid1(VALU_DEP_3)
	v_and_b32_e32 v22, 0x7f800000, v18
	v_and_b32_e32 v12, 0x7fffff, v18
	v_lshrrev_b32_e32 v19, 24, v18
	v_cmpx_ne_u64_e32 0x7f800000, v[22:23]
	s_xor_b32 s42, exec_lo, s13
	s_cbranch_execz .LBB6_5961
; %bb.5948:                             ;   in Loop: Header=BB6_5167 Depth=3
	v_and_b32_e32 v22, 0x7fffffff, v18
	v_mov_b32_e32 v23, v21
	v_and_b32_e32 v20, 0x80, v19
                                        ; implicit-def: $vgpr69
	s_mov_b32 s13, exec_lo
	s_delay_alu instid0(VALU_DEP_2)
	v_cmpx_gt_u64_e32 0x47600001, v[22:23]
	s_xor_b32 s43, exec_lo, s13
	s_cbranch_execz .LBB6_5958
; %bb.5949:                             ;   in Loop: Header=BB6_5167 Depth=3
	v_mov_b32_e32 v69, 0
	s_mov_b32 s72, exec_lo
	v_cmpx_ne_u32_e32 0, v18
	s_cbranch_execz .LBB6_5957
; %bb.5950:                             ;   in Loop: Header=BB6_5167 Depth=3
	v_bfe_u32 v22, v18, 23, 8
	v_or_b32_e32 v19, 0x800000, v12
	s_delay_alu instid0(VALU_DEP_2) | instskip(SKIP_2) | instid1(VALU_DEP_2)
	v_cmp_gt_u32_e64 s13, 0x72, v22
	v_sub_nc_u32_e32 v18, 0x71, v22
	v_cmp_eq_u32_e32 vcc_lo, 0, v22
	v_dual_cndmask_b32 v18, 0, v18, s13 :: v_dual_cndmask_b32 v12, v19, v12, vcc_lo
	s_delay_alu instid0(VALU_DEP_1) | instskip(NEXT) | instid1(VALU_DEP_1)
	v_cndmask_b32_e64 v23, v18, 0x70, vcc_lo
	v_dual_add_nc_u32 v18, 21, v23 :: v_dual_add_nc_u32 v69, 20, v23
	s_delay_alu instid0(VALU_DEP_1) | instskip(NEXT) | instid1(VALU_DEP_2)
	v_lshlrev_b64_e64 v[18:19], v18, -1
	v_lshlrev_b64_e64 v[70:71], v69, 1
	s_delay_alu instid0(VALU_DEP_2) | instskip(SKIP_1) | instid1(VALU_DEP_4)
	v_bfi_b32 v18, v18, 0, v12
	v_lshrrev_b64 v[12:13], v23, v[12:13]
	v_bfi_b32 v19, v19, 0, 0
	s_delay_alu instid0(VALU_DEP_1) | instskip(NEXT) | instid1(VALU_DEP_3)
	v_cmp_eq_u64_e64 s13, v[18:19], v[70:71]
	v_mov_b64_e32 v[18:19], v[12:13]
	s_and_saveexec_b32 s73, s13
; %bb.5951:                             ;   in Loop: Header=BB6_5167 Depth=3
	v_bfe_u32 v18, v12, 21, 1
	v_mov_b32_e32 v19, v21
	s_delay_alu instid0(VALU_DEP_1) | instskip(NEXT) | instid1(VALU_DEP_1)
	v_add_nc_u64_e32 v[18:19], v[12:13], v[18:19]
	v_add_nc_u64_e32 v[18:19], -1, v[18:19]
; %bb.5952:                             ;   in Loop: Header=BB6_5167 Depth=3
	s_or_b32 exec_lo, exec_lo, s73
	v_add_nc_u32_e32 v13, 0xffffff81, v22
	v_lshrrev_b32_e32 v19, 23, v12
	s_mov_b32 s13, exec_lo
	s_delay_alu instid0(VALU_DEP_2) | instskip(NEXT) | instid1(VALU_DEP_1)
	v_cndmask_b32_e64 v13, v13, 0xffffff82, vcc_lo
	v_add3_u32 v22, v23, v13, v19
	v_and_b32_e32 v13, 0x1fffff, v18
                                        ; implicit-def: $vgpr18
	s_delay_alu instid0(VALU_DEP_1) | instskip(SKIP_1) | instid1(VALU_DEP_2)
	v_dual_add_nc_u32 v19, 14, v22 :: v_dual_add_nc_u32 v12, v13, v12
	v_mov_b32_e32 v13, v21
	v_cmpx_ne_u32_e32 0, v19
	s_xor_b32 s13, exec_lo, s13
; %bb.5953:                             ;   in Loop: Header=BB6_5167 Depth=3
	s_delay_alu instid0(VALU_DEP_2) | instskip(SKIP_1) | instid1(VALU_DEP_1)
	v_cmp_lt_u64_e32 vcc_lo, 0xffffff, v[12:13]
	v_add_nc_u32_e32 v18, 15, v22
	v_cndmask_b32_e32 v18, v19, v18, vcc_lo
	v_cndmask_b32_e64 v19, 0, 1, vcc_lo
	s_delay_alu instid0(VALU_DEP_1)
	v_lshrrev_b64 v[12:13], v19, v[12:13]
; %bb.5954:                             ;   in Loop: Header=BB6_5167 Depth=3
	s_and_not1_saveexec_b32 s13, s13
; %bb.5955:                             ;   in Loop: Header=BB6_5167 Depth=3
	s_delay_alu instid0(VALU_DEP_1)
	v_bfe_u32 v18, v12, 23, 1
; %bb.5956:                             ;   in Loop: Header=BB6_5167 Depth=3
	s_or_b32 exec_lo, exec_lo, s13
	s_delay_alu instid0(VALU_DEP_2) | instskip(NEXT) | instid1(VALU_DEP_2)
	v_lshrrev_b64 v[12:13], 21, v[12:13]
	v_cmp_gt_i32_e32 vcc_lo, 32, v18
	v_min_i32_e32 v19, 31, v18
	v_cmp_eq_u32_e64 s13, 0, v18
	s_delay_alu instid0(VALU_DEP_2) | instskip(SKIP_1) | instid1(VALU_DEP_2)
	v_dual_cndmask_b32 v13, 0, v13, vcc_lo :: v_dual_lshlrev_b32 v19, 2, v19
	v_cndmask_b32_e32 v12, 3, v12, vcc_lo
	v_and_b32_e32 v19, 0xfc, v19
	s_delay_alu instid0(VALU_DEP_2) | instskip(NEXT) | instid1(VALU_DEP_2)
	v_cmp_eq_u64_e32 vcc_lo, 0, v[12:13]
	v_and_or_b32 v12, v12, 3, v19
	s_and_b32 s13, s13, vcc_lo
	s_delay_alu instid0(VALU_DEP_1) | instid1(SALU_CYCLE_1)
	v_cndmask_b32_e64 v12, v12, 0, s13
	s_delay_alu instid0(VALU_DEP_1)
	v_or_b32_e32 v69, v12, v20
.LBB6_5957:                             ;   in Loop: Header=BB6_5167 Depth=3
	s_or_b32 exec_lo, exec_lo, s72
                                        ; implicit-def: $vgpr20
.LBB6_5958:                             ;   in Loop: Header=BB6_5167 Depth=3
	s_and_not1_saveexec_b32 s13, s43
; %bb.5959:                             ;   in Loop: Header=BB6_5167 Depth=3
	v_or_b32_e32 v69, 0x7b, v20
; %bb.5960:                             ;   in Loop: Header=BB6_5167 Depth=3
	s_or_b32 exec_lo, exec_lo, s13
                                        ; implicit-def: $vgpr18
                                        ; implicit-def: $vgpr12_vgpr13
                                        ; implicit-def: $vgpr19
.LBB6_5961:                             ;   in Loop: Header=BB6_5167 Depth=3
	s_and_not1_saveexec_b32 s13, s42
	s_cbranch_execz .LBB6_5967
; %bb.5962:                             ;   in Loop: Header=BB6_5167 Depth=3
	s_mov_b32 s42, exec_lo
                                        ; implicit-def: $vgpr69
	v_cmpx_ne_u64_e32 0, v[12:13]
	s_xor_b32 s42, exec_lo, s42
; %bb.5963:                             ;   in Loop: Header=BB6_5167 Depth=3
	v_or_b32_e32 v69, 0x7f, v19
                                        ; implicit-def: $vgpr18
; %bb.5964:                             ;   in Loop: Header=BB6_5167 Depth=3
	s_and_not1_saveexec_b32 s42, s42
; %bb.5965:                             ;   in Loop: Header=BB6_5167 Depth=3
	v_cmp_lt_i32_e32 vcc_lo, -1, v18
	v_mov_b32_e32 v12, 0x7c
	s_delay_alu instid0(VALU_DEP_1)
	v_cndmask_b32_e32 v69, 0xfc, v12, vcc_lo
; %bb.5966:                             ;   in Loop: Header=BB6_5167 Depth=3
	s_or_b32 exec_lo, exec_lo, s42
.LBB6_5967:                             ;   in Loop: Header=BB6_5167 Depth=3
	s_delay_alu instid0(SALU_CYCLE_1) | instskip(SKIP_4) | instid1(VALU_DEP_3)
	s_or_b32 exec_lo, exec_lo, s13
	v_and_b32_e32 v20, 0xff, v33
	v_dual_mov_b32 v12, v33 :: v_dual_mov_b32 v13, v21
	v_dual_mov_b32 v19, 0 :: v_dual_mov_b32 v18, 0
	s_mov_b32 s42, exec_lo
	v_cmpx_ne_u16_e32 0, v20
	s_cbranch_execz .LBB6_5977
; %bb.5968:                             ;   in Loop: Header=BB6_5167 Depth=3
	v_bfrev_b32_e32 v18, 1
	s_mov_b32 s43, exec_lo
	v_cmpx_ne_u16_e32 0x80, v20
	s_cbranch_execz .LBB6_5976
; %bb.5969:                             ;   in Loop: Header=BB6_5167 Depth=3
	v_and_b32_e32 v18, 0x7c, v33
	v_and_b32_e32 v20, 3, v33
	s_delay_alu instid0(VALU_DEP_2) | instskip(SKIP_1) | instid1(SALU_CYCLE_1)
	v_cmp_ne_u32_e32 vcc_lo, 0x7c, v18
                                        ; implicit-def: $vgpr18
	s_and_saveexec_b32 s13, vcc_lo
	s_xor_b32 s13, exec_lo, s13
	s_cbranch_execz .LBB6_5973
; %bb.5970:                             ;   in Loop: Header=BB6_5167 Depth=3
	v_bfe_u32 v18, v33, 2, 5
	s_mov_b32 s72, exec_lo
	s_delay_alu instid0(VALU_DEP_1)
	v_cmpx_eq_u32_e32 0, v18
; %bb.5971:                             ;   in Loop: Header=BB6_5167 Depth=3
	v_clz_i32_u32_e32 v18, v20
	s_delay_alu instid0(VALU_DEP_1) | instskip(NEXT) | instid1(VALU_DEP_1)
	v_min_u32_e32 v18, 32, v18
	v_subrev_nc_u32_e32 v20, 29, v18
	v_sub_nc_u32_e32 v18, 30, v18
	s_delay_alu instid0(VALU_DEP_2) | instskip(NEXT) | instid1(VALU_DEP_1)
	v_lshlrev_b64_e32 v[22:23], v20, v[12:13]
	v_and_b32_e32 v20, 3, v22
; %bb.5972:                             ;   in Loop: Header=BB6_5167 Depth=3
	s_or_b32 exec_lo, exec_lo, s72
	v_lshlrev_b32_e32 v13, 24, v33
	s_delay_alu instid0(VALU_DEP_1) | instskip(NEXT) | instid1(VALU_DEP_1)
	v_and_b32_e32 v13, 0x80000000, v13
	v_lshl_add_u32 v13, v18, 23, v13
	s_delay_alu instid0(VALU_DEP_1) | instskip(NEXT) | instid1(VALU_DEP_1)
	v_lshl_or_b32 v13, v20, 21, v13
                                        ; implicit-def: $vgpr20
	v_add_nc_u32_e32 v18, 0x38000000, v13
.LBB6_5973:                             ;   in Loop: Header=BB6_5167 Depth=3
	s_and_not1_saveexec_b32 s72, s13
; %bb.5974:                             ;   in Loop: Header=BB6_5167 Depth=3
	v_bfe_i32 v13, v33, 0, 8
	v_cmp_eq_u32_e32 vcc_lo, 0, v20
	s_delay_alu instid0(VALU_DEP_2) | instskip(SKIP_1) | instid1(VALU_DEP_1)
	v_cmp_lt_i16_e64 s13, -1, v13
	v_mov_b32_e32 v13, 0x7f800000
	v_cndmask_b32_e64 v13, 0xff800000, v13, s13
	s_delay_alu instid0(VALU_DEP_1)
	v_cndmask_b32_e32 v18, 0x7f800001, v13, vcc_lo
; %bb.5975:                             ;   in Loop: Header=BB6_5167 Depth=3
	s_or_b32 exec_lo, exec_lo, s72
.LBB6_5976:                             ;   in Loop: Header=BB6_5167 Depth=3
	s_delay_alu instid0(SALU_CYCLE_1)
	s_or_b32 exec_lo, exec_lo, s43
.LBB6_5977:                             ;   in Loop: Header=BB6_5167 Depth=3
	s_delay_alu instid0(SALU_CYCLE_1) | instskip(SKIP_2) | instid1(VALU_DEP_1)
	s_or_b32 exec_lo, exec_lo, s42
	v_and_b32_e32 v13, 0xff, v25
	s_mov_b32 s42, exec_lo
	v_cmpx_ne_u16_e32 0, v13
	s_cbranch_execz .LBB6_5987
; %bb.5978:                             ;   in Loop: Header=BB6_5167 Depth=3
	v_bfrev_b32_e32 v19, 1
	s_mov_b32 s43, exec_lo
	v_cmpx_ne_u16_e32 0x80, v13
	s_cbranch_execz .LBB6_5986
; %bb.5979:                             ;   in Loop: Header=BB6_5167 Depth=3
	v_and_b32_e32 v19, 0x7c, v25
	v_and_b32_e32 v13, 3, v25
	s_delay_alu instid0(VALU_DEP_2) | instskip(SKIP_1) | instid1(SALU_CYCLE_1)
	v_cmp_ne_u32_e32 vcc_lo, 0x7c, v19
                                        ; implicit-def: $vgpr19
	s_and_saveexec_b32 s13, vcc_lo
	s_xor_b32 s13, exec_lo, s13
	s_cbranch_execz .LBB6_5983
; %bb.5980:                             ;   in Loop: Header=BB6_5167 Depth=3
	v_bfe_u32 v19, v25, 2, 5
	s_mov_b32 s72, exec_lo
	s_delay_alu instid0(VALU_DEP_1)
	v_cmpx_eq_u32_e32 0, v19
; %bb.5981:                             ;   in Loop: Header=BB6_5167 Depth=3
	v_clz_i32_u32_e32 v13, v13
	v_dual_mov_b32 v22, v25 :: v_dual_mov_b32 v23, v21
	s_delay_alu instid0(VALU_DEP_2) | instskip(NEXT) | instid1(VALU_DEP_1)
	v_min_u32_e32 v13, 32, v13
	v_subrev_nc_u32_e32 v19, 29, v13
	s_delay_alu instid0(VALU_DEP_1) | instskip(NEXT) | instid1(VALU_DEP_1)
	v_lshlrev_b64_e32 v[22:23], v19, v[22:23]
	v_dual_sub_nc_u32 v19, 30, v13 :: v_dual_bitop2_b32 v13, 3, v22 bitop3:0x40
; %bb.5982:                             ;   in Loop: Header=BB6_5167 Depth=3
	s_or_b32 exec_lo, exec_lo, s72
	v_lshlrev_b32_e32 v20, 24, v25
	s_delay_alu instid0(VALU_DEP_1) | instskip(NEXT) | instid1(VALU_DEP_1)
	v_and_b32_e32 v20, 0x80000000, v20
	v_lshl_add_u32 v19, v19, 23, v20
	s_delay_alu instid0(VALU_DEP_1) | instskip(NEXT) | instid1(VALU_DEP_1)
	v_lshl_or_b32 v13, v13, 21, v19
	v_add_nc_u32_e32 v19, 0x38000000, v13
                                        ; implicit-def: $vgpr13
.LBB6_5983:                             ;   in Loop: Header=BB6_5167 Depth=3
	s_and_not1_saveexec_b32 s72, s13
; %bb.5984:                             ;   in Loop: Header=BB6_5167 Depth=3
	v_bfe_i32 v19, v25, 0, 8
	v_cmp_eq_u32_e32 vcc_lo, 0, v13
	v_mov_b32_e32 v13, 0x7f800000
	s_delay_alu instid0(VALU_DEP_3) | instskip(NEXT) | instid1(VALU_DEP_1)
	v_cmp_lt_i16_e64 s13, -1, v19
	v_cndmask_b32_e64 v13, 0xff800000, v13, s13
	s_delay_alu instid0(VALU_DEP_1)
	v_cndmask_b32_e32 v19, 0x7f800001, v13, vcc_lo
; %bb.5985:                             ;   in Loop: Header=BB6_5167 Depth=3
	s_or_b32 exec_lo, exec_lo, s72
.LBB6_5986:                             ;   in Loop: Header=BB6_5167 Depth=3
	s_delay_alu instid0(SALU_CYCLE_1)
	s_or_b32 exec_lo, exec_lo, s43
.LBB6_5987:                             ;   in Loop: Header=BB6_5167 Depth=3
	s_delay_alu instid0(SALU_CYCLE_1) | instskip(NEXT) | instid1(VALU_DEP_1)
	s_or_b32 exec_lo, exec_lo, s42
	v_dual_mul_f32 v20, v18, v19 :: v_dual_mov_b32 v23, v21
	v_mov_b32_e32 v19, v21
                                        ; implicit-def: $vgpr70
	s_mov_b32 s13, exec_lo
	s_delay_alu instid0(VALU_DEP_2) | instskip(SKIP_2) | instid1(VALU_DEP_3)
	v_and_b32_e32 v22, 0x7f800000, v20
	v_and_b32_e32 v18, 0x7fffff, v20
	v_lshrrev_b32_e32 v13, 24, v20
	v_cmpx_ne_u64_e32 0x7f800000, v[22:23]
	s_xor_b32 s42, exec_lo, s13
	s_cbranch_execz .LBB6_6001
; %bb.5988:                             ;   in Loop: Header=BB6_5167 Depth=3
	v_and_b32_e32 v22, 0x7fffffff, v20
	v_mov_b32_e32 v23, v21
	v_and_b32_e32 v13, 0x80, v13
                                        ; implicit-def: $vgpr70
	s_mov_b32 s13, exec_lo
	s_delay_alu instid0(VALU_DEP_2)
	v_cmpx_gt_u64_e32 0x47600001, v[22:23]
	s_xor_b32 s43, exec_lo, s13
	s_cbranch_execz .LBB6_5998
; %bb.5989:                             ;   in Loop: Header=BB6_5167 Depth=3
	v_mov_b32_e32 v70, 0
	s_mov_b32 s72, exec_lo
	v_cmpx_ne_u32_e32 0, v20
	s_cbranch_execz .LBB6_5997
; %bb.5990:                             ;   in Loop: Header=BB6_5167 Depth=3
	v_bfe_u32 v20, v20, 23, 8
	v_or_b32_e32 v23, 0x800000, v18
	s_delay_alu instid0(VALU_DEP_2) | instskip(SKIP_2) | instid1(VALU_DEP_2)
	v_cmp_gt_u32_e64 s13, 0x72, v20
	v_sub_nc_u32_e32 v22, 0x71, v20
	v_cmp_eq_u32_e32 vcc_lo, 0, v20
	v_cndmask_b32_e64 v22, 0, v22, s13
	v_cndmask_b32_e32 v18, v23, v18, vcc_lo
	s_delay_alu instid0(VALU_DEP_2) | instskip(NEXT) | instid1(VALU_DEP_1)
	v_cndmask_b32_e64 v70, v22, 0x70, vcc_lo
	v_dual_add_nc_u32 v22, 21, v70 :: v_dual_add_nc_u32 v71, 20, v70
	s_delay_alu instid0(VALU_DEP_1) | instskip(NEXT) | instid1(VALU_DEP_2)
	v_lshlrev_b64_e64 v[22:23], v22, -1
	v_lshlrev_b64_e64 v[80:81], v71, 1
	s_delay_alu instid0(VALU_DEP_2) | instskip(SKIP_1) | instid1(VALU_DEP_4)
	v_bfi_b32 v22, v22, 0, v18
	v_lshrrev_b64 v[18:19], v70, v[18:19]
	v_bfi_b32 v23, v23, 0, 0
	s_delay_alu instid0(VALU_DEP_1) | instskip(NEXT) | instid1(VALU_DEP_3)
	v_cmp_eq_u64_e64 s13, v[22:23], v[80:81]
	v_mov_b64_e32 v[22:23], v[18:19]
	s_and_saveexec_b32 s73, s13
; %bb.5991:                             ;   in Loop: Header=BB6_5167 Depth=3
	v_bfe_u32 v22, v18, 21, 1
	v_mov_b32_e32 v23, v21
	s_delay_alu instid0(VALU_DEP_1) | instskip(NEXT) | instid1(VALU_DEP_1)
	v_add_nc_u64_e32 v[22:23], v[18:19], v[22:23]
	v_add_nc_u64_e32 v[22:23], -1, v[22:23]
; %bb.5992:                             ;   in Loop: Header=BB6_5167 Depth=3
	s_or_b32 exec_lo, exec_lo, s73
	v_add_nc_u32_e32 v19, 0xffffff81, v20
	v_lshrrev_b32_e32 v20, 23, v18
	s_mov_b32 s13, exec_lo
	s_delay_alu instid0(VALU_DEP_2) | instskip(NEXT) | instid1(VALU_DEP_1)
	v_cndmask_b32_e64 v19, v19, 0xffffff82, vcc_lo
	v_add3_u32 v23, v70, v19, v20
	v_and_b32_e32 v19, 0x1fffff, v22
                                        ; implicit-def: $vgpr20
	s_delay_alu instid0(VALU_DEP_1) | instskip(SKIP_1) | instid1(VALU_DEP_2)
	v_dual_add_nc_u32 v22, 14, v23 :: v_dual_add_nc_u32 v18, v19, v18
	v_mov_b32_e32 v19, v21
	v_cmpx_ne_u32_e32 0, v22
	s_xor_b32 s13, exec_lo, s13
; %bb.5993:                             ;   in Loop: Header=BB6_5167 Depth=3
	s_delay_alu instid0(VALU_DEP_2) | instskip(SKIP_1) | instid1(VALU_DEP_1)
	v_cmp_lt_u64_e32 vcc_lo, 0xffffff, v[18:19]
	v_add_nc_u32_e32 v20, 15, v23
	v_cndmask_b32_e32 v20, v22, v20, vcc_lo
	v_cndmask_b32_e64 v22, 0, 1, vcc_lo
	s_delay_alu instid0(VALU_DEP_1)
	v_lshrrev_b64 v[18:19], v22, v[18:19]
; %bb.5994:                             ;   in Loop: Header=BB6_5167 Depth=3
	s_and_not1_saveexec_b32 s13, s13
; %bb.5995:                             ;   in Loop: Header=BB6_5167 Depth=3
	s_delay_alu instid0(VALU_DEP_1)
	v_bfe_u32 v20, v18, 23, 1
; %bb.5996:                             ;   in Loop: Header=BB6_5167 Depth=3
	s_or_b32 exec_lo, exec_lo, s13
	s_delay_alu instid0(VALU_DEP_2) | instskip(NEXT) | instid1(VALU_DEP_2)
	v_lshrrev_b64 v[18:19], 21, v[18:19]
	v_cmp_gt_i32_e32 vcc_lo, 32, v20
	v_min_i32_e32 v22, 31, v20
	v_cmp_eq_u32_e64 s13, 0, v20
	s_delay_alu instid0(VALU_DEP_2) | instskip(SKIP_1) | instid1(VALU_DEP_2)
	v_dual_cndmask_b32 v19, 0, v19 :: v_dual_lshlrev_b32 v22, 2, v22
	v_cndmask_b32_e32 v18, 3, v18, vcc_lo
	v_and_b32_e32 v22, 0xfc, v22
	s_delay_alu instid0(VALU_DEP_2) | instskip(NEXT) | instid1(VALU_DEP_2)
	v_cmp_eq_u64_e32 vcc_lo, 0, v[18:19]
	v_and_or_b32 v18, v18, 3, v22
	s_and_b32 s13, s13, vcc_lo
	s_delay_alu instid0(VALU_DEP_1) | instid1(SALU_CYCLE_1)
	v_cndmask_b32_e64 v18, v18, 0, s13
	s_delay_alu instid0(VALU_DEP_1)
	v_or_b32_e32 v70, v18, v13
.LBB6_5997:                             ;   in Loop: Header=BB6_5167 Depth=3
	s_or_b32 exec_lo, exec_lo, s72
                                        ; implicit-def: $vgpr13
.LBB6_5998:                             ;   in Loop: Header=BB6_5167 Depth=3
	s_and_not1_saveexec_b32 s13, s43
; %bb.5999:                             ;   in Loop: Header=BB6_5167 Depth=3
	v_or_b32_e32 v70, 0x7b, v13
; %bb.6000:                             ;   in Loop: Header=BB6_5167 Depth=3
	s_or_b32 exec_lo, exec_lo, s13
                                        ; implicit-def: $vgpr20
                                        ; implicit-def: $vgpr18_vgpr19
                                        ; implicit-def: $vgpr13
.LBB6_6001:                             ;   in Loop: Header=BB6_5167 Depth=3
	s_and_not1_saveexec_b32 s13, s42
	s_cbranch_execz .LBB6_6007
; %bb.6002:                             ;   in Loop: Header=BB6_5167 Depth=3
	s_mov_b32 s42, exec_lo
                                        ; implicit-def: $vgpr70
	v_cmpx_ne_u64_e32 0, v[18:19]
	s_xor_b32 s42, exec_lo, s42
; %bb.6003:                             ;   in Loop: Header=BB6_5167 Depth=3
	v_or_b32_e32 v70, 0x7f, v13
                                        ; implicit-def: $vgpr20
; %bb.6004:                             ;   in Loop: Header=BB6_5167 Depth=3
	s_and_not1_saveexec_b32 s42, s42
; %bb.6005:                             ;   in Loop: Header=BB6_5167 Depth=3
	v_cmp_lt_i32_e32 vcc_lo, -1, v20
	v_mov_b32_e32 v13, 0x7c
	s_delay_alu instid0(VALU_DEP_1)
	v_cndmask_b32_e32 v70, 0xfc, v13, vcc_lo
; %bb.6006:                             ;   in Loop: Header=BB6_5167 Depth=3
	s_or_b32 exec_lo, exec_lo, s42
.LBB6_6007:                             ;   in Loop: Header=BB6_5167 Depth=3
	s_delay_alu instid0(SALU_CYCLE_1) | instskip(SKIP_3) | instid1(VALU_DEP_2)
	s_or_b32 exec_lo, exec_lo, s13
	v_lshrrev_b16 v18, 8, v12
	v_dual_mov_b32 v20, 0 :: v_dual_mov_b32 v19, 0
	s_mov_b32 s42, exec_lo
	v_cmpx_ne_u16_e32 0, v18
	s_cbranch_execz .LBB6_6017
; %bb.6008:                             ;   in Loop: Header=BB6_5167 Depth=3
	v_bfrev_b32_e32 v19, 1
	s_mov_b32 s43, exec_lo
	v_cmpx_ne_u16_e32 0x80, v18
	s_cbranch_execz .LBB6_6016
; %bb.6009:                             ;   in Loop: Header=BB6_5167 Depth=3
	v_and_b32_e32 v13, 0xffff, v18
	s_delay_alu instid0(VALU_DEP_1) | instskip(SKIP_1) | instid1(VALU_DEP_2)
	v_and_b32_e32 v19, 0x7c, v13
	v_and_b32_e32 v22, 3, v13
	v_cmp_ne_u32_e32 vcc_lo, 0x7c, v19
                                        ; implicit-def: $vgpr19
	s_and_saveexec_b32 s13, vcc_lo
	s_delay_alu instid0(SALU_CYCLE_1)
	s_xor_b32 s13, exec_lo, s13
	s_cbranch_execz .LBB6_6013
; %bb.6010:                             ;   in Loop: Header=BB6_5167 Depth=3
	v_bfe_u32 v13, v13, 2, 5
	s_mov_b32 s72, exec_lo
	s_delay_alu instid0(VALU_DEP_1)
	v_cmpx_eq_u32_e32 0, v13
	s_cbranch_execz .LBB6_6012
; %bb.6011:                             ;   in Loop: Header=BB6_5167 Depth=3
	v_clz_i32_u32_e32 v13, v22
	s_delay_alu instid0(VALU_DEP_1) | instskip(SKIP_1) | instid1(VALU_DEP_2)
	v_min_u32_e32 v13, 32, v13
	v_mov_b32_e32 v19, v21
	v_subrev_nc_u32_e32 v22, 29, v13
	v_sub_nc_u32_e32 v13, 30, v13
	s_delay_alu instid0(VALU_DEP_2) | instskip(NEXT) | instid1(VALU_DEP_1)
	v_lshlrev_b64_e32 v[18:19], v22, v[18:19]
	v_and_b32_e32 v22, 3, v18
.LBB6_6012:                             ;   in Loop: Header=BB6_5167 Depth=3
	s_or_b32 exec_lo, exec_lo, s72
	v_lshlrev_b32_e32 v12, 16, v12
	s_delay_alu instid0(VALU_DEP_1) | instskip(NEXT) | instid1(VALU_DEP_1)
	v_and_b32_e32 v12, 0x80000000, v12
	v_lshl_add_u32 v12, v13, 23, v12
	s_delay_alu instid0(VALU_DEP_1) | instskip(NEXT) | instid1(VALU_DEP_1)
	v_lshl_or_b32 v12, v22, 21, v12
                                        ; implicit-def: $vgpr22
	v_add_nc_u32_e32 v19, 0x38000000, v12
                                        ; implicit-def: $vgpr12_vgpr13
.LBB6_6013:                             ;   in Loop: Header=BB6_5167 Depth=3
	s_and_not1_saveexec_b32 s72, s13
; %bb.6014:                             ;   in Loop: Header=BB6_5167 Depth=3
	v_cmp_lt_i16_e64 s13, -1, v12
	v_mov_b32_e32 v12, 0x7f800000
	v_cmp_eq_u32_e32 vcc_lo, 0, v22
	s_delay_alu instid0(VALU_DEP_2) | instskip(NEXT) | instid1(VALU_DEP_1)
	v_cndmask_b32_e64 v12, 0xff800000, v12, s13
	v_cndmask_b32_e32 v19, 0x7f800001, v12, vcc_lo
; %bb.6015:                             ;   in Loop: Header=BB6_5167 Depth=3
	s_or_b32 exec_lo, exec_lo, s72
.LBB6_6016:                             ;   in Loop: Header=BB6_5167 Depth=3
	s_delay_alu instid0(SALU_CYCLE_1)
	s_or_b32 exec_lo, exec_lo, s43
.LBB6_6017:                             ;   in Loop: Header=BB6_5167 Depth=3
	s_delay_alu instid0(SALU_CYCLE_1) | instskip(SKIP_2) | instid1(VALU_DEP_1)
	s_or_b32 exec_lo, exec_lo, s42
	v_lshrrev_b16 v12, 8, v25
	s_mov_b32 s42, exec_lo
	v_cmpx_ne_u16_e32 0, v12
	s_cbranch_execz .LBB6_6027
; %bb.6018:                             ;   in Loop: Header=BB6_5167 Depth=3
	v_bfrev_b32_e32 v20, 1
	s_mov_b32 s43, exec_lo
	v_cmpx_ne_u16_e32 0x80, v12
	s_cbranch_execz .LBB6_6026
; %bb.6019:                             ;   in Loop: Header=BB6_5167 Depth=3
	v_and_b32_e32 v18, 0xffff, v12
	s_delay_alu instid0(VALU_DEP_1) | instskip(SKIP_1) | instid1(VALU_DEP_2)
	v_and_b32_e32 v20, 0x7c, v18
	v_and_b32_e32 v13, 3, v18
	v_cmp_ne_u32_e32 vcc_lo, 0x7c, v20
                                        ; implicit-def: $vgpr20
	s_and_saveexec_b32 s13, vcc_lo
	s_delay_alu instid0(SALU_CYCLE_1)
	s_xor_b32 s13, exec_lo, s13
	s_cbranch_execz .LBB6_6023
; %bb.6020:                             ;   in Loop: Header=BB6_5167 Depth=3
	v_bfe_u32 v18, v18, 2, 5
	s_mov_b32 s72, exec_lo
	s_delay_alu instid0(VALU_DEP_1)
	v_cmpx_eq_u32_e32 0, v18
	s_cbranch_execz .LBB6_6022
; %bb.6021:                             ;   in Loop: Header=BB6_5167 Depth=3
	v_clz_i32_u32_e32 v13, v13
	s_delay_alu instid0(VALU_DEP_1) | instskip(SKIP_1) | instid1(VALU_DEP_2)
	v_min_u32_e32 v18, 32, v13
	v_mov_b32_e32 v13, v21
	v_subrev_nc_u32_e32 v20, 29, v18
	v_sub_nc_u32_e32 v18, 30, v18
	s_delay_alu instid0(VALU_DEP_2) | instskip(NEXT) | instid1(VALU_DEP_1)
	v_lshlrev_b64_e32 v[12:13], v20, v[12:13]
	v_and_b32_e32 v13, 3, v12
.LBB6_6022:                             ;   in Loop: Header=BB6_5167 Depth=3
	s_or_b32 exec_lo, exec_lo, s72
	v_lshlrev_b32_e32 v12, 16, v25
	s_delay_alu instid0(VALU_DEP_1) | instskip(NEXT) | instid1(VALU_DEP_1)
	v_and_b32_e32 v12, 0x80000000, v12
	v_lshl_add_u32 v12, v18, 23, v12
	s_delay_alu instid0(VALU_DEP_1) | instskip(NEXT) | instid1(VALU_DEP_1)
	v_lshl_or_b32 v12, v13, 21, v12
                                        ; implicit-def: $vgpr13
	v_add_nc_u32_e32 v20, 0x38000000, v12
.LBB6_6023:                             ;   in Loop: Header=BB6_5167 Depth=3
	s_and_not1_saveexec_b32 s72, s13
; %bb.6024:                             ;   in Loop: Header=BB6_5167 Depth=3
	v_cmp_lt_i16_e64 s13, -1, v25
	v_mov_b32_e32 v12, 0x7f800000
	v_cmp_eq_u32_e32 vcc_lo, 0, v13
	s_delay_alu instid0(VALU_DEP_2) | instskip(NEXT) | instid1(VALU_DEP_1)
	v_cndmask_b32_e64 v12, 0xff800000, v12, s13
	v_cndmask_b32_e32 v20, 0x7f800001, v12, vcc_lo
; %bb.6025:                             ;   in Loop: Header=BB6_5167 Depth=3
	s_or_b32 exec_lo, exec_lo, s72
.LBB6_6026:                             ;   in Loop: Header=BB6_5167 Depth=3
	s_delay_alu instid0(SALU_CYCLE_1)
	s_or_b32 exec_lo, exec_lo, s43
.LBB6_6027:                             ;   in Loop: Header=BB6_5167 Depth=3
	s_delay_alu instid0(SALU_CYCLE_1) | instskip(NEXT) | instid1(VALU_DEP_1)
	s_or_b32 exec_lo, exec_lo, s42
	v_dual_mul_f32 v18, v19, v20 :: v_dual_mov_b32 v23, v21
	v_mov_b32_e32 v13, v21
                                        ; implicit-def: $vgpr71
	s_mov_b32 s13, exec_lo
	s_delay_alu instid0(VALU_DEP_2) | instskip(SKIP_2) | instid1(VALU_DEP_3)
	v_and_b32_e32 v22, 0x7f800000, v18
	v_and_b32_e32 v12, 0x7fffff, v18
	v_lshrrev_b32_e32 v19, 24, v18
	v_cmpx_ne_u64_e32 0x7f800000, v[22:23]
	s_xor_b32 s42, exec_lo, s13
	s_cbranch_execz .LBB6_6041
; %bb.6028:                             ;   in Loop: Header=BB6_5167 Depth=3
	v_and_b32_e32 v22, 0x7fffffff, v18
	v_mov_b32_e32 v23, v21
	v_and_b32_e32 v20, 0x80, v19
                                        ; implicit-def: $vgpr71
	s_mov_b32 s13, exec_lo
	s_delay_alu instid0(VALU_DEP_2)
	v_cmpx_gt_u64_e32 0x47600001, v[22:23]
	s_xor_b32 s43, exec_lo, s13
	s_cbranch_execz .LBB6_6038
; %bb.6029:                             ;   in Loop: Header=BB6_5167 Depth=3
	v_mov_b32_e32 v71, 0
	s_mov_b32 s72, exec_lo
	v_cmpx_ne_u32_e32 0, v18
	s_cbranch_execz .LBB6_6037
; %bb.6030:                             ;   in Loop: Header=BB6_5167 Depth=3
	v_bfe_u32 v22, v18, 23, 8
	v_or_b32_e32 v19, 0x800000, v12
	s_delay_alu instid0(VALU_DEP_2) | instskip(SKIP_2) | instid1(VALU_DEP_2)
	v_cmp_gt_u32_e64 s13, 0x72, v22
	v_sub_nc_u32_e32 v18, 0x71, v22
	v_cmp_eq_u32_e32 vcc_lo, 0, v22
	v_dual_cndmask_b32 v18, 0, v18, s13 :: v_dual_cndmask_b32 v12, v19, v12, vcc_lo
	s_delay_alu instid0(VALU_DEP_1) | instskip(NEXT) | instid1(VALU_DEP_1)
	v_cndmask_b32_e64 v23, v18, 0x70, vcc_lo
	v_dual_add_nc_u32 v18, 21, v23 :: v_dual_add_nc_u32 v71, 20, v23
	s_delay_alu instid0(VALU_DEP_1) | instskip(NEXT) | instid1(VALU_DEP_2)
	v_lshlrev_b64_e64 v[18:19], v18, -1
	v_lshlrev_b64_e64 v[80:81], v71, 1
	s_delay_alu instid0(VALU_DEP_2) | instskip(SKIP_1) | instid1(VALU_DEP_4)
	v_bfi_b32 v18, v18, 0, v12
	v_lshrrev_b64 v[12:13], v23, v[12:13]
	v_bfi_b32 v19, v19, 0, 0
	s_delay_alu instid0(VALU_DEP_1) | instskip(NEXT) | instid1(VALU_DEP_3)
	v_cmp_eq_u64_e64 s13, v[18:19], v[80:81]
	v_mov_b64_e32 v[18:19], v[12:13]
	s_and_saveexec_b32 s73, s13
; %bb.6031:                             ;   in Loop: Header=BB6_5167 Depth=3
	v_bfe_u32 v18, v12, 21, 1
	v_mov_b32_e32 v19, v21
	s_delay_alu instid0(VALU_DEP_1) | instskip(NEXT) | instid1(VALU_DEP_1)
	v_add_nc_u64_e32 v[18:19], v[12:13], v[18:19]
	v_add_nc_u64_e32 v[18:19], -1, v[18:19]
; %bb.6032:                             ;   in Loop: Header=BB6_5167 Depth=3
	s_or_b32 exec_lo, exec_lo, s73
	v_add_nc_u32_e32 v13, 0xffffff81, v22
	v_lshrrev_b32_e32 v19, 23, v12
	s_mov_b32 s13, exec_lo
	s_delay_alu instid0(VALU_DEP_2) | instskip(NEXT) | instid1(VALU_DEP_1)
	v_cndmask_b32_e64 v13, v13, 0xffffff82, vcc_lo
	v_add3_u32 v22, v23, v13, v19
	v_and_b32_e32 v13, 0x1fffff, v18
                                        ; implicit-def: $vgpr18
	s_delay_alu instid0(VALU_DEP_1) | instskip(SKIP_1) | instid1(VALU_DEP_2)
	v_dual_add_nc_u32 v19, 14, v22 :: v_dual_add_nc_u32 v12, v13, v12
	v_mov_b32_e32 v13, v21
	v_cmpx_ne_u32_e32 0, v19
	s_xor_b32 s13, exec_lo, s13
; %bb.6033:                             ;   in Loop: Header=BB6_5167 Depth=3
	s_delay_alu instid0(VALU_DEP_2) | instskip(SKIP_1) | instid1(VALU_DEP_1)
	v_cmp_lt_u64_e32 vcc_lo, 0xffffff, v[12:13]
	v_add_nc_u32_e32 v18, 15, v22
	v_cndmask_b32_e32 v18, v19, v18, vcc_lo
	v_cndmask_b32_e64 v19, 0, 1, vcc_lo
	s_delay_alu instid0(VALU_DEP_1)
	v_lshrrev_b64 v[12:13], v19, v[12:13]
; %bb.6034:                             ;   in Loop: Header=BB6_5167 Depth=3
	s_and_not1_saveexec_b32 s13, s13
; %bb.6035:                             ;   in Loop: Header=BB6_5167 Depth=3
	s_delay_alu instid0(VALU_DEP_1)
	v_bfe_u32 v18, v12, 23, 1
; %bb.6036:                             ;   in Loop: Header=BB6_5167 Depth=3
	s_or_b32 exec_lo, exec_lo, s13
	s_delay_alu instid0(VALU_DEP_2) | instskip(NEXT) | instid1(VALU_DEP_2)
	v_lshrrev_b64 v[12:13], 21, v[12:13]
	v_cmp_gt_i32_e32 vcc_lo, 32, v18
	v_min_i32_e32 v19, 31, v18
	v_cmp_eq_u32_e64 s13, 0, v18
	s_delay_alu instid0(VALU_DEP_2) | instskip(SKIP_1) | instid1(VALU_DEP_2)
	v_dual_cndmask_b32 v13, 0, v13, vcc_lo :: v_dual_lshlrev_b32 v19, 2, v19
	v_cndmask_b32_e32 v12, 3, v12, vcc_lo
	v_and_b32_e32 v19, 0xfc, v19
	s_delay_alu instid0(VALU_DEP_2) | instskip(NEXT) | instid1(VALU_DEP_2)
	v_cmp_eq_u64_e32 vcc_lo, 0, v[12:13]
	v_and_or_b32 v12, v12, 3, v19
	s_and_b32 s13, s13, vcc_lo
	s_delay_alu instid0(VALU_DEP_1) | instid1(SALU_CYCLE_1)
	v_cndmask_b32_e64 v12, v12, 0, s13
	s_delay_alu instid0(VALU_DEP_1)
	v_or_b32_e32 v71, v12, v20
.LBB6_6037:                             ;   in Loop: Header=BB6_5167 Depth=3
	s_or_b32 exec_lo, exec_lo, s72
                                        ; implicit-def: $vgpr20
.LBB6_6038:                             ;   in Loop: Header=BB6_5167 Depth=3
	s_and_not1_saveexec_b32 s13, s43
; %bb.6039:                             ;   in Loop: Header=BB6_5167 Depth=3
	v_or_b32_e32 v71, 0x7b, v20
; %bb.6040:                             ;   in Loop: Header=BB6_5167 Depth=3
	s_or_b32 exec_lo, exec_lo, s13
                                        ; implicit-def: $vgpr18
                                        ; implicit-def: $vgpr12_vgpr13
                                        ; implicit-def: $vgpr19
.LBB6_6041:                             ;   in Loop: Header=BB6_5167 Depth=3
	s_and_not1_saveexec_b32 s13, s42
	s_cbranch_execz .LBB6_6047
; %bb.6042:                             ;   in Loop: Header=BB6_5167 Depth=3
	s_mov_b32 s42, exec_lo
                                        ; implicit-def: $vgpr71
	v_cmpx_ne_u64_e32 0, v[12:13]
	s_xor_b32 s42, exec_lo, s42
; %bb.6043:                             ;   in Loop: Header=BB6_5167 Depth=3
	v_or_b32_e32 v71, 0x7f, v19
                                        ; implicit-def: $vgpr18
; %bb.6044:                             ;   in Loop: Header=BB6_5167 Depth=3
	s_and_not1_saveexec_b32 s42, s42
; %bb.6045:                             ;   in Loop: Header=BB6_5167 Depth=3
	v_cmp_lt_i32_e32 vcc_lo, -1, v18
	v_mov_b32_e32 v12, 0x7c
	s_delay_alu instid0(VALU_DEP_1)
	v_cndmask_b32_e32 v71, 0xfc, v12, vcc_lo
; %bb.6046:                             ;   in Loop: Header=BB6_5167 Depth=3
	s_or_b32 exec_lo, exec_lo, s42
.LBB6_6047:                             ;   in Loop: Header=BB6_5167 Depth=3
	s_delay_alu instid0(SALU_CYCLE_1) | instskip(SKIP_3) | instid1(VALU_DEP_2)
	s_or_b32 exec_lo, exec_lo, s13
	v_dual_mov_b32 v13, 0 :: v_dual_lshrrev_b32 v12, 16, v33
	v_mov_b32_e32 v18, 0
	s_mov_b32 s42, exec_lo
	v_and_b32_e32 v19, 0xff, v12
	s_delay_alu instid0(VALU_DEP_1)
	v_cmpx_ne_u16_e32 0, v19
	s_cbranch_execz .LBB6_6057
; %bb.6048:                             ;   in Loop: Header=BB6_5167 Depth=3
	v_bfrev_b32_e32 v18, 1
	s_mov_b32 s43, exec_lo
	v_cmpx_ne_u16_e32 0x80, v19
	s_cbranch_execz .LBB6_6056
; %bb.6049:                             ;   in Loop: Header=BB6_5167 Depth=3
	v_and_b32_e32 v18, 0x7c0000, v33
	v_bfe_u32 v19, v33, 16, 2
	s_delay_alu instid0(VALU_DEP_2) | instskip(SKIP_1) | instid1(SALU_CYCLE_1)
	v_cmp_ne_u32_e32 vcc_lo, 0x7c0000, v18
                                        ; implicit-def: $vgpr18
	s_and_saveexec_b32 s13, vcc_lo
	s_xor_b32 s13, exec_lo, s13
	s_cbranch_execz .LBB6_6053
; %bb.6050:                             ;   in Loop: Header=BB6_5167 Depth=3
	v_bfe_u32 v18, v33, 18, 5
	s_mov_b32 s72, exec_lo
	s_delay_alu instid0(VALU_DEP_1)
	v_cmpx_eq_u32_e32 0, v18
; %bb.6051:                             ;   in Loop: Header=BB6_5167 Depth=3
	v_clz_i32_u32_e32 v18, v19
	s_delay_alu instid0(VALU_DEP_1) | instskip(NEXT) | instid1(VALU_DEP_1)
	v_min_u32_e32 v18, 32, v18
	v_subrev_nc_u32_e32 v19, 29, v18
	v_sub_nc_u32_e32 v18, 30, v18
	s_delay_alu instid0(VALU_DEP_2) | instskip(NEXT) | instid1(VALU_DEP_1)
	v_lshlrev_b64_e32 v[22:23], v19, v[12:13]
	v_and_b32_e32 v19, 3, v22
; %bb.6052:                             ;   in Loop: Header=BB6_5167 Depth=3
	s_or_b32 exec_lo, exec_lo, s72
	v_lshlrev_b32_e32 v12, 24, v12
	s_delay_alu instid0(VALU_DEP_1) | instskip(NEXT) | instid1(VALU_DEP_1)
	v_and_b32_e32 v12, 0x80000000, v12
	v_lshl_add_u32 v12, v18, 23, v12
	s_delay_alu instid0(VALU_DEP_1) | instskip(NEXT) | instid1(VALU_DEP_1)
	v_lshl_or_b32 v12, v19, 21, v12
                                        ; implicit-def: $vgpr19
	v_add_nc_u32_e32 v18, 0x38000000, v12
                                        ; implicit-def: $vgpr12
.LBB6_6053:                             ;   in Loop: Header=BB6_5167 Depth=3
	s_and_not1_saveexec_b32 s72, s13
; %bb.6054:                             ;   in Loop: Header=BB6_5167 Depth=3
	v_bfe_i32 v12, v12, 0, 8
	v_cmp_eq_u32_e32 vcc_lo, 0, v19
	s_delay_alu instid0(VALU_DEP_2) | instskip(SKIP_1) | instid1(VALU_DEP_1)
	v_cmp_lt_i16_e64 s13, -1, v12
	v_mov_b32_e32 v12, 0x7f800000
	v_cndmask_b32_e64 v12, 0xff800000, v12, s13
	s_delay_alu instid0(VALU_DEP_1)
	v_cndmask_b32_e32 v18, 0x7f800001, v12, vcc_lo
; %bb.6055:                             ;   in Loop: Header=BB6_5167 Depth=3
	s_or_b32 exec_lo, exec_lo, s72
.LBB6_6056:                             ;   in Loop: Header=BB6_5167 Depth=3
	s_delay_alu instid0(SALU_CYCLE_1)
	s_or_b32 exec_lo, exec_lo, s43
.LBB6_6057:                             ;   in Loop: Header=BB6_5167 Depth=3
	s_delay_alu instid0(SALU_CYCLE_1) | instskip(SKIP_2) | instid1(VALU_DEP_1)
	s_or_b32 exec_lo, exec_lo, s42
	v_lshrrev_b32_e32 v12, 16, v25
	s_mov_b32 s42, exec_lo
	v_and_b32_e32 v19, 0xff, v12
	s_delay_alu instid0(VALU_DEP_1)
	v_cmpx_ne_u16_e32 0, v19
	s_cbranch_execz .LBB6_6067
; %bb.6058:                             ;   in Loop: Header=BB6_5167 Depth=3
	v_bfrev_b32_e32 v13, 1
	s_mov_b32 s43, exec_lo
	v_cmpx_ne_u16_e32 0x80, v19
	s_cbranch_execz .LBB6_6066
; %bb.6059:                             ;   in Loop: Header=BB6_5167 Depth=3
	v_and_b32_e32 v13, 0x7c0000, v25
	v_bfe_u32 v19, v25, 16, 2
	s_delay_alu instid0(VALU_DEP_2) | instskip(SKIP_1) | instid1(SALU_CYCLE_1)
	v_cmp_ne_u32_e32 vcc_lo, 0x7c0000, v13
                                        ; implicit-def: $vgpr13
	s_and_saveexec_b32 s13, vcc_lo
	s_xor_b32 s13, exec_lo, s13
	s_cbranch_execz .LBB6_6063
; %bb.6060:                             ;   in Loop: Header=BB6_5167 Depth=3
	v_bfe_u32 v13, v25, 18, 5
	s_mov_b32 s72, exec_lo
	s_delay_alu instid0(VALU_DEP_1)
	v_cmpx_eq_u32_e32 0, v13
; %bb.6061:                             ;   in Loop: Header=BB6_5167 Depth=3
	v_clz_i32_u32_e32 v13, v19
	s_delay_alu instid0(VALU_DEP_1) | instskip(NEXT) | instid1(VALU_DEP_1)
	v_min_u32_e32 v13, 32, v13
	v_subrev_nc_u32_e32 v19, 29, v13
	s_delay_alu instid0(VALU_DEP_1) | instskip(NEXT) | instid1(VALU_DEP_1)
	v_lshlrev_b64_e32 v[22:23], v19, v[12:13]
	v_dual_sub_nc_u32 v13, 30, v13 :: v_dual_bitop2_b32 v19, 3, v22 bitop3:0x40
; %bb.6062:                             ;   in Loop: Header=BB6_5167 Depth=3
	s_or_b32 exec_lo, exec_lo, s72
	v_lshlrev_b32_e32 v12, 24, v12
	s_delay_alu instid0(VALU_DEP_1) | instskip(NEXT) | instid1(VALU_DEP_1)
	v_and_b32_e32 v12, 0x80000000, v12
	v_lshl_add_u32 v12, v13, 23, v12
	s_delay_alu instid0(VALU_DEP_1) | instskip(NEXT) | instid1(VALU_DEP_1)
	v_lshl_or_b32 v12, v19, 21, v12
                                        ; implicit-def: $vgpr19
	v_add_nc_u32_e32 v13, 0x38000000, v12
                                        ; implicit-def: $vgpr12
.LBB6_6063:                             ;   in Loop: Header=BB6_5167 Depth=3
	s_and_not1_saveexec_b32 s72, s13
; %bb.6064:                             ;   in Loop: Header=BB6_5167 Depth=3
	v_bfe_i32 v12, v12, 0, 8
	v_cmp_eq_u32_e32 vcc_lo, 0, v19
	s_delay_alu instid0(VALU_DEP_2) | instskip(SKIP_1) | instid1(VALU_DEP_1)
	v_cmp_lt_i16_e64 s13, -1, v12
	v_mov_b32_e32 v12, 0x7f800000
	v_cndmask_b32_e64 v12, 0xff800000, v12, s13
	s_delay_alu instid0(VALU_DEP_1)
	v_cndmask_b32_e32 v13, 0x7f800001, v12, vcc_lo
; %bb.6065:                             ;   in Loop: Header=BB6_5167 Depth=3
	s_or_b32 exec_lo, exec_lo, s72
.LBB6_6066:                             ;   in Loop: Header=BB6_5167 Depth=3
	s_delay_alu instid0(SALU_CYCLE_1)
	s_or_b32 exec_lo, exec_lo, s43
.LBB6_6067:                             ;   in Loop: Header=BB6_5167 Depth=3
	s_delay_alu instid0(SALU_CYCLE_1) | instskip(NEXT) | instid1(VALU_DEP_1)
	s_or_b32 exec_lo, exec_lo, s42
	v_dual_mul_f32 v18, v18, v13 :: v_dual_mov_b32 v23, v21
	v_mov_b32_e32 v13, v21
                                        ; implicit-def: $vgpr80
	s_mov_b32 s13, exec_lo
	s_delay_alu instid0(VALU_DEP_2) | instskip(SKIP_2) | instid1(VALU_DEP_3)
	v_and_b32_e32 v22, 0x7f800000, v18
	v_and_b32_e32 v12, 0x7fffff, v18
	v_lshrrev_b32_e32 v19, 24, v18
	v_cmpx_ne_u64_e32 0x7f800000, v[22:23]
	s_xor_b32 s42, exec_lo, s13
	s_cbranch_execz .LBB6_6081
; %bb.6068:                             ;   in Loop: Header=BB6_5167 Depth=3
	v_and_b32_e32 v22, 0x7fffffff, v18
	v_mov_b32_e32 v23, v21
	v_and_b32_e32 v20, 0x80, v19
                                        ; implicit-def: $vgpr80
	s_mov_b32 s13, exec_lo
	s_delay_alu instid0(VALU_DEP_2)
	v_cmpx_gt_u64_e32 0x47600001, v[22:23]
	s_xor_b32 s43, exec_lo, s13
	s_cbranch_execz .LBB6_6078
; %bb.6069:                             ;   in Loop: Header=BB6_5167 Depth=3
	v_mov_b32_e32 v80, 0
	s_mov_b32 s72, exec_lo
	v_cmpx_ne_u32_e32 0, v18
	s_cbranch_execz .LBB6_6077
; %bb.6070:                             ;   in Loop: Header=BB6_5167 Depth=3
	v_bfe_u32 v22, v18, 23, 8
	v_or_b32_e32 v19, 0x800000, v12
	s_delay_alu instid0(VALU_DEP_2) | instskip(SKIP_2) | instid1(VALU_DEP_2)
	v_cmp_gt_u32_e64 s13, 0x72, v22
	v_sub_nc_u32_e32 v18, 0x71, v22
	v_cmp_eq_u32_e32 vcc_lo, 0, v22
	v_dual_cndmask_b32 v18, 0, v18, s13 :: v_dual_cndmask_b32 v12, v19, v12, vcc_lo
	s_delay_alu instid0(VALU_DEP_1) | instskip(NEXT) | instid1(VALU_DEP_1)
	v_cndmask_b32_e64 v23, v18, 0x70, vcc_lo
	v_dual_add_nc_u32 v18, 21, v23 :: v_dual_add_nc_u32 v80, 20, v23
	s_delay_alu instid0(VALU_DEP_1) | instskip(NEXT) | instid1(VALU_DEP_2)
	v_lshlrev_b64_e64 v[18:19], v18, -1
	v_lshlrev_b64_e64 v[80:81], v80, 1
	s_delay_alu instid0(VALU_DEP_2) | instskip(SKIP_1) | instid1(VALU_DEP_4)
	v_bfi_b32 v18, v18, 0, v12
	v_lshrrev_b64 v[12:13], v23, v[12:13]
	v_bfi_b32 v19, v19, 0, 0
	s_delay_alu instid0(VALU_DEP_1) | instskip(NEXT) | instid1(VALU_DEP_3)
	v_cmp_eq_u64_e64 s13, v[18:19], v[80:81]
	v_mov_b64_e32 v[18:19], v[12:13]
	s_and_saveexec_b32 s73, s13
; %bb.6071:                             ;   in Loop: Header=BB6_5167 Depth=3
	v_bfe_u32 v18, v12, 21, 1
	v_mov_b32_e32 v19, v21
	s_delay_alu instid0(VALU_DEP_1) | instskip(NEXT) | instid1(VALU_DEP_1)
	v_add_nc_u64_e32 v[18:19], v[12:13], v[18:19]
	v_add_nc_u64_e32 v[18:19], -1, v[18:19]
; %bb.6072:                             ;   in Loop: Header=BB6_5167 Depth=3
	s_or_b32 exec_lo, exec_lo, s73
	v_add_nc_u32_e32 v13, 0xffffff81, v22
	v_lshrrev_b32_e32 v19, 23, v12
	s_mov_b32 s13, exec_lo
	s_delay_alu instid0(VALU_DEP_2) | instskip(NEXT) | instid1(VALU_DEP_1)
	v_cndmask_b32_e64 v13, v13, 0xffffff82, vcc_lo
	v_add3_u32 v22, v23, v13, v19
	v_and_b32_e32 v13, 0x1fffff, v18
                                        ; implicit-def: $vgpr18
	s_delay_alu instid0(VALU_DEP_1) | instskip(SKIP_1) | instid1(VALU_DEP_2)
	v_dual_add_nc_u32 v19, 14, v22 :: v_dual_add_nc_u32 v12, v13, v12
	v_mov_b32_e32 v13, v21
	v_cmpx_ne_u32_e32 0, v19
	s_xor_b32 s13, exec_lo, s13
; %bb.6073:                             ;   in Loop: Header=BB6_5167 Depth=3
	s_delay_alu instid0(VALU_DEP_2) | instskip(SKIP_1) | instid1(VALU_DEP_1)
	v_cmp_lt_u64_e32 vcc_lo, 0xffffff, v[12:13]
	v_add_nc_u32_e32 v18, 15, v22
	v_cndmask_b32_e32 v18, v19, v18, vcc_lo
	v_cndmask_b32_e64 v19, 0, 1, vcc_lo
	s_delay_alu instid0(VALU_DEP_1)
	v_lshrrev_b64 v[12:13], v19, v[12:13]
; %bb.6074:                             ;   in Loop: Header=BB6_5167 Depth=3
	s_and_not1_saveexec_b32 s13, s13
; %bb.6075:                             ;   in Loop: Header=BB6_5167 Depth=3
	s_delay_alu instid0(VALU_DEP_1)
	v_bfe_u32 v18, v12, 23, 1
; %bb.6076:                             ;   in Loop: Header=BB6_5167 Depth=3
	s_or_b32 exec_lo, exec_lo, s13
	s_delay_alu instid0(VALU_DEP_2) | instskip(NEXT) | instid1(VALU_DEP_2)
	v_lshrrev_b64 v[12:13], 21, v[12:13]
	v_cmp_gt_i32_e32 vcc_lo, 32, v18
	v_min_i32_e32 v19, 31, v18
	v_cmp_eq_u32_e64 s13, 0, v18
	s_delay_alu instid0(VALU_DEP_2) | instskip(SKIP_1) | instid1(VALU_DEP_2)
	v_dual_cndmask_b32 v13, 0, v13, vcc_lo :: v_dual_lshlrev_b32 v19, 2, v19
	v_cndmask_b32_e32 v12, 3, v12, vcc_lo
	v_and_b32_e32 v19, 0xfc, v19
	s_delay_alu instid0(VALU_DEP_2) | instskip(NEXT) | instid1(VALU_DEP_2)
	v_cmp_eq_u64_e32 vcc_lo, 0, v[12:13]
	v_and_or_b32 v12, v12, 3, v19
	s_and_b32 s13, s13, vcc_lo
	s_delay_alu instid0(VALU_DEP_1) | instid1(SALU_CYCLE_1)
	v_cndmask_b32_e64 v12, v12, 0, s13
	s_delay_alu instid0(VALU_DEP_1)
	v_or_b32_e32 v80, v12, v20
.LBB6_6077:                             ;   in Loop: Header=BB6_5167 Depth=3
	s_or_b32 exec_lo, exec_lo, s72
                                        ; implicit-def: $vgpr20
.LBB6_6078:                             ;   in Loop: Header=BB6_5167 Depth=3
	s_and_not1_saveexec_b32 s13, s43
; %bb.6079:                             ;   in Loop: Header=BB6_5167 Depth=3
	v_or_b32_e32 v80, 0x7b, v20
; %bb.6080:                             ;   in Loop: Header=BB6_5167 Depth=3
	s_or_b32 exec_lo, exec_lo, s13
                                        ; implicit-def: $vgpr18
                                        ; implicit-def: $vgpr12_vgpr13
                                        ; implicit-def: $vgpr19
.LBB6_6081:                             ;   in Loop: Header=BB6_5167 Depth=3
	s_and_not1_saveexec_b32 s13, s42
	s_cbranch_execz .LBB6_6087
; %bb.6082:                             ;   in Loop: Header=BB6_5167 Depth=3
	s_mov_b32 s42, exec_lo
                                        ; implicit-def: $vgpr80
	v_cmpx_ne_u64_e32 0, v[12:13]
	s_xor_b32 s42, exec_lo, s42
; %bb.6083:                             ;   in Loop: Header=BB6_5167 Depth=3
	v_or_b32_e32 v80, 0x7f, v19
                                        ; implicit-def: $vgpr18
; %bb.6084:                             ;   in Loop: Header=BB6_5167 Depth=3
	s_and_not1_saveexec_b32 s42, s42
; %bb.6085:                             ;   in Loop: Header=BB6_5167 Depth=3
	v_cmp_lt_i32_e32 vcc_lo, -1, v18
	v_mov_b32_e32 v12, 0x7c
	s_delay_alu instid0(VALU_DEP_1)
	v_cndmask_b32_e32 v80, 0xfc, v12, vcc_lo
; %bb.6086:                             ;   in Loop: Header=BB6_5167 Depth=3
	s_or_b32 exec_lo, exec_lo, s42
.LBB6_6087:                             ;   in Loop: Header=BB6_5167 Depth=3
	s_delay_alu instid0(SALU_CYCLE_1)
	s_or_b32 exec_lo, exec_lo, s13
	v_dual_mov_b32 v13, 0 :: v_dual_mov_b32 v18, 0
	s_mov_b32 s42, exec_lo
	v_cmpx_lt_u64_e64 s[22:23], v[32:33]
	s_cbranch_execz .LBB6_6097
; %bb.6088:                             ;   in Loop: Header=BB6_5167 Depth=3
	v_lshrrev_b32_e32 v12, 24, v33
	v_bfrev_b32_e32 v18, 1
	s_mov_b32 s43, exec_lo
	s_delay_alu instid0(VALU_DEP_2)
	v_cmpx_ne_u32_e32 0x80, v12
	s_cbranch_execz .LBB6_6096
; %bb.6089:                             ;   in Loop: Header=BB6_5167 Depth=3
	v_and_b32_e32 v18, 0x7c000000, v33
	v_bfe_u32 v19, v33, 24, 2
	s_delay_alu instid0(VALU_DEP_2) | instskip(SKIP_1) | instid1(SALU_CYCLE_1)
	v_cmp_ne_u32_e32 vcc_lo, 0x7c000000, v18
                                        ; implicit-def: $vgpr18
	s_and_saveexec_b32 s13, vcc_lo
	s_xor_b32 s13, exec_lo, s13
	s_cbranch_execz .LBB6_6093
; %bb.6090:                             ;   in Loop: Header=BB6_5167 Depth=3
	v_bfe_u32 v18, v33, 26, 5
	s_mov_b32 s72, exec_lo
	s_delay_alu instid0(VALU_DEP_1)
	v_cmpx_eq_u32_e32 0, v18
; %bb.6091:                             ;   in Loop: Header=BB6_5167 Depth=3
	v_clz_i32_u32_e32 v18, v19
	s_delay_alu instid0(VALU_DEP_1) | instskip(NEXT) | instid1(VALU_DEP_1)
	v_min_u32_e32 v18, 32, v18
	v_subrev_nc_u32_e32 v19, 29, v18
	v_sub_nc_u32_e32 v18, 30, v18
	s_delay_alu instid0(VALU_DEP_2) | instskip(NEXT) | instid1(VALU_DEP_1)
	v_lshlrev_b64_e32 v[22:23], v19, v[12:13]
	v_and_b32_e32 v19, 3, v22
; %bb.6092:                             ;   in Loop: Header=BB6_5167 Depth=3
	s_or_b32 exec_lo, exec_lo, s72
	v_and_b32_e32 v12, 0x80000000, v33
	s_delay_alu instid0(VALU_DEP_1) | instskip(NEXT) | instid1(VALU_DEP_1)
	v_lshl_add_u32 v12, v18, 23, v12
	v_lshl_or_b32 v12, v19, 21, v12
                                        ; implicit-def: $vgpr19
	s_delay_alu instid0(VALU_DEP_1)
	v_add_nc_u32_e32 v18, 0x38000000, v12
.LBB6_6093:                             ;   in Loop: Header=BB6_5167 Depth=3
	s_and_not1_saveexec_b32 s72, s13
; %bb.6094:                             ;   in Loop: Header=BB6_5167 Depth=3
	v_cmp_lt_i64_e64 s13, -1, v[32:33]
	v_mov_b32_e32 v12, 0x7f800000
	v_cmp_eq_u32_e32 vcc_lo, 0, v19
	s_delay_alu instid0(VALU_DEP_2) | instskip(NEXT) | instid1(VALU_DEP_1)
	v_cndmask_b32_e64 v12, 0xff800000, v12, s13
	v_cndmask_b32_e32 v18, 0x7f800001, v12, vcc_lo
; %bb.6095:                             ;   in Loop: Header=BB6_5167 Depth=3
	s_or_b32 exec_lo, exec_lo, s72
.LBB6_6096:                             ;   in Loop: Header=BB6_5167 Depth=3
	s_delay_alu instid0(SALU_CYCLE_1)
	s_or_b32 exec_lo, exec_lo, s43
.LBB6_6097:                             ;   in Loop: Header=BB6_5167 Depth=3
	s_delay_alu instid0(SALU_CYCLE_1) | instskip(NEXT) | instid1(SALU_CYCLE_1)
	s_or_b32 exec_lo, exec_lo, s42
	s_mov_b32 s42, exec_lo
	v_cmpx_lt_u64_e64 s[22:23], v[24:25]
	s_cbranch_execz .LBB6_6107
; %bb.6098:                             ;   in Loop: Header=BB6_5167 Depth=3
	v_lshrrev_b32_e32 v12, 24, v25
	v_bfrev_b32_e32 v13, 1
	s_mov_b32 s43, exec_lo
	s_delay_alu instid0(VALU_DEP_2)
	v_cmpx_ne_u32_e32 0x80, v12
	s_cbranch_execz .LBB6_6106
; %bb.6099:                             ;   in Loop: Header=BB6_5167 Depth=3
	v_and_b32_e32 v13, 0x7c000000, v25
	v_bfe_u32 v19, v25, 24, 2
	s_delay_alu instid0(VALU_DEP_2) | instskip(SKIP_1) | instid1(SALU_CYCLE_1)
	v_cmp_ne_u32_e32 vcc_lo, 0x7c000000, v13
                                        ; implicit-def: $vgpr13
	s_and_saveexec_b32 s13, vcc_lo
	s_xor_b32 s13, exec_lo, s13
	s_cbranch_execz .LBB6_6103
; %bb.6100:                             ;   in Loop: Header=BB6_5167 Depth=3
	v_bfe_u32 v13, v25, 26, 5
	s_mov_b32 s72, exec_lo
	s_delay_alu instid0(VALU_DEP_1)
	v_cmpx_eq_u32_e32 0, v13
; %bb.6101:                             ;   in Loop: Header=BB6_5167 Depth=3
	v_clz_i32_u32_e32 v13, v19
	s_delay_alu instid0(VALU_DEP_1) | instskip(NEXT) | instid1(VALU_DEP_1)
	v_min_u32_e32 v19, 32, v13
	v_subrev_nc_u32_e32 v13, 29, v19
	s_delay_alu instid0(VALU_DEP_1) | instskip(NEXT) | instid1(VALU_DEP_1)
	v_lshlrev_b64_e32 v[12:13], v13, v[12:13]
	v_dual_sub_nc_u32 v13, 30, v19 :: v_dual_bitop2_b32 v19, 3, v12 bitop3:0x40
; %bb.6102:                             ;   in Loop: Header=BB6_5167 Depth=3
	s_or_b32 exec_lo, exec_lo, s72
	v_and_b32_e32 v12, 0x80000000, v25
	s_delay_alu instid0(VALU_DEP_1) | instskip(NEXT) | instid1(VALU_DEP_1)
	v_lshl_add_u32 v12, v13, 23, v12
	v_lshl_or_b32 v12, v19, 21, v12
                                        ; implicit-def: $vgpr19
	s_delay_alu instid0(VALU_DEP_1)
	v_add_nc_u32_e32 v13, 0x38000000, v12
.LBB6_6103:                             ;   in Loop: Header=BB6_5167 Depth=3
	s_and_not1_saveexec_b32 s72, s13
; %bb.6104:                             ;   in Loop: Header=BB6_5167 Depth=3
	v_cmp_lt_i64_e64 s13, -1, v[24:25]
	v_mov_b32_e32 v12, 0x7f800000
	v_cmp_eq_u32_e32 vcc_lo, 0, v19
	s_delay_alu instid0(VALU_DEP_2) | instskip(NEXT) | instid1(VALU_DEP_1)
	v_cndmask_b32_e64 v12, 0xff800000, v12, s13
	v_cndmask_b32_e32 v13, 0x7f800001, v12, vcc_lo
; %bb.6105:                             ;   in Loop: Header=BB6_5167 Depth=3
	s_or_b32 exec_lo, exec_lo, s72
.LBB6_6106:                             ;   in Loop: Header=BB6_5167 Depth=3
	s_delay_alu instid0(SALU_CYCLE_1)
	s_or_b32 exec_lo, exec_lo, s43
.LBB6_6107:                             ;   in Loop: Header=BB6_5167 Depth=3
	s_delay_alu instid0(SALU_CYCLE_1) | instskip(NEXT) | instid1(VALU_DEP_1)
	s_or_b32 exec_lo, exec_lo, s42
	v_dual_mul_f32 v18, v18, v13 :: v_dual_mov_b32 v23, v21
	v_mov_b32_e32 v13, v21
                                        ; implicit-def: $vgpr24
	s_mov_b32 s13, exec_lo
	s_delay_alu instid0(VALU_DEP_2) | instskip(SKIP_2) | instid1(VALU_DEP_3)
	v_and_b32_e32 v22, 0x7f800000, v18
	v_and_b32_e32 v12, 0x7fffff, v18
	v_lshrrev_b32_e32 v19, 24, v18
	v_cmpx_ne_u64_e32 0x7f800000, v[22:23]
	s_xor_b32 s42, exec_lo, s13
	s_cbranch_execz .LBB6_6121
; %bb.6108:                             ;   in Loop: Header=BB6_5167 Depth=3
	v_and_b32_e32 v22, 0x7fffffff, v18
	v_mov_b32_e32 v23, v21
	v_and_b32_e32 v20, 0x80, v19
                                        ; implicit-def: $vgpr24
	s_mov_b32 s13, exec_lo
	s_delay_alu instid0(VALU_DEP_2)
	v_cmpx_gt_u64_e32 0x47600001, v[22:23]
	s_xor_b32 s43, exec_lo, s13
	s_cbranch_execz .LBB6_6118
; %bb.6109:                             ;   in Loop: Header=BB6_5167 Depth=3
	v_mov_b32_e32 v24, 0
	s_mov_b32 s72, exec_lo
	v_cmpx_ne_u32_e32 0, v18
	s_cbranch_execz .LBB6_6117
; %bb.6110:                             ;   in Loop: Header=BB6_5167 Depth=3
	v_bfe_u32 v22, v18, 23, 8
	v_or_b32_e32 v19, 0x800000, v12
	s_delay_alu instid0(VALU_DEP_2) | instskip(SKIP_2) | instid1(VALU_DEP_2)
	v_cmp_gt_u32_e64 s13, 0x72, v22
	v_sub_nc_u32_e32 v18, 0x71, v22
	v_cmp_eq_u32_e32 vcc_lo, 0, v22
	v_dual_cndmask_b32 v18, 0, v18, s13 :: v_dual_cndmask_b32 v12, v19, v12, vcc_lo
	s_delay_alu instid0(VALU_DEP_1) | instskip(NEXT) | instid1(VALU_DEP_1)
	v_cndmask_b32_e64 v23, v18, 0x70, vcc_lo
	v_dual_add_nc_u32 v18, 21, v23 :: v_dual_add_nc_u32 v24, 20, v23
	s_delay_alu instid0(VALU_DEP_1) | instskip(NEXT) | instid1(VALU_DEP_2)
	v_lshlrev_b64_e64 v[18:19], v18, -1
	v_lshlrev_b64_e64 v[24:25], v24, 1
	s_delay_alu instid0(VALU_DEP_2) | instskip(SKIP_1) | instid1(VALU_DEP_4)
	v_bfi_b32 v18, v18, 0, v12
	v_lshrrev_b64 v[12:13], v23, v[12:13]
	v_bfi_b32 v19, v19, 0, 0
	s_delay_alu instid0(VALU_DEP_1) | instskip(NEXT) | instid1(VALU_DEP_3)
	v_cmp_eq_u64_e64 s13, v[18:19], v[24:25]
	v_mov_b64_e32 v[18:19], v[12:13]
	s_and_saveexec_b32 s73, s13
; %bb.6111:                             ;   in Loop: Header=BB6_5167 Depth=3
	v_bfe_u32 v18, v12, 21, 1
	v_mov_b32_e32 v19, v21
	s_delay_alu instid0(VALU_DEP_1) | instskip(NEXT) | instid1(VALU_DEP_1)
	v_add_nc_u64_e32 v[18:19], v[12:13], v[18:19]
	v_add_nc_u64_e32 v[18:19], -1, v[18:19]
; %bb.6112:                             ;   in Loop: Header=BB6_5167 Depth=3
	s_or_b32 exec_lo, exec_lo, s73
	v_add_nc_u32_e32 v13, 0xffffff81, v22
	v_lshrrev_b32_e32 v19, 23, v12
	s_mov_b32 s13, exec_lo
	s_delay_alu instid0(VALU_DEP_2) | instskip(NEXT) | instid1(VALU_DEP_1)
	v_cndmask_b32_e64 v13, v13, 0xffffff82, vcc_lo
	v_add3_u32 v22, v23, v13, v19
	v_and_b32_e32 v13, 0x1fffff, v18
                                        ; implicit-def: $vgpr18
	s_delay_alu instid0(VALU_DEP_1) | instskip(SKIP_1) | instid1(VALU_DEP_2)
	v_dual_add_nc_u32 v19, 14, v22 :: v_dual_add_nc_u32 v12, v13, v12
	v_mov_b32_e32 v13, v21
	v_cmpx_ne_u32_e32 0, v19
	s_xor_b32 s13, exec_lo, s13
; %bb.6113:                             ;   in Loop: Header=BB6_5167 Depth=3
	s_delay_alu instid0(VALU_DEP_2) | instskip(SKIP_1) | instid1(VALU_DEP_1)
	v_cmp_lt_u64_e32 vcc_lo, 0xffffff, v[12:13]
	v_add_nc_u32_e32 v18, 15, v22
	v_cndmask_b32_e32 v18, v19, v18, vcc_lo
	v_cndmask_b32_e64 v19, 0, 1, vcc_lo
	s_delay_alu instid0(VALU_DEP_1)
	v_lshrrev_b64 v[12:13], v19, v[12:13]
; %bb.6114:                             ;   in Loop: Header=BB6_5167 Depth=3
	s_and_not1_saveexec_b32 s13, s13
; %bb.6115:                             ;   in Loop: Header=BB6_5167 Depth=3
	s_delay_alu instid0(VALU_DEP_1)
	v_bfe_u32 v18, v12, 23, 1
; %bb.6116:                             ;   in Loop: Header=BB6_5167 Depth=3
	s_or_b32 exec_lo, exec_lo, s13
	s_delay_alu instid0(VALU_DEP_2) | instskip(NEXT) | instid1(VALU_DEP_2)
	v_lshrrev_b64 v[12:13], 21, v[12:13]
	v_cmp_gt_i32_e32 vcc_lo, 32, v18
	v_min_i32_e32 v19, 31, v18
	v_cmp_eq_u32_e64 s13, 0, v18
	s_delay_alu instid0(VALU_DEP_2) | instskip(SKIP_1) | instid1(VALU_DEP_2)
	v_dual_cndmask_b32 v13, 0, v13, vcc_lo :: v_dual_lshlrev_b32 v19, 2, v19
	v_cndmask_b32_e32 v12, 3, v12, vcc_lo
	v_and_b32_e32 v19, 0xfc, v19
	s_delay_alu instid0(VALU_DEP_2) | instskip(NEXT) | instid1(VALU_DEP_2)
	v_cmp_eq_u64_e32 vcc_lo, 0, v[12:13]
	v_and_or_b32 v12, v12, 3, v19
	s_and_b32 s13, s13, vcc_lo
	s_delay_alu instid0(VALU_DEP_1) | instid1(SALU_CYCLE_1)
	v_cndmask_b32_e64 v12, v12, 0, s13
	s_delay_alu instid0(VALU_DEP_1)
	v_or_b32_e32 v24, v12, v20
.LBB6_6117:                             ;   in Loop: Header=BB6_5167 Depth=3
	s_or_b32 exec_lo, exec_lo, s72
                                        ; implicit-def: $vgpr20
.LBB6_6118:                             ;   in Loop: Header=BB6_5167 Depth=3
	s_and_not1_saveexec_b32 s13, s43
; %bb.6119:                             ;   in Loop: Header=BB6_5167 Depth=3
	v_or_b32_e32 v24, 0x7b, v20
; %bb.6120:                             ;   in Loop: Header=BB6_5167 Depth=3
	s_or_b32 exec_lo, exec_lo, s13
                                        ; implicit-def: $vgpr18
                                        ; implicit-def: $vgpr12_vgpr13
                                        ; implicit-def: $vgpr19
.LBB6_6121:                             ;   in Loop: Header=BB6_5167 Depth=3
	s_and_not1_saveexec_b32 s13, s42
	s_cbranch_execz .LBB6_6127
; %bb.6122:                             ;   in Loop: Header=BB6_5167 Depth=3
	s_mov_b32 s42, exec_lo
                                        ; implicit-def: $vgpr24
	v_cmpx_ne_u64_e32 0, v[12:13]
	s_xor_b32 s42, exec_lo, s42
; %bb.6123:                             ;   in Loop: Header=BB6_5167 Depth=3
	v_or_b32_e32 v24, 0x7f, v19
                                        ; implicit-def: $vgpr18
; %bb.6124:                             ;   in Loop: Header=BB6_5167 Depth=3
	s_and_not1_saveexec_b32 s42, s42
; %bb.6125:                             ;   in Loop: Header=BB6_5167 Depth=3
	v_cmp_lt_i32_e32 vcc_lo, -1, v18
	v_mov_b32_e32 v12, 0x7c
	s_delay_alu instid0(VALU_DEP_1)
	v_cndmask_b32_e32 v24, 0xfc, v12, vcc_lo
; %bb.6126:                             ;   in Loop: Header=BB6_5167 Depth=3
	s_or_b32 exec_lo, exec_lo, s42
.LBB6_6127:                             ;   in Loop: Header=BB6_5167 Depth=3
	s_delay_alu instid0(SALU_CYCLE_1) | instskip(SKIP_2) | instid1(VALU_DEP_2)
	s_or_b32 exec_lo, exec_lo, s13
	v_and_b32_e32 v13, 0xff, v34
	v_mov_b32_e32 v12, 0
	v_cmp_ne_u16_e32 vcc_lo, 0, v13
	v_mov_b32_e32 v13, 0
	s_and_saveexec_b32 s42, vcc_lo
	s_cbranch_execz .LBB6_6137
; %bb.6128:                             ;   in Loop: Header=BB6_5167 Depth=3
	v_bfe_i32 v19, v34, 0, 8
	v_bfrev_b32_e32 v13, 1
	s_mov_b32 s43, exec_lo
	s_delay_alu instid0(VALU_DEP_2)
	v_cmpx_ne_u16_e32 0xff80, v19
	s_cbranch_execz .LBB6_6136
; %bb.6129:                             ;   in Loop: Header=BB6_5167 Depth=3
	v_and_b32_e32 v13, 0x7c, v34
	v_and_b32_e32 v18, 3, v34
	s_delay_alu instid0(VALU_DEP_2) | instskip(SKIP_1) | instid1(SALU_CYCLE_1)
	v_cmp_ne_u32_e32 vcc_lo, 0x7c, v13
                                        ; implicit-def: $vgpr13
	s_and_saveexec_b32 s13, vcc_lo
	s_xor_b32 s13, exec_lo, s13
	s_cbranch_execz .LBB6_6133
; %bb.6130:                             ;   in Loop: Header=BB6_5167 Depth=3
	v_bfe_u32 v13, v34, 2, 5
	s_mov_b32 s72, exec_lo
	s_delay_alu instid0(VALU_DEP_1)
	v_cmpx_eq_u32_e32 0, v13
; %bb.6131:                             ;   in Loop: Header=BB6_5167 Depth=3
	v_clz_i32_u32_e32 v13, v18
	s_delay_alu instid0(VALU_DEP_1) | instskip(NEXT) | instid1(VALU_DEP_1)
	v_min_u32_e32 v13, 32, v13
	v_subrev_nc_u32_e32 v18, 29, v13
	s_delay_alu instid0(VALU_DEP_1) | instskip(NEXT) | instid1(VALU_DEP_1)
	v_lshlrev_b64_e32 v[18:19], v18, v[34:35]
	v_dual_sub_nc_u32 v13, 30, v13 :: v_dual_bitop2_b32 v18, 3, v18 bitop3:0x40
; %bb.6132:                             ;   in Loop: Header=BB6_5167 Depth=3
	s_or_b32 exec_lo, exec_lo, s72
	v_lshlrev_b32_e32 v19, 24, v34
	s_delay_alu instid0(VALU_DEP_1) | instskip(NEXT) | instid1(VALU_DEP_1)
	v_and_b32_e32 v19, 0x80000000, v19
	v_lshl_add_u32 v13, v13, 23, v19
                                        ; implicit-def: $vgpr19
	s_delay_alu instid0(VALU_DEP_1) | instskip(NEXT) | instid1(VALU_DEP_1)
	v_lshl_or_b32 v13, v18, 21, v13
                                        ; implicit-def: $vgpr18
	v_add_nc_u32_e32 v13, 0x38000000, v13
.LBB6_6133:                             ;   in Loop: Header=BB6_5167 Depth=3
	s_and_not1_saveexec_b32 s72, s13
; %bb.6134:                             ;   in Loop: Header=BB6_5167 Depth=3
	v_cmp_lt_i16_e64 s13, -1, v19
	v_mov_b32_e32 v13, 0x7f800000
	v_cmp_eq_u32_e32 vcc_lo, 0, v18
	s_delay_alu instid0(VALU_DEP_2) | instskip(NEXT) | instid1(VALU_DEP_1)
	v_cndmask_b32_e64 v13, 0xff800000, v13, s13
	v_cndmask_b32_e32 v13, 0x7f800001, v13, vcc_lo
; %bb.6135:                             ;   in Loop: Header=BB6_5167 Depth=3
	s_or_b32 exec_lo, exec_lo, s72
.LBB6_6136:                             ;   in Loop: Header=BB6_5167 Depth=3
	s_delay_alu instid0(SALU_CYCLE_1)
	s_or_b32 exec_lo, exec_lo, s43
.LBB6_6137:                             ;   in Loop: Header=BB6_5167 Depth=3
	s_delay_alu instid0(SALU_CYCLE_1) | instskip(SKIP_2) | instid1(VALU_DEP_1)
	s_or_b32 exec_lo, exec_lo, s42
	v_and_b32_e32 v18, 0xff, v26
	s_mov_b32 s42, exec_lo
	v_cmpx_ne_u16_e32 0, v18
	s_cbranch_execz .LBB6_6147
; %bb.6138:                             ;   in Loop: Header=BB6_5167 Depth=3
	v_bfe_i32 v19, v26, 0, 8
	v_bfrev_b32_e32 v12, 1
	s_mov_b32 s43, exec_lo
	s_delay_alu instid0(VALU_DEP_2)
	v_cmpx_ne_u16_e32 0xff80, v19
	s_cbranch_execz .LBB6_6146
; %bb.6139:                             ;   in Loop: Header=BB6_5167 Depth=3
	v_and_b32_e32 v12, 0x7c, v26
	v_and_b32_e32 v18, 3, v26
	s_delay_alu instid0(VALU_DEP_2) | instskip(SKIP_1) | instid1(SALU_CYCLE_1)
	v_cmp_ne_u32_e32 vcc_lo, 0x7c, v12
                                        ; implicit-def: $vgpr12
	s_and_saveexec_b32 s13, vcc_lo
	s_xor_b32 s13, exec_lo, s13
	s_cbranch_execz .LBB6_6143
; %bb.6140:                             ;   in Loop: Header=BB6_5167 Depth=3
	v_bfe_u32 v12, v26, 2, 5
	s_mov_b32 s72, exec_lo
	s_delay_alu instid0(VALU_DEP_1)
	v_cmpx_eq_u32_e32 0, v12
; %bb.6141:                             ;   in Loop: Header=BB6_5167 Depth=3
	v_clz_i32_u32_e32 v12, v18
	s_delay_alu instid0(VALU_DEP_1) | instskip(NEXT) | instid1(VALU_DEP_1)
	v_min_u32_e32 v12, 32, v12
	v_subrev_nc_u32_e32 v18, 29, v12
	s_delay_alu instid0(VALU_DEP_1) | instskip(NEXT) | instid1(VALU_DEP_1)
	v_lshlrev_b64_e32 v[18:19], v18, v[26:27]
	v_dual_sub_nc_u32 v12, 30, v12 :: v_dual_bitop2_b32 v18, 3, v18 bitop3:0x40
; %bb.6142:                             ;   in Loop: Header=BB6_5167 Depth=3
	s_or_b32 exec_lo, exec_lo, s72
	v_lshlrev_b32_e32 v19, 24, v26
	s_delay_alu instid0(VALU_DEP_1) | instskip(NEXT) | instid1(VALU_DEP_1)
	v_and_b32_e32 v19, 0x80000000, v19
	v_lshl_add_u32 v12, v12, 23, v19
                                        ; implicit-def: $vgpr19
	s_delay_alu instid0(VALU_DEP_1) | instskip(NEXT) | instid1(VALU_DEP_1)
	v_lshl_or_b32 v12, v18, 21, v12
                                        ; implicit-def: $vgpr18
	v_add_nc_u32_e32 v12, 0x38000000, v12
.LBB6_6143:                             ;   in Loop: Header=BB6_5167 Depth=3
	s_and_not1_saveexec_b32 s72, s13
; %bb.6144:                             ;   in Loop: Header=BB6_5167 Depth=3
	v_cmp_lt_i16_e64 s13, -1, v19
	v_mov_b32_e32 v12, 0x7f800000
	v_cmp_eq_u32_e32 vcc_lo, 0, v18
	s_delay_alu instid0(VALU_DEP_2) | instskip(NEXT) | instid1(VALU_DEP_1)
	v_cndmask_b32_e64 v12, 0xff800000, v12, s13
	v_cndmask_b32_e32 v12, 0x7f800001, v12, vcc_lo
; %bb.6145:                             ;   in Loop: Header=BB6_5167 Depth=3
	s_or_b32 exec_lo, exec_lo, s72
.LBB6_6146:                             ;   in Loop: Header=BB6_5167 Depth=3
	s_delay_alu instid0(SALU_CYCLE_1)
	s_or_b32 exec_lo, exec_lo, s43
.LBB6_6147:                             ;   in Loop: Header=BB6_5167 Depth=3
	s_delay_alu instid0(SALU_CYCLE_1) | instskip(NEXT) | instid1(VALU_DEP_1)
	s_or_b32 exec_lo, exec_lo, s42
	v_mul_f32_e32 v18, v13, v12
	v_dual_mov_b32 v23, v21 :: v_dual_mov_b32 v13, v21
                                        ; implicit-def: $vgpr25
	s_mov_b32 s13, exec_lo
	s_delay_alu instid0(VALU_DEP_2) | instskip(SKIP_2) | instid1(VALU_DEP_3)
	v_and_b32_e32 v22, 0x7f800000, v18
	v_and_b32_e32 v12, 0x7fffff, v18
	v_lshrrev_b32_e32 v19, 24, v18
	v_cmpx_ne_u64_e32 0x7f800000, v[22:23]
	s_xor_b32 s42, exec_lo, s13
	s_cbranch_execz .LBB6_6161
; %bb.6148:                             ;   in Loop: Header=BB6_5167 Depth=3
	v_and_b32_e32 v22, 0x7fffffff, v18
	v_mov_b32_e32 v23, v21
	v_and_b32_e32 v20, 0x80, v19
                                        ; implicit-def: $vgpr25
	s_mov_b32 s13, exec_lo
	s_delay_alu instid0(VALU_DEP_2)
	v_cmpx_gt_u64_e32 0x47600001, v[22:23]
	s_xor_b32 s43, exec_lo, s13
	s_cbranch_execz .LBB6_6158
; %bb.6149:                             ;   in Loop: Header=BB6_5167 Depth=3
	v_mov_b32_e32 v25, 0
	s_mov_b32 s72, exec_lo
	v_cmpx_ne_u32_e32 0, v18
	s_cbranch_execz .LBB6_6157
; %bb.6150:                             ;   in Loop: Header=BB6_5167 Depth=3
	v_bfe_u32 v22, v18, 23, 8
	v_or_b32_e32 v19, 0x800000, v12
	s_delay_alu instid0(VALU_DEP_2) | instskip(SKIP_2) | instid1(VALU_DEP_2)
	v_cmp_gt_u32_e64 s13, 0x72, v22
	v_sub_nc_u32_e32 v18, 0x71, v22
	v_cmp_eq_u32_e32 vcc_lo, 0, v22
	v_dual_cndmask_b32 v18, 0, v18, s13 :: v_dual_cndmask_b32 v12, v19, v12, vcc_lo
	s_delay_alu instid0(VALU_DEP_1) | instskip(NEXT) | instid1(VALU_DEP_1)
	v_cndmask_b32_e64 v23, v18, 0x70, vcc_lo
	v_dual_add_nc_u32 v18, 21, v23 :: v_dual_add_nc_u32 v25, 20, v23
	s_delay_alu instid0(VALU_DEP_1) | instskip(NEXT) | instid1(VALU_DEP_2)
	v_lshlrev_b64_e64 v[18:19], v18, -1
	v_lshlrev_b64_e64 v[32:33], v25, 1
	s_delay_alu instid0(VALU_DEP_2) | instskip(SKIP_1) | instid1(VALU_DEP_4)
	v_bfi_b32 v18, v18, 0, v12
	v_lshrrev_b64 v[12:13], v23, v[12:13]
	v_bfi_b32 v19, v19, 0, 0
	s_delay_alu instid0(VALU_DEP_1) | instskip(NEXT) | instid1(VALU_DEP_3)
	v_cmp_eq_u64_e64 s13, v[18:19], v[32:33]
	v_mov_b64_e32 v[18:19], v[12:13]
	s_and_saveexec_b32 s73, s13
; %bb.6151:                             ;   in Loop: Header=BB6_5167 Depth=3
	v_bfe_u32 v18, v12, 21, 1
	v_mov_b32_e32 v19, v21
	s_delay_alu instid0(VALU_DEP_1) | instskip(NEXT) | instid1(VALU_DEP_1)
	v_add_nc_u64_e32 v[18:19], v[12:13], v[18:19]
	v_add_nc_u64_e32 v[18:19], -1, v[18:19]
; %bb.6152:                             ;   in Loop: Header=BB6_5167 Depth=3
	s_or_b32 exec_lo, exec_lo, s73
	v_add_nc_u32_e32 v13, 0xffffff81, v22
	v_lshrrev_b32_e32 v19, 23, v12
	s_mov_b32 s13, exec_lo
	s_delay_alu instid0(VALU_DEP_2) | instskip(NEXT) | instid1(VALU_DEP_1)
	v_cndmask_b32_e64 v13, v13, 0xffffff82, vcc_lo
	v_add3_u32 v22, v23, v13, v19
	v_and_b32_e32 v13, 0x1fffff, v18
                                        ; implicit-def: $vgpr18
	s_delay_alu instid0(VALU_DEP_1) | instskip(SKIP_1) | instid1(VALU_DEP_2)
	v_dual_add_nc_u32 v19, 14, v22 :: v_dual_add_nc_u32 v12, v13, v12
	v_mov_b32_e32 v13, v21
	v_cmpx_ne_u32_e32 0, v19
	s_xor_b32 s13, exec_lo, s13
; %bb.6153:                             ;   in Loop: Header=BB6_5167 Depth=3
	s_delay_alu instid0(VALU_DEP_2) | instskip(SKIP_1) | instid1(VALU_DEP_1)
	v_cmp_lt_u64_e32 vcc_lo, 0xffffff, v[12:13]
	v_add_nc_u32_e32 v18, 15, v22
	v_cndmask_b32_e32 v18, v19, v18, vcc_lo
	v_cndmask_b32_e64 v19, 0, 1, vcc_lo
	s_delay_alu instid0(VALU_DEP_1)
	v_lshrrev_b64 v[12:13], v19, v[12:13]
; %bb.6154:                             ;   in Loop: Header=BB6_5167 Depth=3
	s_and_not1_saveexec_b32 s13, s13
; %bb.6155:                             ;   in Loop: Header=BB6_5167 Depth=3
	s_delay_alu instid0(VALU_DEP_1)
	v_bfe_u32 v18, v12, 23, 1
; %bb.6156:                             ;   in Loop: Header=BB6_5167 Depth=3
	s_or_b32 exec_lo, exec_lo, s13
	s_delay_alu instid0(VALU_DEP_2) | instskip(NEXT) | instid1(VALU_DEP_2)
	v_lshrrev_b64 v[12:13], 21, v[12:13]
	v_cmp_gt_i32_e32 vcc_lo, 32, v18
	v_min_i32_e32 v19, 31, v18
	v_cmp_eq_u32_e64 s13, 0, v18
	s_delay_alu instid0(VALU_DEP_2) | instskip(SKIP_1) | instid1(VALU_DEP_2)
	v_dual_cndmask_b32 v13, 0, v13, vcc_lo :: v_dual_lshlrev_b32 v19, 2, v19
	v_cndmask_b32_e32 v12, 3, v12, vcc_lo
	v_and_b32_e32 v19, 0xfc, v19
	s_delay_alu instid0(VALU_DEP_2) | instskip(NEXT) | instid1(VALU_DEP_2)
	v_cmp_eq_u64_e32 vcc_lo, 0, v[12:13]
	v_and_or_b32 v12, v12, 3, v19
	s_and_b32 s13, s13, vcc_lo
	s_delay_alu instid0(VALU_DEP_1) | instid1(SALU_CYCLE_1)
	v_cndmask_b32_e64 v12, v12, 0, s13
	s_delay_alu instid0(VALU_DEP_1)
	v_or_b32_e32 v25, v12, v20
.LBB6_6157:                             ;   in Loop: Header=BB6_5167 Depth=3
	s_or_b32 exec_lo, exec_lo, s72
                                        ; implicit-def: $vgpr20
.LBB6_6158:                             ;   in Loop: Header=BB6_5167 Depth=3
	s_and_not1_saveexec_b32 s13, s43
; %bb.6159:                             ;   in Loop: Header=BB6_5167 Depth=3
	v_or_b32_e32 v25, 0x7b, v20
; %bb.6160:                             ;   in Loop: Header=BB6_5167 Depth=3
	s_or_b32 exec_lo, exec_lo, s13
                                        ; implicit-def: $vgpr18
                                        ; implicit-def: $vgpr12_vgpr13
                                        ; implicit-def: $vgpr19
.LBB6_6161:                             ;   in Loop: Header=BB6_5167 Depth=3
	s_and_not1_saveexec_b32 s13, s42
	s_cbranch_execz .LBB6_6167
; %bb.6162:                             ;   in Loop: Header=BB6_5167 Depth=3
	s_mov_b32 s42, exec_lo
                                        ; implicit-def: $vgpr25
	v_cmpx_ne_u64_e32 0, v[12:13]
	s_xor_b32 s42, exec_lo, s42
; %bb.6163:                             ;   in Loop: Header=BB6_5167 Depth=3
	v_or_b32_e32 v25, 0x7f, v19
                                        ; implicit-def: $vgpr18
; %bb.6164:                             ;   in Loop: Header=BB6_5167 Depth=3
	s_and_not1_saveexec_b32 s42, s42
; %bb.6165:                             ;   in Loop: Header=BB6_5167 Depth=3
	v_cmp_lt_i32_e32 vcc_lo, -1, v18
	v_mov_b32_e32 v12, 0x7c
	s_delay_alu instid0(VALU_DEP_1)
	v_cndmask_b32_e32 v25, 0xfc, v12, vcc_lo
; %bb.6166:                             ;   in Loop: Header=BB6_5167 Depth=3
	s_or_b32 exec_lo, exec_lo, s42
.LBB6_6167:                             ;   in Loop: Header=BB6_5167 Depth=3
	s_delay_alu instid0(SALU_CYCLE_1) | instskip(SKIP_3) | instid1(VALU_DEP_2)
	s_or_b32 exec_lo, exec_lo, s13
	v_lshrrev_b16 v12, 8, v34
	v_dual_mov_b32 v18, 0 :: v_dual_mov_b32 v19, 0
	s_mov_b32 s42, exec_lo
	v_cmpx_ne_u16_e32 0, v12
	s_cbranch_execz .LBB6_6177
; %bb.6168:                             ;   in Loop: Header=BB6_5167 Depth=3
	v_bfrev_b32_e32 v19, 1
	s_mov_b32 s43, exec_lo
	v_cmpx_ne_u16_e32 0x80, v12
	s_cbranch_execz .LBB6_6176
; %bb.6169:                             ;   in Loop: Header=BB6_5167 Depth=3
	v_and_b32_e32 v20, 0xffff, v12
	s_delay_alu instid0(VALU_DEP_1) | instskip(SKIP_1) | instid1(VALU_DEP_2)
	v_and_b32_e32 v19, 0x7c, v20
	v_and_b32_e32 v13, 3, v20
	v_cmp_ne_u32_e32 vcc_lo, 0x7c, v19
                                        ; implicit-def: $vgpr19
	s_and_saveexec_b32 s13, vcc_lo
	s_delay_alu instid0(SALU_CYCLE_1)
	s_xor_b32 s13, exec_lo, s13
	s_cbranch_execz .LBB6_6173
; %bb.6170:                             ;   in Loop: Header=BB6_5167 Depth=3
	v_bfe_u32 v19, v20, 2, 5
	s_mov_b32 s72, exec_lo
	s_delay_alu instid0(VALU_DEP_1)
	v_cmpx_eq_u32_e32 0, v19
	s_cbranch_execz .LBB6_6172
; %bb.6171:                             ;   in Loop: Header=BB6_5167 Depth=3
	v_clz_i32_u32_e32 v13, v13
	s_delay_alu instid0(VALU_DEP_1) | instskip(SKIP_1) | instid1(VALU_DEP_2)
	v_min_u32_e32 v19, 32, v13
	v_mov_b32_e32 v13, v21
	v_subrev_nc_u32_e32 v20, 29, v19
	v_sub_nc_u32_e32 v19, 30, v19
	s_delay_alu instid0(VALU_DEP_2) | instskip(NEXT) | instid1(VALU_DEP_1)
	v_lshlrev_b64_e32 v[12:13], v20, v[12:13]
	v_and_b32_e32 v13, 3, v12
.LBB6_6172:                             ;   in Loop: Header=BB6_5167 Depth=3
	s_or_b32 exec_lo, exec_lo, s72
	v_lshlrev_b32_e32 v12, 16, v34
	s_delay_alu instid0(VALU_DEP_1) | instskip(NEXT) | instid1(VALU_DEP_1)
	v_and_b32_e32 v12, 0x80000000, v12
	v_lshl_add_u32 v12, v19, 23, v12
	s_delay_alu instid0(VALU_DEP_1) | instskip(NEXT) | instid1(VALU_DEP_1)
	v_lshl_or_b32 v12, v13, 21, v12
                                        ; implicit-def: $vgpr13
	v_add_nc_u32_e32 v19, 0x38000000, v12
.LBB6_6173:                             ;   in Loop: Header=BB6_5167 Depth=3
	s_and_not1_saveexec_b32 s72, s13
; %bb.6174:                             ;   in Loop: Header=BB6_5167 Depth=3
	v_cmp_lt_i16_e64 s13, -1, v34
	v_mov_b32_e32 v12, 0x7f800000
	v_cmp_eq_u32_e32 vcc_lo, 0, v13
	s_delay_alu instid0(VALU_DEP_2) | instskip(NEXT) | instid1(VALU_DEP_1)
	v_cndmask_b32_e64 v12, 0xff800000, v12, s13
	v_cndmask_b32_e32 v19, 0x7f800001, v12, vcc_lo
; %bb.6175:                             ;   in Loop: Header=BB6_5167 Depth=3
	s_or_b32 exec_lo, exec_lo, s72
.LBB6_6176:                             ;   in Loop: Header=BB6_5167 Depth=3
	s_delay_alu instid0(SALU_CYCLE_1)
	s_or_b32 exec_lo, exec_lo, s43
.LBB6_6177:                             ;   in Loop: Header=BB6_5167 Depth=3
	s_delay_alu instid0(SALU_CYCLE_1) | instskip(SKIP_2) | instid1(VALU_DEP_1)
	s_or_b32 exec_lo, exec_lo, s42
	v_lshrrev_b16 v12, 8, v26
	s_mov_b32 s42, exec_lo
	v_cmpx_ne_u16_e32 0, v12
	s_cbranch_execz .LBB6_6187
; %bb.6178:                             ;   in Loop: Header=BB6_5167 Depth=3
	v_bfrev_b32_e32 v18, 1
	s_mov_b32 s43, exec_lo
	v_cmpx_ne_u16_e32 0x80, v12
	s_cbranch_execz .LBB6_6186
; %bb.6179:                             ;   in Loop: Header=BB6_5167 Depth=3
	v_and_b32_e32 v20, 0xffff, v12
	s_delay_alu instid0(VALU_DEP_1) | instskip(SKIP_1) | instid1(VALU_DEP_2)
	v_and_b32_e32 v18, 0x7c, v20
	v_and_b32_e32 v13, 3, v20
	v_cmp_ne_u32_e32 vcc_lo, 0x7c, v18
                                        ; implicit-def: $vgpr18
	s_and_saveexec_b32 s13, vcc_lo
	s_delay_alu instid0(SALU_CYCLE_1)
	s_xor_b32 s13, exec_lo, s13
	s_cbranch_execz .LBB6_6183
; %bb.6180:                             ;   in Loop: Header=BB6_5167 Depth=3
	v_bfe_u32 v18, v20, 2, 5
	s_mov_b32 s72, exec_lo
	s_delay_alu instid0(VALU_DEP_1)
	v_cmpx_eq_u32_e32 0, v18
	s_cbranch_execz .LBB6_6182
; %bb.6181:                             ;   in Loop: Header=BB6_5167 Depth=3
	v_clz_i32_u32_e32 v13, v13
	s_delay_alu instid0(VALU_DEP_1) | instskip(SKIP_1) | instid1(VALU_DEP_2)
	v_min_u32_e32 v18, 32, v13
	v_mov_b32_e32 v13, v21
	v_subrev_nc_u32_e32 v20, 29, v18
	v_sub_nc_u32_e32 v18, 30, v18
	s_delay_alu instid0(VALU_DEP_2) | instskip(NEXT) | instid1(VALU_DEP_1)
	v_lshlrev_b64_e32 v[12:13], v20, v[12:13]
	v_and_b32_e32 v13, 3, v12
.LBB6_6182:                             ;   in Loop: Header=BB6_5167 Depth=3
	s_or_b32 exec_lo, exec_lo, s72
	v_lshlrev_b32_e32 v12, 16, v26
	s_delay_alu instid0(VALU_DEP_1) | instskip(NEXT) | instid1(VALU_DEP_1)
	v_and_b32_e32 v12, 0x80000000, v12
	v_lshl_add_u32 v12, v18, 23, v12
	s_delay_alu instid0(VALU_DEP_1) | instskip(NEXT) | instid1(VALU_DEP_1)
	v_lshl_or_b32 v12, v13, 21, v12
                                        ; implicit-def: $vgpr13
	v_add_nc_u32_e32 v18, 0x38000000, v12
.LBB6_6183:                             ;   in Loop: Header=BB6_5167 Depth=3
	s_and_not1_saveexec_b32 s72, s13
; %bb.6184:                             ;   in Loop: Header=BB6_5167 Depth=3
	v_cmp_lt_i16_e64 s13, -1, v26
	v_mov_b32_e32 v12, 0x7f800000
	v_cmp_eq_u32_e32 vcc_lo, 0, v13
	s_delay_alu instid0(VALU_DEP_2) | instskip(NEXT) | instid1(VALU_DEP_1)
	v_cndmask_b32_e64 v12, 0xff800000, v12, s13
	v_cndmask_b32_e32 v18, 0x7f800001, v12, vcc_lo
; %bb.6185:                             ;   in Loop: Header=BB6_5167 Depth=3
	s_or_b32 exec_lo, exec_lo, s72
.LBB6_6186:                             ;   in Loop: Header=BB6_5167 Depth=3
	s_delay_alu instid0(SALU_CYCLE_1)
	s_or_b32 exec_lo, exec_lo, s43
.LBB6_6187:                             ;   in Loop: Header=BB6_5167 Depth=3
	s_delay_alu instid0(SALU_CYCLE_1) | instskip(NEXT) | instid1(VALU_DEP_1)
	s_or_b32 exec_lo, exec_lo, s42
	v_dual_mul_f32 v18, v19, v18 :: v_dual_mov_b32 v23, v21
	v_mov_b32_e32 v13, v21
                                        ; implicit-def: $vgpr32
	s_mov_b32 s13, exec_lo
	s_delay_alu instid0(VALU_DEP_2) | instskip(SKIP_2) | instid1(VALU_DEP_3)
	v_and_b32_e32 v22, 0x7f800000, v18
	v_and_b32_e32 v12, 0x7fffff, v18
	v_lshrrev_b32_e32 v19, 24, v18
	v_cmpx_ne_u64_e32 0x7f800000, v[22:23]
	s_xor_b32 s42, exec_lo, s13
	s_cbranch_execz .LBB6_6201
; %bb.6188:                             ;   in Loop: Header=BB6_5167 Depth=3
	v_and_b32_e32 v22, 0x7fffffff, v18
	v_mov_b32_e32 v23, v21
	v_and_b32_e32 v20, 0x80, v19
                                        ; implicit-def: $vgpr32
	s_mov_b32 s13, exec_lo
	s_delay_alu instid0(VALU_DEP_2)
	v_cmpx_gt_u64_e32 0x47600001, v[22:23]
	s_xor_b32 s43, exec_lo, s13
	s_cbranch_execz .LBB6_6198
; %bb.6189:                             ;   in Loop: Header=BB6_5167 Depth=3
	v_mov_b32_e32 v32, 0
	s_mov_b32 s72, exec_lo
	v_cmpx_ne_u32_e32 0, v18
	s_cbranch_execz .LBB6_6197
; %bb.6190:                             ;   in Loop: Header=BB6_5167 Depth=3
	v_bfe_u32 v22, v18, 23, 8
	v_or_b32_e32 v19, 0x800000, v12
	s_delay_alu instid0(VALU_DEP_2) | instskip(SKIP_2) | instid1(VALU_DEP_2)
	v_cmp_gt_u32_e64 s13, 0x72, v22
	v_sub_nc_u32_e32 v18, 0x71, v22
	v_cmp_eq_u32_e32 vcc_lo, 0, v22
	v_dual_cndmask_b32 v18, 0, v18, s13 :: v_dual_cndmask_b32 v12, v19, v12, vcc_lo
	s_delay_alu instid0(VALU_DEP_1) | instskip(NEXT) | instid1(VALU_DEP_1)
	v_cndmask_b32_e64 v23, v18, 0x70, vcc_lo
	v_dual_add_nc_u32 v18, 21, v23 :: v_dual_add_nc_u32 v32, 20, v23
	s_delay_alu instid0(VALU_DEP_1) | instskip(NEXT) | instid1(VALU_DEP_2)
	v_lshlrev_b64_e64 v[18:19], v18, -1
	v_lshlrev_b64_e64 v[32:33], v32, 1
	s_delay_alu instid0(VALU_DEP_2) | instskip(SKIP_1) | instid1(VALU_DEP_4)
	v_bfi_b32 v18, v18, 0, v12
	v_lshrrev_b64 v[12:13], v23, v[12:13]
	v_bfi_b32 v19, v19, 0, 0
	s_delay_alu instid0(VALU_DEP_1) | instskip(NEXT) | instid1(VALU_DEP_3)
	v_cmp_eq_u64_e64 s13, v[18:19], v[32:33]
	v_mov_b64_e32 v[18:19], v[12:13]
	s_and_saveexec_b32 s73, s13
; %bb.6191:                             ;   in Loop: Header=BB6_5167 Depth=3
	v_bfe_u32 v18, v12, 21, 1
	v_mov_b32_e32 v19, v21
	s_delay_alu instid0(VALU_DEP_1) | instskip(NEXT) | instid1(VALU_DEP_1)
	v_add_nc_u64_e32 v[18:19], v[12:13], v[18:19]
	v_add_nc_u64_e32 v[18:19], -1, v[18:19]
; %bb.6192:                             ;   in Loop: Header=BB6_5167 Depth=3
	s_or_b32 exec_lo, exec_lo, s73
	v_add_nc_u32_e32 v13, 0xffffff81, v22
	v_lshrrev_b32_e32 v19, 23, v12
	s_mov_b32 s13, exec_lo
	s_delay_alu instid0(VALU_DEP_2) | instskip(NEXT) | instid1(VALU_DEP_1)
	v_cndmask_b32_e64 v13, v13, 0xffffff82, vcc_lo
	v_add3_u32 v22, v23, v13, v19
	v_and_b32_e32 v13, 0x1fffff, v18
                                        ; implicit-def: $vgpr18
	s_delay_alu instid0(VALU_DEP_1) | instskip(SKIP_1) | instid1(VALU_DEP_2)
	v_dual_add_nc_u32 v19, 14, v22 :: v_dual_add_nc_u32 v12, v13, v12
	v_mov_b32_e32 v13, v21
	v_cmpx_ne_u32_e32 0, v19
	s_xor_b32 s13, exec_lo, s13
; %bb.6193:                             ;   in Loop: Header=BB6_5167 Depth=3
	s_delay_alu instid0(VALU_DEP_2) | instskip(SKIP_1) | instid1(VALU_DEP_1)
	v_cmp_lt_u64_e32 vcc_lo, 0xffffff, v[12:13]
	v_add_nc_u32_e32 v18, 15, v22
	v_cndmask_b32_e32 v18, v19, v18, vcc_lo
	v_cndmask_b32_e64 v19, 0, 1, vcc_lo
	s_delay_alu instid0(VALU_DEP_1)
	v_lshrrev_b64 v[12:13], v19, v[12:13]
; %bb.6194:                             ;   in Loop: Header=BB6_5167 Depth=3
	s_and_not1_saveexec_b32 s13, s13
; %bb.6195:                             ;   in Loop: Header=BB6_5167 Depth=3
	s_delay_alu instid0(VALU_DEP_1)
	v_bfe_u32 v18, v12, 23, 1
; %bb.6196:                             ;   in Loop: Header=BB6_5167 Depth=3
	s_or_b32 exec_lo, exec_lo, s13
	s_delay_alu instid0(VALU_DEP_2) | instskip(NEXT) | instid1(VALU_DEP_2)
	v_lshrrev_b64 v[12:13], 21, v[12:13]
	v_cmp_gt_i32_e32 vcc_lo, 32, v18
	v_min_i32_e32 v19, 31, v18
	v_cmp_eq_u32_e64 s13, 0, v18
	s_delay_alu instid0(VALU_DEP_2) | instskip(SKIP_1) | instid1(VALU_DEP_2)
	v_dual_cndmask_b32 v13, 0, v13, vcc_lo :: v_dual_lshlrev_b32 v19, 2, v19
	v_cndmask_b32_e32 v12, 3, v12, vcc_lo
	v_and_b32_e32 v19, 0xfc, v19
	s_delay_alu instid0(VALU_DEP_2) | instskip(NEXT) | instid1(VALU_DEP_2)
	v_cmp_eq_u64_e32 vcc_lo, 0, v[12:13]
	v_and_or_b32 v12, v12, 3, v19
	s_and_b32 s13, s13, vcc_lo
	s_delay_alu instid0(VALU_DEP_1) | instid1(SALU_CYCLE_1)
	v_cndmask_b32_e64 v12, v12, 0, s13
	s_delay_alu instid0(VALU_DEP_1)
	v_or_b32_e32 v32, v12, v20
.LBB6_6197:                             ;   in Loop: Header=BB6_5167 Depth=3
	s_or_b32 exec_lo, exec_lo, s72
                                        ; implicit-def: $vgpr20
.LBB6_6198:                             ;   in Loop: Header=BB6_5167 Depth=3
	s_and_not1_saveexec_b32 s13, s43
; %bb.6199:                             ;   in Loop: Header=BB6_5167 Depth=3
	v_or_b32_e32 v32, 0x7b, v20
; %bb.6200:                             ;   in Loop: Header=BB6_5167 Depth=3
	s_or_b32 exec_lo, exec_lo, s13
                                        ; implicit-def: $vgpr18
                                        ; implicit-def: $vgpr12_vgpr13
                                        ; implicit-def: $vgpr19
.LBB6_6201:                             ;   in Loop: Header=BB6_5167 Depth=3
	s_and_not1_saveexec_b32 s13, s42
	s_cbranch_execz .LBB6_6207
; %bb.6202:                             ;   in Loop: Header=BB6_5167 Depth=3
	s_mov_b32 s42, exec_lo
                                        ; implicit-def: $vgpr32
	v_cmpx_ne_u64_e32 0, v[12:13]
	s_xor_b32 s42, exec_lo, s42
; %bb.6203:                             ;   in Loop: Header=BB6_5167 Depth=3
	v_or_b32_e32 v32, 0x7f, v19
                                        ; implicit-def: $vgpr18
; %bb.6204:                             ;   in Loop: Header=BB6_5167 Depth=3
	s_and_not1_saveexec_b32 s42, s42
; %bb.6205:                             ;   in Loop: Header=BB6_5167 Depth=3
	v_cmp_lt_i32_e32 vcc_lo, -1, v18
	v_mov_b32_e32 v12, 0x7c
	s_delay_alu instid0(VALU_DEP_1)
	v_cndmask_b32_e32 v32, 0xfc, v12, vcc_lo
; %bb.6206:                             ;   in Loop: Header=BB6_5167 Depth=3
	s_or_b32 exec_lo, exec_lo, s42
.LBB6_6207:                             ;   in Loop: Header=BB6_5167 Depth=3
	s_delay_alu instid0(SALU_CYCLE_1) | instskip(SKIP_3) | instid1(VALU_DEP_2)
	s_or_b32 exec_lo, exec_lo, s13
	v_dual_mov_b32 v13, 0 :: v_dual_lshrrev_b32 v12, 16, v34
	v_mov_b32_e32 v18, 0
	s_mov_b32 s42, exec_lo
	v_and_b32_e32 v19, 0xff, v12
	s_delay_alu instid0(VALU_DEP_1)
	v_cmpx_ne_u16_e32 0, v19
	s_cbranch_execz .LBB6_6217
; %bb.6208:                             ;   in Loop: Header=BB6_5167 Depth=3
	v_bfrev_b32_e32 v18, 1
	s_mov_b32 s43, exec_lo
	v_cmpx_ne_u16_e32 0x80, v19
	s_cbranch_execz .LBB6_6216
; %bb.6209:                             ;   in Loop: Header=BB6_5167 Depth=3
	v_and_b32_e32 v18, 0x7c0000, v34
	v_bfe_u32 v19, v34, 16, 2
	s_delay_alu instid0(VALU_DEP_2) | instskip(SKIP_1) | instid1(SALU_CYCLE_1)
	v_cmp_ne_u32_e32 vcc_lo, 0x7c0000, v18
                                        ; implicit-def: $vgpr18
	s_and_saveexec_b32 s13, vcc_lo
	s_xor_b32 s13, exec_lo, s13
	s_cbranch_execz .LBB6_6213
; %bb.6210:                             ;   in Loop: Header=BB6_5167 Depth=3
	v_bfe_u32 v18, v34, 18, 5
	s_mov_b32 s72, exec_lo
	s_delay_alu instid0(VALU_DEP_1)
	v_cmpx_eq_u32_e32 0, v18
; %bb.6211:                             ;   in Loop: Header=BB6_5167 Depth=3
	v_clz_i32_u32_e32 v18, v19
	s_delay_alu instid0(VALU_DEP_1) | instskip(NEXT) | instid1(VALU_DEP_1)
	v_min_u32_e32 v18, 32, v18
	v_subrev_nc_u32_e32 v19, 29, v18
	v_sub_nc_u32_e32 v18, 30, v18
	s_delay_alu instid0(VALU_DEP_2) | instskip(NEXT) | instid1(VALU_DEP_1)
	v_lshlrev_b64_e32 v[22:23], v19, v[12:13]
	v_and_b32_e32 v19, 3, v22
; %bb.6212:                             ;   in Loop: Header=BB6_5167 Depth=3
	s_or_b32 exec_lo, exec_lo, s72
	v_lshlrev_b32_e32 v12, 24, v12
	s_delay_alu instid0(VALU_DEP_1) | instskip(NEXT) | instid1(VALU_DEP_1)
	v_and_b32_e32 v12, 0x80000000, v12
	v_lshl_add_u32 v12, v18, 23, v12
	s_delay_alu instid0(VALU_DEP_1) | instskip(NEXT) | instid1(VALU_DEP_1)
	v_lshl_or_b32 v12, v19, 21, v12
                                        ; implicit-def: $vgpr19
	v_add_nc_u32_e32 v18, 0x38000000, v12
                                        ; implicit-def: $vgpr12
.LBB6_6213:                             ;   in Loop: Header=BB6_5167 Depth=3
	s_and_not1_saveexec_b32 s72, s13
; %bb.6214:                             ;   in Loop: Header=BB6_5167 Depth=3
	v_bfe_i32 v12, v12, 0, 8
	v_cmp_eq_u32_e32 vcc_lo, 0, v19
	s_delay_alu instid0(VALU_DEP_2) | instskip(SKIP_1) | instid1(VALU_DEP_1)
	v_cmp_lt_i16_e64 s13, -1, v12
	v_mov_b32_e32 v12, 0x7f800000
	v_cndmask_b32_e64 v12, 0xff800000, v12, s13
	s_delay_alu instid0(VALU_DEP_1)
	v_cndmask_b32_e32 v18, 0x7f800001, v12, vcc_lo
; %bb.6215:                             ;   in Loop: Header=BB6_5167 Depth=3
	s_or_b32 exec_lo, exec_lo, s72
.LBB6_6216:                             ;   in Loop: Header=BB6_5167 Depth=3
	s_delay_alu instid0(SALU_CYCLE_1)
	s_or_b32 exec_lo, exec_lo, s43
.LBB6_6217:                             ;   in Loop: Header=BB6_5167 Depth=3
	s_delay_alu instid0(SALU_CYCLE_1) | instskip(SKIP_2) | instid1(VALU_DEP_1)
	s_or_b32 exec_lo, exec_lo, s42
	v_lshrrev_b32_e32 v12, 16, v26
	s_mov_b32 s42, exec_lo
	v_and_b32_e32 v19, 0xff, v12
	s_delay_alu instid0(VALU_DEP_1)
	v_cmpx_ne_u16_e32 0, v19
	s_cbranch_execz .LBB6_6227
; %bb.6218:                             ;   in Loop: Header=BB6_5167 Depth=3
	v_bfrev_b32_e32 v13, 1
	s_mov_b32 s43, exec_lo
	v_cmpx_ne_u16_e32 0x80, v19
	s_cbranch_execz .LBB6_6226
; %bb.6219:                             ;   in Loop: Header=BB6_5167 Depth=3
	v_and_b32_e32 v13, 0x7c0000, v26
	v_bfe_u32 v19, v26, 16, 2
	s_delay_alu instid0(VALU_DEP_2) | instskip(SKIP_1) | instid1(SALU_CYCLE_1)
	v_cmp_ne_u32_e32 vcc_lo, 0x7c0000, v13
                                        ; implicit-def: $vgpr13
	s_and_saveexec_b32 s13, vcc_lo
	s_xor_b32 s13, exec_lo, s13
	s_cbranch_execz .LBB6_6223
; %bb.6220:                             ;   in Loop: Header=BB6_5167 Depth=3
	v_bfe_u32 v13, v26, 18, 5
	s_mov_b32 s72, exec_lo
	s_delay_alu instid0(VALU_DEP_1)
	v_cmpx_eq_u32_e32 0, v13
; %bb.6221:                             ;   in Loop: Header=BB6_5167 Depth=3
	v_clz_i32_u32_e32 v13, v19
	s_delay_alu instid0(VALU_DEP_1) | instskip(NEXT) | instid1(VALU_DEP_1)
	v_min_u32_e32 v13, 32, v13
	v_subrev_nc_u32_e32 v19, 29, v13
	s_delay_alu instid0(VALU_DEP_1) | instskip(NEXT) | instid1(VALU_DEP_1)
	v_lshlrev_b64_e32 v[22:23], v19, v[12:13]
	v_dual_sub_nc_u32 v13, 30, v13 :: v_dual_bitop2_b32 v19, 3, v22 bitop3:0x40
; %bb.6222:                             ;   in Loop: Header=BB6_5167 Depth=3
	s_or_b32 exec_lo, exec_lo, s72
	v_lshlrev_b32_e32 v12, 24, v12
	s_delay_alu instid0(VALU_DEP_1) | instskip(NEXT) | instid1(VALU_DEP_1)
	v_and_b32_e32 v12, 0x80000000, v12
	v_lshl_add_u32 v12, v13, 23, v12
	s_delay_alu instid0(VALU_DEP_1) | instskip(NEXT) | instid1(VALU_DEP_1)
	v_lshl_or_b32 v12, v19, 21, v12
                                        ; implicit-def: $vgpr19
	v_add_nc_u32_e32 v13, 0x38000000, v12
                                        ; implicit-def: $vgpr12
.LBB6_6223:                             ;   in Loop: Header=BB6_5167 Depth=3
	s_and_not1_saveexec_b32 s72, s13
; %bb.6224:                             ;   in Loop: Header=BB6_5167 Depth=3
	v_bfe_i32 v12, v12, 0, 8
	v_cmp_eq_u32_e32 vcc_lo, 0, v19
	s_delay_alu instid0(VALU_DEP_2) | instskip(SKIP_1) | instid1(VALU_DEP_1)
	v_cmp_lt_i16_e64 s13, -1, v12
	v_mov_b32_e32 v12, 0x7f800000
	v_cndmask_b32_e64 v12, 0xff800000, v12, s13
	s_delay_alu instid0(VALU_DEP_1)
	v_cndmask_b32_e32 v13, 0x7f800001, v12, vcc_lo
; %bb.6225:                             ;   in Loop: Header=BB6_5167 Depth=3
	s_or_b32 exec_lo, exec_lo, s72
.LBB6_6226:                             ;   in Loop: Header=BB6_5167 Depth=3
	s_delay_alu instid0(SALU_CYCLE_1)
	s_or_b32 exec_lo, exec_lo, s43
.LBB6_6227:                             ;   in Loop: Header=BB6_5167 Depth=3
	s_delay_alu instid0(SALU_CYCLE_1) | instskip(NEXT) | instid1(VALU_DEP_1)
	s_or_b32 exec_lo, exec_lo, s42
	v_dual_mul_f32 v18, v18, v13 :: v_dual_mov_b32 v23, v21
	v_mov_b32_e32 v13, v21
                                        ; implicit-def: $vgpr33
	s_mov_b32 s13, exec_lo
	s_delay_alu instid0(VALU_DEP_2) | instskip(SKIP_2) | instid1(VALU_DEP_3)
	v_and_b32_e32 v22, 0x7f800000, v18
	v_and_b32_e32 v12, 0x7fffff, v18
	v_lshrrev_b32_e32 v19, 24, v18
	v_cmpx_ne_u64_e32 0x7f800000, v[22:23]
	s_xor_b32 s42, exec_lo, s13
	s_cbranch_execz .LBB6_6241
; %bb.6228:                             ;   in Loop: Header=BB6_5167 Depth=3
	v_and_b32_e32 v22, 0x7fffffff, v18
	v_mov_b32_e32 v23, v21
	v_and_b32_e32 v20, 0x80, v19
                                        ; implicit-def: $vgpr33
	s_mov_b32 s13, exec_lo
	s_delay_alu instid0(VALU_DEP_2)
	v_cmpx_gt_u64_e32 0x47600001, v[22:23]
	s_xor_b32 s43, exec_lo, s13
	s_cbranch_execz .LBB6_6238
; %bb.6229:                             ;   in Loop: Header=BB6_5167 Depth=3
	v_mov_b32_e32 v33, 0
	s_mov_b32 s72, exec_lo
	v_cmpx_ne_u32_e32 0, v18
	s_cbranch_execz .LBB6_6237
; %bb.6230:                             ;   in Loop: Header=BB6_5167 Depth=3
	v_bfe_u32 v22, v18, 23, 8
	v_or_b32_e32 v19, 0x800000, v12
	s_delay_alu instid0(VALU_DEP_2) | instskip(SKIP_2) | instid1(VALU_DEP_2)
	v_cmp_gt_u32_e64 s13, 0x72, v22
	v_sub_nc_u32_e32 v18, 0x71, v22
	v_cmp_eq_u32_e32 vcc_lo, 0, v22
	v_dual_cndmask_b32 v18, 0, v18, s13 :: v_dual_cndmask_b32 v12, v19, v12, vcc_lo
	s_delay_alu instid0(VALU_DEP_1) | instskip(NEXT) | instid1(VALU_DEP_1)
	v_cndmask_b32_e64 v23, v18, 0x70, vcc_lo
	v_dual_add_nc_u32 v18, 21, v23 :: v_dual_add_nc_u32 v33, 20, v23
	s_delay_alu instid0(VALU_DEP_1) | instskip(NEXT) | instid1(VALU_DEP_2)
	v_lshlrev_b64_e64 v[18:19], v18, -1
	v_lshlrev_b64_e64 v[82:83], v33, 1
	s_delay_alu instid0(VALU_DEP_2) | instskip(SKIP_1) | instid1(VALU_DEP_4)
	v_bfi_b32 v18, v18, 0, v12
	v_lshrrev_b64 v[12:13], v23, v[12:13]
	v_bfi_b32 v19, v19, 0, 0
	s_delay_alu instid0(VALU_DEP_1) | instskip(NEXT) | instid1(VALU_DEP_3)
	v_cmp_eq_u64_e64 s13, v[18:19], v[82:83]
	v_mov_b64_e32 v[18:19], v[12:13]
	s_and_saveexec_b32 s73, s13
; %bb.6231:                             ;   in Loop: Header=BB6_5167 Depth=3
	v_bfe_u32 v18, v12, 21, 1
	v_mov_b32_e32 v19, v21
	s_delay_alu instid0(VALU_DEP_1) | instskip(NEXT) | instid1(VALU_DEP_1)
	v_add_nc_u64_e32 v[18:19], v[12:13], v[18:19]
	v_add_nc_u64_e32 v[18:19], -1, v[18:19]
; %bb.6232:                             ;   in Loop: Header=BB6_5167 Depth=3
	s_or_b32 exec_lo, exec_lo, s73
	v_add_nc_u32_e32 v13, 0xffffff81, v22
	v_lshrrev_b32_e32 v19, 23, v12
	s_mov_b32 s13, exec_lo
	s_delay_alu instid0(VALU_DEP_2) | instskip(NEXT) | instid1(VALU_DEP_1)
	v_cndmask_b32_e64 v13, v13, 0xffffff82, vcc_lo
	v_add3_u32 v22, v23, v13, v19
	v_and_b32_e32 v13, 0x1fffff, v18
                                        ; implicit-def: $vgpr18
	s_delay_alu instid0(VALU_DEP_1) | instskip(SKIP_1) | instid1(VALU_DEP_2)
	v_dual_add_nc_u32 v19, 14, v22 :: v_dual_add_nc_u32 v12, v13, v12
	v_mov_b32_e32 v13, v21
	v_cmpx_ne_u32_e32 0, v19
	s_xor_b32 s13, exec_lo, s13
; %bb.6233:                             ;   in Loop: Header=BB6_5167 Depth=3
	s_delay_alu instid0(VALU_DEP_2) | instskip(SKIP_1) | instid1(VALU_DEP_1)
	v_cmp_lt_u64_e32 vcc_lo, 0xffffff, v[12:13]
	v_add_nc_u32_e32 v18, 15, v22
	v_cndmask_b32_e32 v18, v19, v18, vcc_lo
	v_cndmask_b32_e64 v19, 0, 1, vcc_lo
	s_delay_alu instid0(VALU_DEP_1)
	v_lshrrev_b64 v[12:13], v19, v[12:13]
; %bb.6234:                             ;   in Loop: Header=BB6_5167 Depth=3
	s_and_not1_saveexec_b32 s13, s13
; %bb.6235:                             ;   in Loop: Header=BB6_5167 Depth=3
	s_delay_alu instid0(VALU_DEP_1)
	v_bfe_u32 v18, v12, 23, 1
; %bb.6236:                             ;   in Loop: Header=BB6_5167 Depth=3
	s_or_b32 exec_lo, exec_lo, s13
	s_delay_alu instid0(VALU_DEP_2) | instskip(NEXT) | instid1(VALU_DEP_2)
	v_lshrrev_b64 v[12:13], 21, v[12:13]
	v_cmp_gt_i32_e32 vcc_lo, 32, v18
	v_min_i32_e32 v19, 31, v18
	v_cmp_eq_u32_e64 s13, 0, v18
	s_delay_alu instid0(VALU_DEP_2) | instskip(SKIP_1) | instid1(VALU_DEP_2)
	v_dual_cndmask_b32 v13, 0, v13, vcc_lo :: v_dual_lshlrev_b32 v19, 2, v19
	v_cndmask_b32_e32 v12, 3, v12, vcc_lo
	v_and_b32_e32 v19, 0xfc, v19
	s_delay_alu instid0(VALU_DEP_2) | instskip(NEXT) | instid1(VALU_DEP_2)
	v_cmp_eq_u64_e32 vcc_lo, 0, v[12:13]
	v_and_or_b32 v12, v12, 3, v19
	s_and_b32 s13, s13, vcc_lo
	s_delay_alu instid0(VALU_DEP_1) | instid1(SALU_CYCLE_1)
	v_cndmask_b32_e64 v12, v12, 0, s13
	s_delay_alu instid0(VALU_DEP_1)
	v_or_b32_e32 v33, v12, v20
.LBB6_6237:                             ;   in Loop: Header=BB6_5167 Depth=3
	s_or_b32 exec_lo, exec_lo, s72
                                        ; implicit-def: $vgpr20
.LBB6_6238:                             ;   in Loop: Header=BB6_5167 Depth=3
	s_and_not1_saveexec_b32 s13, s43
; %bb.6239:                             ;   in Loop: Header=BB6_5167 Depth=3
	v_or_b32_e32 v33, 0x7b, v20
; %bb.6240:                             ;   in Loop: Header=BB6_5167 Depth=3
	s_or_b32 exec_lo, exec_lo, s13
                                        ; implicit-def: $vgpr18
                                        ; implicit-def: $vgpr12_vgpr13
                                        ; implicit-def: $vgpr19
.LBB6_6241:                             ;   in Loop: Header=BB6_5167 Depth=3
	s_and_not1_saveexec_b32 s13, s42
	s_cbranch_execz .LBB6_6247
; %bb.6242:                             ;   in Loop: Header=BB6_5167 Depth=3
	s_mov_b32 s42, exec_lo
                                        ; implicit-def: $vgpr33
	v_cmpx_ne_u64_e32 0, v[12:13]
	s_xor_b32 s42, exec_lo, s42
; %bb.6243:                             ;   in Loop: Header=BB6_5167 Depth=3
	v_or_b32_e32 v33, 0x7f, v19
                                        ; implicit-def: $vgpr18
; %bb.6244:                             ;   in Loop: Header=BB6_5167 Depth=3
	s_and_not1_saveexec_b32 s42, s42
; %bb.6245:                             ;   in Loop: Header=BB6_5167 Depth=3
	v_cmp_lt_i32_e32 vcc_lo, -1, v18
	v_mov_b32_e32 v12, 0x7c
	s_delay_alu instid0(VALU_DEP_1)
	v_cndmask_b32_e32 v33, 0xfc, v12, vcc_lo
; %bb.6246:                             ;   in Loop: Header=BB6_5167 Depth=3
	s_or_b32 exec_lo, exec_lo, s42
.LBB6_6247:                             ;   in Loop: Header=BB6_5167 Depth=3
	s_delay_alu instid0(SALU_CYCLE_1)
	s_or_b32 exec_lo, exec_lo, s13
	v_dual_mov_b32 v13, 0 :: v_dual_mov_b32 v18, 0
	s_mov_b32 s42, exec_lo
	v_cmpx_lt_u32_e32 0xffffff, v34
	s_cbranch_execz .LBB6_6257
; %bb.6248:                             ;   in Loop: Header=BB6_5167 Depth=3
	v_lshrrev_b32_e32 v12, 24, v34
	v_bfrev_b32_e32 v18, 1
	s_mov_b32 s43, exec_lo
	s_delay_alu instid0(VALU_DEP_2)
	v_cmpx_ne_u32_e32 0x80, v12
	s_cbranch_execz .LBB6_6256
; %bb.6249:                             ;   in Loop: Header=BB6_5167 Depth=3
	v_and_b32_e32 v18, 0x7c000000, v34
	v_bfe_u32 v19, v34, 24, 2
	s_delay_alu instid0(VALU_DEP_2) | instskip(SKIP_1) | instid1(SALU_CYCLE_1)
	v_cmp_ne_u32_e32 vcc_lo, 0x7c000000, v18
                                        ; implicit-def: $vgpr18
	s_and_saveexec_b32 s13, vcc_lo
	s_xor_b32 s13, exec_lo, s13
	s_cbranch_execz .LBB6_6253
; %bb.6250:                             ;   in Loop: Header=BB6_5167 Depth=3
	v_bfe_u32 v18, v34, 26, 5
	s_mov_b32 s72, exec_lo
	s_delay_alu instid0(VALU_DEP_1)
	v_cmpx_eq_u32_e32 0, v18
; %bb.6251:                             ;   in Loop: Header=BB6_5167 Depth=3
	v_clz_i32_u32_e32 v18, v19
	s_delay_alu instid0(VALU_DEP_1) | instskip(NEXT) | instid1(VALU_DEP_1)
	v_min_u32_e32 v18, 32, v18
	v_subrev_nc_u32_e32 v19, 29, v18
	v_sub_nc_u32_e32 v18, 30, v18
	s_delay_alu instid0(VALU_DEP_2) | instskip(NEXT) | instid1(VALU_DEP_1)
	v_lshlrev_b64_e32 v[22:23], v19, v[12:13]
	v_and_b32_e32 v19, 3, v22
; %bb.6252:                             ;   in Loop: Header=BB6_5167 Depth=3
	s_or_b32 exec_lo, exec_lo, s72
	v_and_b32_e32 v12, 0x80000000, v34
	s_delay_alu instid0(VALU_DEP_1) | instskip(NEXT) | instid1(VALU_DEP_1)
	v_lshl_add_u32 v12, v18, 23, v12
	v_lshl_or_b32 v12, v19, 21, v12
                                        ; implicit-def: $vgpr19
	s_delay_alu instid0(VALU_DEP_1)
	v_add_nc_u32_e32 v18, 0x38000000, v12
.LBB6_6253:                             ;   in Loop: Header=BB6_5167 Depth=3
	s_and_not1_saveexec_b32 s72, s13
; %bb.6254:                             ;   in Loop: Header=BB6_5167 Depth=3
	v_cmp_lt_i32_e64 s13, -1, v34
	v_mov_b32_e32 v12, 0x7f800000
	v_cmp_eq_u32_e32 vcc_lo, 0, v19
	s_delay_alu instid0(VALU_DEP_2) | instskip(NEXT) | instid1(VALU_DEP_1)
	v_cndmask_b32_e64 v12, 0xff800000, v12, s13
	v_cndmask_b32_e32 v18, 0x7f800001, v12, vcc_lo
; %bb.6255:                             ;   in Loop: Header=BB6_5167 Depth=3
	s_or_b32 exec_lo, exec_lo, s72
.LBB6_6256:                             ;   in Loop: Header=BB6_5167 Depth=3
	s_delay_alu instid0(SALU_CYCLE_1)
	s_or_b32 exec_lo, exec_lo, s43
.LBB6_6257:                             ;   in Loop: Header=BB6_5167 Depth=3
	s_delay_alu instid0(SALU_CYCLE_1) | instskip(NEXT) | instid1(SALU_CYCLE_1)
	s_or_b32 exec_lo, exec_lo, s42
	s_mov_b32 s42, exec_lo
	v_cmpx_lt_u32_e32 0xffffff, v26
	s_cbranch_execz .LBB6_6267
; %bb.6258:                             ;   in Loop: Header=BB6_5167 Depth=3
	v_lshrrev_b32_e32 v12, 24, v26
	v_bfrev_b32_e32 v13, 1
	s_mov_b32 s43, exec_lo
	s_delay_alu instid0(VALU_DEP_2)
	v_cmpx_ne_u32_e32 0x80, v12
	s_cbranch_execz .LBB6_6266
; %bb.6259:                             ;   in Loop: Header=BB6_5167 Depth=3
	v_and_b32_e32 v13, 0x7c000000, v26
	v_bfe_u32 v19, v26, 24, 2
	s_delay_alu instid0(VALU_DEP_2) | instskip(SKIP_1) | instid1(SALU_CYCLE_1)
	v_cmp_ne_u32_e32 vcc_lo, 0x7c000000, v13
                                        ; implicit-def: $vgpr13
	s_and_saveexec_b32 s13, vcc_lo
	s_xor_b32 s13, exec_lo, s13
	s_cbranch_execz .LBB6_6263
; %bb.6260:                             ;   in Loop: Header=BB6_5167 Depth=3
	v_bfe_u32 v13, v26, 26, 5
	s_mov_b32 s72, exec_lo
	s_delay_alu instid0(VALU_DEP_1)
	v_cmpx_eq_u32_e32 0, v13
; %bb.6261:                             ;   in Loop: Header=BB6_5167 Depth=3
	v_clz_i32_u32_e32 v13, v19
	s_delay_alu instid0(VALU_DEP_1) | instskip(NEXT) | instid1(VALU_DEP_1)
	v_min_u32_e32 v19, 32, v13
	v_subrev_nc_u32_e32 v13, 29, v19
	s_delay_alu instid0(VALU_DEP_1) | instskip(NEXT) | instid1(VALU_DEP_1)
	v_lshlrev_b64_e32 v[12:13], v13, v[12:13]
	v_dual_sub_nc_u32 v13, 30, v19 :: v_dual_bitop2_b32 v19, 3, v12 bitop3:0x40
; %bb.6262:                             ;   in Loop: Header=BB6_5167 Depth=3
	s_or_b32 exec_lo, exec_lo, s72
	v_and_b32_e32 v12, 0x80000000, v26
	s_delay_alu instid0(VALU_DEP_1) | instskip(NEXT) | instid1(VALU_DEP_1)
	v_lshl_add_u32 v12, v13, 23, v12
	v_lshl_or_b32 v12, v19, 21, v12
                                        ; implicit-def: $vgpr19
	s_delay_alu instid0(VALU_DEP_1)
	v_add_nc_u32_e32 v13, 0x38000000, v12
.LBB6_6263:                             ;   in Loop: Header=BB6_5167 Depth=3
	s_and_not1_saveexec_b32 s72, s13
; %bb.6264:                             ;   in Loop: Header=BB6_5167 Depth=3
	v_cmp_lt_i32_e64 s13, -1, v26
	v_mov_b32_e32 v12, 0x7f800000
	v_cmp_eq_u32_e32 vcc_lo, 0, v19
	s_delay_alu instid0(VALU_DEP_2) | instskip(NEXT) | instid1(VALU_DEP_1)
	v_cndmask_b32_e64 v12, 0xff800000, v12, s13
	v_cndmask_b32_e32 v13, 0x7f800001, v12, vcc_lo
; %bb.6265:                             ;   in Loop: Header=BB6_5167 Depth=3
	s_or_b32 exec_lo, exec_lo, s72
.LBB6_6266:                             ;   in Loop: Header=BB6_5167 Depth=3
	s_delay_alu instid0(SALU_CYCLE_1)
	s_or_b32 exec_lo, exec_lo, s43
.LBB6_6267:                             ;   in Loop: Header=BB6_5167 Depth=3
	s_delay_alu instid0(SALU_CYCLE_1) | instskip(NEXT) | instid1(VALU_DEP_1)
	s_or_b32 exec_lo, exec_lo, s42
	v_dual_mul_f32 v18, v18, v13 :: v_dual_mov_b32 v23, v21
	v_mov_b32_e32 v13, v21
                                        ; implicit-def: $vgpr81
	s_mov_b32 s13, exec_lo
	s_delay_alu instid0(VALU_DEP_2) | instskip(SKIP_2) | instid1(VALU_DEP_3)
	v_and_b32_e32 v22, 0x7f800000, v18
	v_and_b32_e32 v12, 0x7fffff, v18
	v_lshrrev_b32_e32 v19, 24, v18
	v_cmpx_ne_u64_e32 0x7f800000, v[22:23]
	s_xor_b32 s42, exec_lo, s13
	s_cbranch_execz .LBB6_6281
; %bb.6268:                             ;   in Loop: Header=BB6_5167 Depth=3
	v_and_b32_e32 v22, 0x7fffffff, v18
	v_mov_b32_e32 v23, v21
	v_and_b32_e32 v20, 0x80, v19
                                        ; implicit-def: $vgpr81
	s_mov_b32 s13, exec_lo
	s_delay_alu instid0(VALU_DEP_2)
	v_cmpx_gt_u64_e32 0x47600001, v[22:23]
	s_xor_b32 s43, exec_lo, s13
	s_cbranch_execz .LBB6_6278
; %bb.6269:                             ;   in Loop: Header=BB6_5167 Depth=3
	v_mov_b32_e32 v81, 0
	s_mov_b32 s72, exec_lo
	v_cmpx_ne_u32_e32 0, v18
	s_cbranch_execz .LBB6_6277
; %bb.6270:                             ;   in Loop: Header=BB6_5167 Depth=3
	v_bfe_u32 v22, v18, 23, 8
	v_or_b32_e32 v19, 0x800000, v12
	s_delay_alu instid0(VALU_DEP_2) | instskip(SKIP_2) | instid1(VALU_DEP_2)
	v_cmp_gt_u32_e64 s13, 0x72, v22
	v_sub_nc_u32_e32 v18, 0x71, v22
	v_cmp_eq_u32_e32 vcc_lo, 0, v22
	v_dual_cndmask_b32 v18, 0, v18, s13 :: v_dual_cndmask_b32 v12, v19, v12, vcc_lo
	s_delay_alu instid0(VALU_DEP_1) | instskip(NEXT) | instid1(VALU_DEP_1)
	v_cndmask_b32_e64 v23, v18, 0x70, vcc_lo
	v_dual_add_nc_u32 v18, 21, v23 :: v_dual_add_nc_u32 v81, 20, v23
	s_delay_alu instid0(VALU_DEP_1) | instskip(NEXT) | instid1(VALU_DEP_2)
	v_lshlrev_b64_e64 v[18:19], v18, -1
	v_lshlrev_b64_e64 v[82:83], v81, 1
	s_delay_alu instid0(VALU_DEP_2) | instskip(SKIP_1) | instid1(VALU_DEP_4)
	v_bfi_b32 v18, v18, 0, v12
	v_lshrrev_b64 v[12:13], v23, v[12:13]
	v_bfi_b32 v19, v19, 0, 0
	s_delay_alu instid0(VALU_DEP_1) | instskip(NEXT) | instid1(VALU_DEP_3)
	v_cmp_eq_u64_e64 s13, v[18:19], v[82:83]
	v_mov_b64_e32 v[18:19], v[12:13]
	s_and_saveexec_b32 s73, s13
; %bb.6271:                             ;   in Loop: Header=BB6_5167 Depth=3
	v_bfe_u32 v18, v12, 21, 1
	v_mov_b32_e32 v19, v21
	s_delay_alu instid0(VALU_DEP_1) | instskip(NEXT) | instid1(VALU_DEP_1)
	v_add_nc_u64_e32 v[18:19], v[12:13], v[18:19]
	v_add_nc_u64_e32 v[18:19], -1, v[18:19]
; %bb.6272:                             ;   in Loop: Header=BB6_5167 Depth=3
	s_or_b32 exec_lo, exec_lo, s73
	v_add_nc_u32_e32 v13, 0xffffff81, v22
	v_lshrrev_b32_e32 v19, 23, v12
	s_mov_b32 s13, exec_lo
	s_delay_alu instid0(VALU_DEP_2) | instskip(NEXT) | instid1(VALU_DEP_1)
	v_cndmask_b32_e64 v13, v13, 0xffffff82, vcc_lo
	v_add3_u32 v22, v23, v13, v19
	v_and_b32_e32 v13, 0x1fffff, v18
                                        ; implicit-def: $vgpr18
	s_delay_alu instid0(VALU_DEP_1) | instskip(SKIP_1) | instid1(VALU_DEP_2)
	v_dual_add_nc_u32 v19, 14, v22 :: v_dual_add_nc_u32 v12, v13, v12
	v_mov_b32_e32 v13, v21
	v_cmpx_ne_u32_e32 0, v19
	s_xor_b32 s13, exec_lo, s13
; %bb.6273:                             ;   in Loop: Header=BB6_5167 Depth=3
	s_delay_alu instid0(VALU_DEP_2) | instskip(SKIP_1) | instid1(VALU_DEP_1)
	v_cmp_lt_u64_e32 vcc_lo, 0xffffff, v[12:13]
	v_add_nc_u32_e32 v18, 15, v22
	v_cndmask_b32_e32 v18, v19, v18, vcc_lo
	v_cndmask_b32_e64 v19, 0, 1, vcc_lo
	s_delay_alu instid0(VALU_DEP_1)
	v_lshrrev_b64 v[12:13], v19, v[12:13]
; %bb.6274:                             ;   in Loop: Header=BB6_5167 Depth=3
	s_and_not1_saveexec_b32 s13, s13
; %bb.6275:                             ;   in Loop: Header=BB6_5167 Depth=3
	s_delay_alu instid0(VALU_DEP_1)
	v_bfe_u32 v18, v12, 23, 1
; %bb.6276:                             ;   in Loop: Header=BB6_5167 Depth=3
	s_or_b32 exec_lo, exec_lo, s13
	s_delay_alu instid0(VALU_DEP_2) | instskip(NEXT) | instid1(VALU_DEP_2)
	v_lshrrev_b64 v[12:13], 21, v[12:13]
	v_cmp_gt_i32_e32 vcc_lo, 32, v18
	v_min_i32_e32 v19, 31, v18
	v_cmp_eq_u32_e64 s13, 0, v18
	s_delay_alu instid0(VALU_DEP_2) | instskip(SKIP_1) | instid1(VALU_DEP_2)
	v_dual_cndmask_b32 v13, 0, v13, vcc_lo :: v_dual_lshlrev_b32 v19, 2, v19
	v_cndmask_b32_e32 v12, 3, v12, vcc_lo
	v_and_b32_e32 v19, 0xfc, v19
	s_delay_alu instid0(VALU_DEP_2) | instskip(NEXT) | instid1(VALU_DEP_2)
	v_cmp_eq_u64_e32 vcc_lo, 0, v[12:13]
	v_and_or_b32 v12, v12, 3, v19
	s_and_b32 s13, s13, vcc_lo
	s_delay_alu instid0(VALU_DEP_1) | instid1(SALU_CYCLE_1)
	v_cndmask_b32_e64 v12, v12, 0, s13
	s_delay_alu instid0(VALU_DEP_1)
	v_or_b32_e32 v81, v12, v20
.LBB6_6277:                             ;   in Loop: Header=BB6_5167 Depth=3
	s_or_b32 exec_lo, exec_lo, s72
                                        ; implicit-def: $vgpr20
.LBB6_6278:                             ;   in Loop: Header=BB6_5167 Depth=3
	s_and_not1_saveexec_b32 s13, s43
; %bb.6279:                             ;   in Loop: Header=BB6_5167 Depth=3
	v_or_b32_e32 v81, 0x7b, v20
; %bb.6280:                             ;   in Loop: Header=BB6_5167 Depth=3
	s_or_b32 exec_lo, exec_lo, s13
                                        ; implicit-def: $vgpr18
                                        ; implicit-def: $vgpr12_vgpr13
                                        ; implicit-def: $vgpr19
.LBB6_6281:                             ;   in Loop: Header=BB6_5167 Depth=3
	s_and_not1_saveexec_b32 s13, s42
	s_cbranch_execz .LBB6_6287
; %bb.6282:                             ;   in Loop: Header=BB6_5167 Depth=3
	s_mov_b32 s42, exec_lo
                                        ; implicit-def: $vgpr81
	v_cmpx_ne_u64_e32 0, v[12:13]
	s_xor_b32 s42, exec_lo, s42
; %bb.6283:                             ;   in Loop: Header=BB6_5167 Depth=3
	v_or_b32_e32 v81, 0x7f, v19
                                        ; implicit-def: $vgpr18
; %bb.6284:                             ;   in Loop: Header=BB6_5167 Depth=3
	s_and_not1_saveexec_b32 s42, s42
; %bb.6285:                             ;   in Loop: Header=BB6_5167 Depth=3
	v_cmp_lt_i32_e32 vcc_lo, -1, v18
	v_mov_b32_e32 v12, 0x7c
	s_delay_alu instid0(VALU_DEP_1)
	v_cndmask_b32_e32 v81, 0xfc, v12, vcc_lo
; %bb.6286:                             ;   in Loop: Header=BB6_5167 Depth=3
	s_or_b32 exec_lo, exec_lo, s42
.LBB6_6287:                             ;   in Loop: Header=BB6_5167 Depth=3
	s_delay_alu instid0(SALU_CYCLE_1) | instskip(SKIP_4) | instid1(VALU_DEP_3)
	s_or_b32 exec_lo, exec_lo, s13
	v_and_b32_e32 v20, 0xff, v35
	v_dual_mov_b32 v12, v35 :: v_dual_mov_b32 v13, v21
	v_dual_mov_b32 v19, 0 :: v_dual_mov_b32 v18, 0
	s_mov_b32 s42, exec_lo
	v_cmpx_ne_u16_e32 0, v20
	s_cbranch_execz .LBB6_6297
; %bb.6288:                             ;   in Loop: Header=BB6_5167 Depth=3
	v_bfrev_b32_e32 v18, 1
	s_mov_b32 s43, exec_lo
	v_cmpx_ne_u16_e32 0x80, v20
	s_cbranch_execz .LBB6_6296
; %bb.6289:                             ;   in Loop: Header=BB6_5167 Depth=3
	v_and_b32_e32 v18, 0x7c, v35
	v_and_b32_e32 v20, 3, v35
	s_delay_alu instid0(VALU_DEP_2) | instskip(SKIP_1) | instid1(SALU_CYCLE_1)
	v_cmp_ne_u32_e32 vcc_lo, 0x7c, v18
                                        ; implicit-def: $vgpr18
	s_and_saveexec_b32 s13, vcc_lo
	s_xor_b32 s13, exec_lo, s13
	s_cbranch_execz .LBB6_6293
; %bb.6290:                             ;   in Loop: Header=BB6_5167 Depth=3
	v_bfe_u32 v18, v35, 2, 5
	s_mov_b32 s72, exec_lo
	s_delay_alu instid0(VALU_DEP_1)
	v_cmpx_eq_u32_e32 0, v18
; %bb.6291:                             ;   in Loop: Header=BB6_5167 Depth=3
	v_clz_i32_u32_e32 v18, v20
	s_delay_alu instid0(VALU_DEP_1) | instskip(NEXT) | instid1(VALU_DEP_1)
	v_min_u32_e32 v18, 32, v18
	v_subrev_nc_u32_e32 v20, 29, v18
	v_sub_nc_u32_e32 v18, 30, v18
	s_delay_alu instid0(VALU_DEP_2) | instskip(NEXT) | instid1(VALU_DEP_1)
	v_lshlrev_b64_e32 v[22:23], v20, v[12:13]
	v_and_b32_e32 v20, 3, v22
; %bb.6292:                             ;   in Loop: Header=BB6_5167 Depth=3
	s_or_b32 exec_lo, exec_lo, s72
	v_lshlrev_b32_e32 v13, 24, v35
	s_delay_alu instid0(VALU_DEP_1) | instskip(NEXT) | instid1(VALU_DEP_1)
	v_and_b32_e32 v13, 0x80000000, v13
	v_lshl_add_u32 v13, v18, 23, v13
	s_delay_alu instid0(VALU_DEP_1) | instskip(NEXT) | instid1(VALU_DEP_1)
	v_lshl_or_b32 v13, v20, 21, v13
                                        ; implicit-def: $vgpr20
	v_add_nc_u32_e32 v18, 0x38000000, v13
.LBB6_6293:                             ;   in Loop: Header=BB6_5167 Depth=3
	s_and_not1_saveexec_b32 s72, s13
; %bb.6294:                             ;   in Loop: Header=BB6_5167 Depth=3
	v_bfe_i32 v13, v35, 0, 8
	v_cmp_eq_u32_e32 vcc_lo, 0, v20
	s_delay_alu instid0(VALU_DEP_2) | instskip(SKIP_1) | instid1(VALU_DEP_1)
	v_cmp_lt_i16_e64 s13, -1, v13
	v_mov_b32_e32 v13, 0x7f800000
	v_cndmask_b32_e64 v13, 0xff800000, v13, s13
	s_delay_alu instid0(VALU_DEP_1)
	v_cndmask_b32_e32 v18, 0x7f800001, v13, vcc_lo
; %bb.6295:                             ;   in Loop: Header=BB6_5167 Depth=3
	s_or_b32 exec_lo, exec_lo, s72
.LBB6_6296:                             ;   in Loop: Header=BB6_5167 Depth=3
	s_delay_alu instid0(SALU_CYCLE_1)
	s_or_b32 exec_lo, exec_lo, s43
.LBB6_6297:                             ;   in Loop: Header=BB6_5167 Depth=3
	s_delay_alu instid0(SALU_CYCLE_1) | instskip(SKIP_2) | instid1(VALU_DEP_1)
	s_or_b32 exec_lo, exec_lo, s42
	v_and_b32_e32 v13, 0xff, v27
	s_mov_b32 s42, exec_lo
	v_cmpx_ne_u16_e32 0, v13
	s_cbranch_execz .LBB6_6307
; %bb.6298:                             ;   in Loop: Header=BB6_5167 Depth=3
	v_bfrev_b32_e32 v19, 1
	s_mov_b32 s43, exec_lo
	v_cmpx_ne_u16_e32 0x80, v13
	s_cbranch_execz .LBB6_6306
; %bb.6299:                             ;   in Loop: Header=BB6_5167 Depth=3
	v_and_b32_e32 v19, 0x7c, v27
	v_and_b32_e32 v13, 3, v27
	s_delay_alu instid0(VALU_DEP_2) | instskip(SKIP_1) | instid1(SALU_CYCLE_1)
	v_cmp_ne_u32_e32 vcc_lo, 0x7c, v19
                                        ; implicit-def: $vgpr19
	s_and_saveexec_b32 s13, vcc_lo
	s_xor_b32 s13, exec_lo, s13
	s_cbranch_execz .LBB6_6303
; %bb.6300:                             ;   in Loop: Header=BB6_5167 Depth=3
	v_bfe_u32 v19, v27, 2, 5
	s_mov_b32 s72, exec_lo
	s_delay_alu instid0(VALU_DEP_1)
	v_cmpx_eq_u32_e32 0, v19
; %bb.6301:                             ;   in Loop: Header=BB6_5167 Depth=3
	v_clz_i32_u32_e32 v13, v13
	v_dual_mov_b32 v22, v27 :: v_dual_mov_b32 v23, v21
	s_delay_alu instid0(VALU_DEP_2) | instskip(NEXT) | instid1(VALU_DEP_1)
	v_min_u32_e32 v13, 32, v13
	v_subrev_nc_u32_e32 v19, 29, v13
	s_delay_alu instid0(VALU_DEP_1) | instskip(NEXT) | instid1(VALU_DEP_1)
	v_lshlrev_b64_e32 v[22:23], v19, v[22:23]
	v_dual_sub_nc_u32 v19, 30, v13 :: v_dual_bitop2_b32 v13, 3, v22 bitop3:0x40
; %bb.6302:                             ;   in Loop: Header=BB6_5167 Depth=3
	s_or_b32 exec_lo, exec_lo, s72
	v_lshlrev_b32_e32 v20, 24, v27
	s_delay_alu instid0(VALU_DEP_1) | instskip(NEXT) | instid1(VALU_DEP_1)
	v_and_b32_e32 v20, 0x80000000, v20
	v_lshl_add_u32 v19, v19, 23, v20
	s_delay_alu instid0(VALU_DEP_1) | instskip(NEXT) | instid1(VALU_DEP_1)
	v_lshl_or_b32 v13, v13, 21, v19
	v_add_nc_u32_e32 v19, 0x38000000, v13
                                        ; implicit-def: $vgpr13
.LBB6_6303:                             ;   in Loop: Header=BB6_5167 Depth=3
	s_and_not1_saveexec_b32 s72, s13
; %bb.6304:                             ;   in Loop: Header=BB6_5167 Depth=3
	v_bfe_i32 v19, v27, 0, 8
	v_cmp_eq_u32_e32 vcc_lo, 0, v13
	v_mov_b32_e32 v13, 0x7f800000
	s_delay_alu instid0(VALU_DEP_3) | instskip(NEXT) | instid1(VALU_DEP_1)
	v_cmp_lt_i16_e64 s13, -1, v19
	v_cndmask_b32_e64 v13, 0xff800000, v13, s13
	s_delay_alu instid0(VALU_DEP_1)
	v_cndmask_b32_e32 v19, 0x7f800001, v13, vcc_lo
; %bb.6305:                             ;   in Loop: Header=BB6_5167 Depth=3
	s_or_b32 exec_lo, exec_lo, s72
.LBB6_6306:                             ;   in Loop: Header=BB6_5167 Depth=3
	s_delay_alu instid0(SALU_CYCLE_1)
	s_or_b32 exec_lo, exec_lo, s43
.LBB6_6307:                             ;   in Loop: Header=BB6_5167 Depth=3
	s_delay_alu instid0(SALU_CYCLE_1) | instskip(NEXT) | instid1(VALU_DEP_1)
	s_or_b32 exec_lo, exec_lo, s42
	v_dual_mul_f32 v20, v18, v19 :: v_dual_mov_b32 v23, v21
	v_mov_b32_e32 v19, v21
                                        ; implicit-def: $vgpr82
	s_mov_b32 s13, exec_lo
	s_delay_alu instid0(VALU_DEP_2) | instskip(SKIP_2) | instid1(VALU_DEP_3)
	v_and_b32_e32 v22, 0x7f800000, v20
	v_and_b32_e32 v18, 0x7fffff, v20
	v_lshrrev_b32_e32 v13, 24, v20
	v_cmpx_ne_u64_e32 0x7f800000, v[22:23]
	s_xor_b32 s42, exec_lo, s13
	s_cbranch_execz .LBB6_6321
; %bb.6308:                             ;   in Loop: Header=BB6_5167 Depth=3
	v_and_b32_e32 v22, 0x7fffffff, v20
	v_mov_b32_e32 v23, v21
	v_and_b32_e32 v13, 0x80, v13
                                        ; implicit-def: $vgpr82
	s_mov_b32 s13, exec_lo
	s_delay_alu instid0(VALU_DEP_2)
	v_cmpx_gt_u64_e32 0x47600001, v[22:23]
	s_xor_b32 s43, exec_lo, s13
	s_cbranch_execz .LBB6_6318
; %bb.6309:                             ;   in Loop: Header=BB6_5167 Depth=3
	v_mov_b32_e32 v82, 0
	s_mov_b32 s72, exec_lo
	v_cmpx_ne_u32_e32 0, v20
	s_cbranch_execz .LBB6_6317
; %bb.6310:                             ;   in Loop: Header=BB6_5167 Depth=3
	v_bfe_u32 v20, v20, 23, 8
	v_or_b32_e32 v23, 0x800000, v18
	s_delay_alu instid0(VALU_DEP_2) | instskip(SKIP_2) | instid1(VALU_DEP_2)
	v_cmp_gt_u32_e64 s13, 0x72, v20
	v_sub_nc_u32_e32 v22, 0x71, v20
	v_cmp_eq_u32_e32 vcc_lo, 0, v20
	v_cndmask_b32_e64 v22, 0, v22, s13
	v_cndmask_b32_e32 v18, v23, v18, vcc_lo
	s_delay_alu instid0(VALU_DEP_2) | instskip(NEXT) | instid1(VALU_DEP_1)
	v_cndmask_b32_e64 v82, v22, 0x70, vcc_lo
	v_dual_add_nc_u32 v22, 21, v82 :: v_dual_add_nc_u32 v83, 20, v82
	s_delay_alu instid0(VALU_DEP_1) | instskip(NEXT) | instid1(VALU_DEP_2)
	v_lshlrev_b64_e64 v[22:23], v22, -1
	v_lshlrev_b64_e64 v[84:85], v83, 1
	s_delay_alu instid0(VALU_DEP_2) | instskip(SKIP_1) | instid1(VALU_DEP_4)
	v_bfi_b32 v22, v22, 0, v18
	v_lshrrev_b64 v[18:19], v82, v[18:19]
	v_bfi_b32 v23, v23, 0, 0
	s_delay_alu instid0(VALU_DEP_1) | instskip(NEXT) | instid1(VALU_DEP_3)
	v_cmp_eq_u64_e64 s13, v[22:23], v[84:85]
	v_mov_b64_e32 v[22:23], v[18:19]
	s_and_saveexec_b32 s73, s13
; %bb.6311:                             ;   in Loop: Header=BB6_5167 Depth=3
	v_bfe_u32 v22, v18, 21, 1
	v_mov_b32_e32 v23, v21
	s_delay_alu instid0(VALU_DEP_1) | instskip(NEXT) | instid1(VALU_DEP_1)
	v_add_nc_u64_e32 v[22:23], v[18:19], v[22:23]
	v_add_nc_u64_e32 v[22:23], -1, v[22:23]
; %bb.6312:                             ;   in Loop: Header=BB6_5167 Depth=3
	s_or_b32 exec_lo, exec_lo, s73
	v_add_nc_u32_e32 v19, 0xffffff81, v20
	v_lshrrev_b32_e32 v20, 23, v18
	s_mov_b32 s13, exec_lo
	s_delay_alu instid0(VALU_DEP_2) | instskip(NEXT) | instid1(VALU_DEP_1)
	v_cndmask_b32_e64 v19, v19, 0xffffff82, vcc_lo
	v_add3_u32 v23, v82, v19, v20
	v_and_b32_e32 v19, 0x1fffff, v22
                                        ; implicit-def: $vgpr20
	s_delay_alu instid0(VALU_DEP_1) | instskip(SKIP_1) | instid1(VALU_DEP_2)
	v_dual_add_nc_u32 v22, 14, v23 :: v_dual_add_nc_u32 v18, v19, v18
	v_mov_b32_e32 v19, v21
	v_cmpx_ne_u32_e32 0, v22
	s_xor_b32 s13, exec_lo, s13
; %bb.6313:                             ;   in Loop: Header=BB6_5167 Depth=3
	s_delay_alu instid0(VALU_DEP_2) | instskip(SKIP_1) | instid1(VALU_DEP_1)
	v_cmp_lt_u64_e32 vcc_lo, 0xffffff, v[18:19]
	v_add_nc_u32_e32 v20, 15, v23
	v_cndmask_b32_e32 v20, v22, v20, vcc_lo
	v_cndmask_b32_e64 v22, 0, 1, vcc_lo
	s_delay_alu instid0(VALU_DEP_1)
	v_lshrrev_b64 v[18:19], v22, v[18:19]
; %bb.6314:                             ;   in Loop: Header=BB6_5167 Depth=3
	s_and_not1_saveexec_b32 s13, s13
; %bb.6315:                             ;   in Loop: Header=BB6_5167 Depth=3
	s_delay_alu instid0(VALU_DEP_1)
	v_bfe_u32 v20, v18, 23, 1
; %bb.6316:                             ;   in Loop: Header=BB6_5167 Depth=3
	s_or_b32 exec_lo, exec_lo, s13
	s_delay_alu instid0(VALU_DEP_2) | instskip(NEXT) | instid1(VALU_DEP_2)
	v_lshrrev_b64 v[18:19], 21, v[18:19]
	v_cmp_gt_i32_e32 vcc_lo, 32, v20
	v_min_i32_e32 v22, 31, v20
	v_cmp_eq_u32_e64 s13, 0, v20
	s_delay_alu instid0(VALU_DEP_2) | instskip(SKIP_1) | instid1(VALU_DEP_2)
	v_dual_cndmask_b32 v19, 0, v19 :: v_dual_lshlrev_b32 v22, 2, v22
	v_cndmask_b32_e32 v18, 3, v18, vcc_lo
	v_and_b32_e32 v22, 0xfc, v22
	s_delay_alu instid0(VALU_DEP_2) | instskip(NEXT) | instid1(VALU_DEP_2)
	v_cmp_eq_u64_e32 vcc_lo, 0, v[18:19]
	v_and_or_b32 v18, v18, 3, v22
	s_and_b32 s13, s13, vcc_lo
	s_delay_alu instid0(VALU_DEP_1) | instid1(SALU_CYCLE_1)
	v_cndmask_b32_e64 v18, v18, 0, s13
	s_delay_alu instid0(VALU_DEP_1)
	v_or_b32_e32 v82, v18, v13
.LBB6_6317:                             ;   in Loop: Header=BB6_5167 Depth=3
	s_or_b32 exec_lo, exec_lo, s72
                                        ; implicit-def: $vgpr13
.LBB6_6318:                             ;   in Loop: Header=BB6_5167 Depth=3
	s_and_not1_saveexec_b32 s13, s43
; %bb.6319:                             ;   in Loop: Header=BB6_5167 Depth=3
	v_or_b32_e32 v82, 0x7b, v13
; %bb.6320:                             ;   in Loop: Header=BB6_5167 Depth=3
	s_or_b32 exec_lo, exec_lo, s13
                                        ; implicit-def: $vgpr20
                                        ; implicit-def: $vgpr18_vgpr19
                                        ; implicit-def: $vgpr13
.LBB6_6321:                             ;   in Loop: Header=BB6_5167 Depth=3
	s_and_not1_saveexec_b32 s13, s42
	s_cbranch_execz .LBB6_6327
; %bb.6322:                             ;   in Loop: Header=BB6_5167 Depth=3
	s_mov_b32 s42, exec_lo
                                        ; implicit-def: $vgpr82
	v_cmpx_ne_u64_e32 0, v[18:19]
	s_xor_b32 s42, exec_lo, s42
; %bb.6323:                             ;   in Loop: Header=BB6_5167 Depth=3
	v_or_b32_e32 v82, 0x7f, v13
                                        ; implicit-def: $vgpr20
; %bb.6324:                             ;   in Loop: Header=BB6_5167 Depth=3
	s_and_not1_saveexec_b32 s42, s42
; %bb.6325:                             ;   in Loop: Header=BB6_5167 Depth=3
	v_cmp_lt_i32_e32 vcc_lo, -1, v20
	v_mov_b32_e32 v13, 0x7c
	s_delay_alu instid0(VALU_DEP_1)
	v_cndmask_b32_e32 v82, 0xfc, v13, vcc_lo
; %bb.6326:                             ;   in Loop: Header=BB6_5167 Depth=3
	s_or_b32 exec_lo, exec_lo, s42
.LBB6_6327:                             ;   in Loop: Header=BB6_5167 Depth=3
	s_delay_alu instid0(SALU_CYCLE_1) | instskip(SKIP_3) | instid1(VALU_DEP_2)
	s_or_b32 exec_lo, exec_lo, s13
	v_lshrrev_b16 v18, 8, v12
	v_dual_mov_b32 v20, 0 :: v_dual_mov_b32 v19, 0
	s_mov_b32 s42, exec_lo
	v_cmpx_ne_u16_e32 0, v18
	s_cbranch_execz .LBB6_6337
; %bb.6328:                             ;   in Loop: Header=BB6_5167 Depth=3
	v_bfrev_b32_e32 v19, 1
	s_mov_b32 s43, exec_lo
	v_cmpx_ne_u16_e32 0x80, v18
	s_cbranch_execz .LBB6_6336
; %bb.6329:                             ;   in Loop: Header=BB6_5167 Depth=3
	v_and_b32_e32 v13, 0xffff, v18
	s_delay_alu instid0(VALU_DEP_1) | instskip(SKIP_1) | instid1(VALU_DEP_2)
	v_and_b32_e32 v19, 0x7c, v13
	v_and_b32_e32 v22, 3, v13
	v_cmp_ne_u32_e32 vcc_lo, 0x7c, v19
                                        ; implicit-def: $vgpr19
	s_and_saveexec_b32 s13, vcc_lo
	s_delay_alu instid0(SALU_CYCLE_1)
	s_xor_b32 s13, exec_lo, s13
	s_cbranch_execz .LBB6_6333
; %bb.6330:                             ;   in Loop: Header=BB6_5167 Depth=3
	v_bfe_u32 v13, v13, 2, 5
	s_mov_b32 s72, exec_lo
	s_delay_alu instid0(VALU_DEP_1)
	v_cmpx_eq_u32_e32 0, v13
	s_cbranch_execz .LBB6_6332
; %bb.6331:                             ;   in Loop: Header=BB6_5167 Depth=3
	v_clz_i32_u32_e32 v13, v22
	s_delay_alu instid0(VALU_DEP_1) | instskip(SKIP_1) | instid1(VALU_DEP_2)
	v_min_u32_e32 v13, 32, v13
	v_mov_b32_e32 v19, v21
	v_subrev_nc_u32_e32 v22, 29, v13
	v_sub_nc_u32_e32 v13, 30, v13
	s_delay_alu instid0(VALU_DEP_2) | instskip(NEXT) | instid1(VALU_DEP_1)
	v_lshlrev_b64_e32 v[18:19], v22, v[18:19]
	v_and_b32_e32 v22, 3, v18
.LBB6_6332:                             ;   in Loop: Header=BB6_5167 Depth=3
	s_or_b32 exec_lo, exec_lo, s72
	v_lshlrev_b32_e32 v12, 16, v12
	s_delay_alu instid0(VALU_DEP_1) | instskip(NEXT) | instid1(VALU_DEP_1)
	v_and_b32_e32 v12, 0x80000000, v12
	v_lshl_add_u32 v12, v13, 23, v12
	s_delay_alu instid0(VALU_DEP_1) | instskip(NEXT) | instid1(VALU_DEP_1)
	v_lshl_or_b32 v12, v22, 21, v12
                                        ; implicit-def: $vgpr22
	v_add_nc_u32_e32 v19, 0x38000000, v12
                                        ; implicit-def: $vgpr12_vgpr13
.LBB6_6333:                             ;   in Loop: Header=BB6_5167 Depth=3
	s_and_not1_saveexec_b32 s72, s13
; %bb.6334:                             ;   in Loop: Header=BB6_5167 Depth=3
	v_cmp_lt_i16_e64 s13, -1, v12
	v_mov_b32_e32 v12, 0x7f800000
	v_cmp_eq_u32_e32 vcc_lo, 0, v22
	s_delay_alu instid0(VALU_DEP_2) | instskip(NEXT) | instid1(VALU_DEP_1)
	v_cndmask_b32_e64 v12, 0xff800000, v12, s13
	v_cndmask_b32_e32 v19, 0x7f800001, v12, vcc_lo
; %bb.6335:                             ;   in Loop: Header=BB6_5167 Depth=3
	s_or_b32 exec_lo, exec_lo, s72
.LBB6_6336:                             ;   in Loop: Header=BB6_5167 Depth=3
	s_delay_alu instid0(SALU_CYCLE_1)
	s_or_b32 exec_lo, exec_lo, s43
.LBB6_6337:                             ;   in Loop: Header=BB6_5167 Depth=3
	s_delay_alu instid0(SALU_CYCLE_1) | instskip(SKIP_2) | instid1(VALU_DEP_1)
	s_or_b32 exec_lo, exec_lo, s42
	v_lshrrev_b16 v12, 8, v27
	s_mov_b32 s42, exec_lo
	v_cmpx_ne_u16_e32 0, v12
	s_cbranch_execz .LBB6_6347
; %bb.6338:                             ;   in Loop: Header=BB6_5167 Depth=3
	v_bfrev_b32_e32 v20, 1
	s_mov_b32 s43, exec_lo
	v_cmpx_ne_u16_e32 0x80, v12
	s_cbranch_execz .LBB6_6346
; %bb.6339:                             ;   in Loop: Header=BB6_5167 Depth=3
	v_and_b32_e32 v18, 0xffff, v12
	s_delay_alu instid0(VALU_DEP_1) | instskip(SKIP_1) | instid1(VALU_DEP_2)
	v_and_b32_e32 v20, 0x7c, v18
	v_and_b32_e32 v13, 3, v18
	v_cmp_ne_u32_e32 vcc_lo, 0x7c, v20
                                        ; implicit-def: $vgpr20
	s_and_saveexec_b32 s13, vcc_lo
	s_delay_alu instid0(SALU_CYCLE_1)
	s_xor_b32 s13, exec_lo, s13
	s_cbranch_execz .LBB6_6343
; %bb.6340:                             ;   in Loop: Header=BB6_5167 Depth=3
	v_bfe_u32 v18, v18, 2, 5
	s_mov_b32 s72, exec_lo
	s_delay_alu instid0(VALU_DEP_1)
	v_cmpx_eq_u32_e32 0, v18
	s_cbranch_execz .LBB6_6342
; %bb.6341:                             ;   in Loop: Header=BB6_5167 Depth=3
	v_clz_i32_u32_e32 v13, v13
	s_delay_alu instid0(VALU_DEP_1) | instskip(SKIP_1) | instid1(VALU_DEP_2)
	v_min_u32_e32 v18, 32, v13
	v_mov_b32_e32 v13, v21
	v_subrev_nc_u32_e32 v20, 29, v18
	v_sub_nc_u32_e32 v18, 30, v18
	s_delay_alu instid0(VALU_DEP_2) | instskip(NEXT) | instid1(VALU_DEP_1)
	v_lshlrev_b64_e32 v[12:13], v20, v[12:13]
	v_and_b32_e32 v13, 3, v12
.LBB6_6342:                             ;   in Loop: Header=BB6_5167 Depth=3
	s_or_b32 exec_lo, exec_lo, s72
	v_lshlrev_b32_e32 v12, 16, v27
	s_delay_alu instid0(VALU_DEP_1) | instskip(NEXT) | instid1(VALU_DEP_1)
	v_and_b32_e32 v12, 0x80000000, v12
	v_lshl_add_u32 v12, v18, 23, v12
	s_delay_alu instid0(VALU_DEP_1) | instskip(NEXT) | instid1(VALU_DEP_1)
	v_lshl_or_b32 v12, v13, 21, v12
                                        ; implicit-def: $vgpr13
	v_add_nc_u32_e32 v20, 0x38000000, v12
.LBB6_6343:                             ;   in Loop: Header=BB6_5167 Depth=3
	s_and_not1_saveexec_b32 s72, s13
; %bb.6344:                             ;   in Loop: Header=BB6_5167 Depth=3
	v_cmp_lt_i16_e64 s13, -1, v27
	v_mov_b32_e32 v12, 0x7f800000
	v_cmp_eq_u32_e32 vcc_lo, 0, v13
	s_delay_alu instid0(VALU_DEP_2) | instskip(NEXT) | instid1(VALU_DEP_1)
	v_cndmask_b32_e64 v12, 0xff800000, v12, s13
	v_cndmask_b32_e32 v20, 0x7f800001, v12, vcc_lo
; %bb.6345:                             ;   in Loop: Header=BB6_5167 Depth=3
	s_or_b32 exec_lo, exec_lo, s72
.LBB6_6346:                             ;   in Loop: Header=BB6_5167 Depth=3
	s_delay_alu instid0(SALU_CYCLE_1)
	s_or_b32 exec_lo, exec_lo, s43
.LBB6_6347:                             ;   in Loop: Header=BB6_5167 Depth=3
	s_delay_alu instid0(SALU_CYCLE_1) | instskip(NEXT) | instid1(VALU_DEP_1)
	s_or_b32 exec_lo, exec_lo, s42
	v_dual_mul_f32 v18, v19, v20 :: v_dual_mov_b32 v23, v21
	v_mov_b32_e32 v13, v21
                                        ; implicit-def: $vgpr83
	s_mov_b32 s13, exec_lo
	s_delay_alu instid0(VALU_DEP_2) | instskip(SKIP_2) | instid1(VALU_DEP_3)
	v_and_b32_e32 v22, 0x7f800000, v18
	v_and_b32_e32 v12, 0x7fffff, v18
	v_lshrrev_b32_e32 v19, 24, v18
	v_cmpx_ne_u64_e32 0x7f800000, v[22:23]
	s_xor_b32 s42, exec_lo, s13
	s_cbranch_execz .LBB6_6361
; %bb.6348:                             ;   in Loop: Header=BB6_5167 Depth=3
	v_and_b32_e32 v22, 0x7fffffff, v18
	v_mov_b32_e32 v23, v21
	v_and_b32_e32 v20, 0x80, v19
                                        ; implicit-def: $vgpr83
	s_mov_b32 s13, exec_lo
	s_delay_alu instid0(VALU_DEP_2)
	v_cmpx_gt_u64_e32 0x47600001, v[22:23]
	s_xor_b32 s43, exec_lo, s13
	s_cbranch_execz .LBB6_6358
; %bb.6349:                             ;   in Loop: Header=BB6_5167 Depth=3
	v_mov_b32_e32 v83, 0
	s_mov_b32 s72, exec_lo
	v_cmpx_ne_u32_e32 0, v18
	s_cbranch_execz .LBB6_6357
; %bb.6350:                             ;   in Loop: Header=BB6_5167 Depth=3
	v_bfe_u32 v22, v18, 23, 8
	v_or_b32_e32 v19, 0x800000, v12
	s_delay_alu instid0(VALU_DEP_2) | instskip(SKIP_2) | instid1(VALU_DEP_2)
	v_cmp_gt_u32_e64 s13, 0x72, v22
	v_sub_nc_u32_e32 v18, 0x71, v22
	v_cmp_eq_u32_e32 vcc_lo, 0, v22
	v_dual_cndmask_b32 v18, 0, v18, s13 :: v_dual_cndmask_b32 v12, v19, v12, vcc_lo
	s_delay_alu instid0(VALU_DEP_1) | instskip(NEXT) | instid1(VALU_DEP_1)
	v_cndmask_b32_e64 v23, v18, 0x70, vcc_lo
	v_dual_add_nc_u32 v18, 21, v23 :: v_dual_add_nc_u32 v83, 20, v23
	s_delay_alu instid0(VALU_DEP_1) | instskip(NEXT) | instid1(VALU_DEP_2)
	v_lshlrev_b64_e64 v[18:19], v18, -1
	v_lshlrev_b64_e64 v[84:85], v83, 1
	s_delay_alu instid0(VALU_DEP_2) | instskip(SKIP_1) | instid1(VALU_DEP_4)
	v_bfi_b32 v18, v18, 0, v12
	v_lshrrev_b64 v[12:13], v23, v[12:13]
	v_bfi_b32 v19, v19, 0, 0
	s_delay_alu instid0(VALU_DEP_1) | instskip(NEXT) | instid1(VALU_DEP_3)
	v_cmp_eq_u64_e64 s13, v[18:19], v[84:85]
	v_mov_b64_e32 v[18:19], v[12:13]
	s_and_saveexec_b32 s73, s13
; %bb.6351:                             ;   in Loop: Header=BB6_5167 Depth=3
	v_bfe_u32 v18, v12, 21, 1
	v_mov_b32_e32 v19, v21
	s_delay_alu instid0(VALU_DEP_1) | instskip(NEXT) | instid1(VALU_DEP_1)
	v_add_nc_u64_e32 v[18:19], v[12:13], v[18:19]
	v_add_nc_u64_e32 v[18:19], -1, v[18:19]
; %bb.6352:                             ;   in Loop: Header=BB6_5167 Depth=3
	s_or_b32 exec_lo, exec_lo, s73
	v_add_nc_u32_e32 v13, 0xffffff81, v22
	v_lshrrev_b32_e32 v19, 23, v12
	s_mov_b32 s13, exec_lo
	s_delay_alu instid0(VALU_DEP_2) | instskip(NEXT) | instid1(VALU_DEP_1)
	v_cndmask_b32_e64 v13, v13, 0xffffff82, vcc_lo
	v_add3_u32 v22, v23, v13, v19
	v_and_b32_e32 v13, 0x1fffff, v18
                                        ; implicit-def: $vgpr18
	s_delay_alu instid0(VALU_DEP_1) | instskip(SKIP_1) | instid1(VALU_DEP_2)
	v_dual_add_nc_u32 v19, 14, v22 :: v_dual_add_nc_u32 v12, v13, v12
	v_mov_b32_e32 v13, v21
	v_cmpx_ne_u32_e32 0, v19
	s_xor_b32 s13, exec_lo, s13
; %bb.6353:                             ;   in Loop: Header=BB6_5167 Depth=3
	s_delay_alu instid0(VALU_DEP_2) | instskip(SKIP_1) | instid1(VALU_DEP_1)
	v_cmp_lt_u64_e32 vcc_lo, 0xffffff, v[12:13]
	v_add_nc_u32_e32 v18, 15, v22
	v_cndmask_b32_e32 v18, v19, v18, vcc_lo
	v_cndmask_b32_e64 v19, 0, 1, vcc_lo
	s_delay_alu instid0(VALU_DEP_1)
	v_lshrrev_b64 v[12:13], v19, v[12:13]
; %bb.6354:                             ;   in Loop: Header=BB6_5167 Depth=3
	s_and_not1_saveexec_b32 s13, s13
; %bb.6355:                             ;   in Loop: Header=BB6_5167 Depth=3
	s_delay_alu instid0(VALU_DEP_1)
	v_bfe_u32 v18, v12, 23, 1
; %bb.6356:                             ;   in Loop: Header=BB6_5167 Depth=3
	s_or_b32 exec_lo, exec_lo, s13
	s_delay_alu instid0(VALU_DEP_2) | instskip(NEXT) | instid1(VALU_DEP_2)
	v_lshrrev_b64 v[12:13], 21, v[12:13]
	v_cmp_gt_i32_e32 vcc_lo, 32, v18
	v_min_i32_e32 v19, 31, v18
	v_cmp_eq_u32_e64 s13, 0, v18
	s_delay_alu instid0(VALU_DEP_2) | instskip(SKIP_1) | instid1(VALU_DEP_2)
	v_dual_cndmask_b32 v13, 0, v13, vcc_lo :: v_dual_lshlrev_b32 v19, 2, v19
	v_cndmask_b32_e32 v12, 3, v12, vcc_lo
	v_and_b32_e32 v19, 0xfc, v19
	s_delay_alu instid0(VALU_DEP_2) | instskip(NEXT) | instid1(VALU_DEP_2)
	v_cmp_eq_u64_e32 vcc_lo, 0, v[12:13]
	v_and_or_b32 v12, v12, 3, v19
	s_and_b32 s13, s13, vcc_lo
	s_delay_alu instid0(VALU_DEP_1) | instid1(SALU_CYCLE_1)
	v_cndmask_b32_e64 v12, v12, 0, s13
	s_delay_alu instid0(VALU_DEP_1)
	v_or_b32_e32 v83, v12, v20
.LBB6_6357:                             ;   in Loop: Header=BB6_5167 Depth=3
	s_or_b32 exec_lo, exec_lo, s72
                                        ; implicit-def: $vgpr20
.LBB6_6358:                             ;   in Loop: Header=BB6_5167 Depth=3
	s_and_not1_saveexec_b32 s13, s43
; %bb.6359:                             ;   in Loop: Header=BB6_5167 Depth=3
	v_or_b32_e32 v83, 0x7b, v20
; %bb.6360:                             ;   in Loop: Header=BB6_5167 Depth=3
	s_or_b32 exec_lo, exec_lo, s13
                                        ; implicit-def: $vgpr18
                                        ; implicit-def: $vgpr12_vgpr13
                                        ; implicit-def: $vgpr19
.LBB6_6361:                             ;   in Loop: Header=BB6_5167 Depth=3
	s_and_not1_saveexec_b32 s13, s42
	s_cbranch_execz .LBB6_6367
; %bb.6362:                             ;   in Loop: Header=BB6_5167 Depth=3
	s_mov_b32 s42, exec_lo
                                        ; implicit-def: $vgpr83
	v_cmpx_ne_u64_e32 0, v[12:13]
	s_xor_b32 s42, exec_lo, s42
; %bb.6363:                             ;   in Loop: Header=BB6_5167 Depth=3
	v_or_b32_e32 v83, 0x7f, v19
                                        ; implicit-def: $vgpr18
; %bb.6364:                             ;   in Loop: Header=BB6_5167 Depth=3
	s_and_not1_saveexec_b32 s42, s42
; %bb.6365:                             ;   in Loop: Header=BB6_5167 Depth=3
	v_cmp_lt_i32_e32 vcc_lo, -1, v18
	v_mov_b32_e32 v12, 0x7c
	s_delay_alu instid0(VALU_DEP_1)
	v_cndmask_b32_e32 v83, 0xfc, v12, vcc_lo
; %bb.6366:                             ;   in Loop: Header=BB6_5167 Depth=3
	s_or_b32 exec_lo, exec_lo, s42
.LBB6_6367:                             ;   in Loop: Header=BB6_5167 Depth=3
	s_delay_alu instid0(SALU_CYCLE_1) | instskip(SKIP_3) | instid1(VALU_DEP_2)
	s_or_b32 exec_lo, exec_lo, s13
	v_dual_mov_b32 v13, 0 :: v_dual_lshrrev_b32 v12, 16, v35
	v_mov_b32_e32 v18, 0
	s_mov_b32 s42, exec_lo
	v_and_b32_e32 v19, 0xff, v12
	s_delay_alu instid0(VALU_DEP_1)
	v_cmpx_ne_u16_e32 0, v19
	s_cbranch_execz .LBB6_6377
; %bb.6368:                             ;   in Loop: Header=BB6_5167 Depth=3
	v_bfrev_b32_e32 v18, 1
	s_mov_b32 s43, exec_lo
	v_cmpx_ne_u16_e32 0x80, v19
	s_cbranch_execz .LBB6_6376
; %bb.6369:                             ;   in Loop: Header=BB6_5167 Depth=3
	v_and_b32_e32 v18, 0x7c0000, v35
	v_bfe_u32 v19, v35, 16, 2
	s_delay_alu instid0(VALU_DEP_2) | instskip(SKIP_1) | instid1(SALU_CYCLE_1)
	v_cmp_ne_u32_e32 vcc_lo, 0x7c0000, v18
                                        ; implicit-def: $vgpr18
	s_and_saveexec_b32 s13, vcc_lo
	s_xor_b32 s13, exec_lo, s13
	s_cbranch_execz .LBB6_6373
; %bb.6370:                             ;   in Loop: Header=BB6_5167 Depth=3
	v_bfe_u32 v18, v35, 18, 5
	s_mov_b32 s72, exec_lo
	s_delay_alu instid0(VALU_DEP_1)
	v_cmpx_eq_u32_e32 0, v18
; %bb.6371:                             ;   in Loop: Header=BB6_5167 Depth=3
	v_clz_i32_u32_e32 v18, v19
	s_delay_alu instid0(VALU_DEP_1) | instskip(NEXT) | instid1(VALU_DEP_1)
	v_min_u32_e32 v18, 32, v18
	v_subrev_nc_u32_e32 v19, 29, v18
	v_sub_nc_u32_e32 v18, 30, v18
	s_delay_alu instid0(VALU_DEP_2) | instskip(NEXT) | instid1(VALU_DEP_1)
	v_lshlrev_b64_e32 v[22:23], v19, v[12:13]
	v_and_b32_e32 v19, 3, v22
; %bb.6372:                             ;   in Loop: Header=BB6_5167 Depth=3
	s_or_b32 exec_lo, exec_lo, s72
	v_lshlrev_b32_e32 v12, 24, v12
	s_delay_alu instid0(VALU_DEP_1) | instskip(NEXT) | instid1(VALU_DEP_1)
	v_and_b32_e32 v12, 0x80000000, v12
	v_lshl_add_u32 v12, v18, 23, v12
	s_delay_alu instid0(VALU_DEP_1) | instskip(NEXT) | instid1(VALU_DEP_1)
	v_lshl_or_b32 v12, v19, 21, v12
                                        ; implicit-def: $vgpr19
	v_add_nc_u32_e32 v18, 0x38000000, v12
                                        ; implicit-def: $vgpr12
.LBB6_6373:                             ;   in Loop: Header=BB6_5167 Depth=3
	s_and_not1_saveexec_b32 s72, s13
; %bb.6374:                             ;   in Loop: Header=BB6_5167 Depth=3
	v_bfe_i32 v12, v12, 0, 8
	v_cmp_eq_u32_e32 vcc_lo, 0, v19
	s_delay_alu instid0(VALU_DEP_2) | instskip(SKIP_1) | instid1(VALU_DEP_1)
	v_cmp_lt_i16_e64 s13, -1, v12
	v_mov_b32_e32 v12, 0x7f800000
	v_cndmask_b32_e64 v12, 0xff800000, v12, s13
	s_delay_alu instid0(VALU_DEP_1)
	v_cndmask_b32_e32 v18, 0x7f800001, v12, vcc_lo
; %bb.6375:                             ;   in Loop: Header=BB6_5167 Depth=3
	s_or_b32 exec_lo, exec_lo, s72
.LBB6_6376:                             ;   in Loop: Header=BB6_5167 Depth=3
	s_delay_alu instid0(SALU_CYCLE_1)
	s_or_b32 exec_lo, exec_lo, s43
.LBB6_6377:                             ;   in Loop: Header=BB6_5167 Depth=3
	s_delay_alu instid0(SALU_CYCLE_1) | instskip(SKIP_2) | instid1(VALU_DEP_1)
	s_or_b32 exec_lo, exec_lo, s42
	v_lshrrev_b32_e32 v12, 16, v27
	s_mov_b32 s42, exec_lo
	v_and_b32_e32 v19, 0xff, v12
	s_delay_alu instid0(VALU_DEP_1)
	v_cmpx_ne_u16_e32 0, v19
	s_cbranch_execz .LBB6_6387
; %bb.6378:                             ;   in Loop: Header=BB6_5167 Depth=3
	v_bfrev_b32_e32 v13, 1
	s_mov_b32 s43, exec_lo
	v_cmpx_ne_u16_e32 0x80, v19
	s_cbranch_execz .LBB6_6386
; %bb.6379:                             ;   in Loop: Header=BB6_5167 Depth=3
	v_and_b32_e32 v13, 0x7c0000, v27
	v_bfe_u32 v19, v27, 16, 2
	s_delay_alu instid0(VALU_DEP_2) | instskip(SKIP_1) | instid1(SALU_CYCLE_1)
	v_cmp_ne_u32_e32 vcc_lo, 0x7c0000, v13
                                        ; implicit-def: $vgpr13
	s_and_saveexec_b32 s13, vcc_lo
	s_xor_b32 s13, exec_lo, s13
	s_cbranch_execz .LBB6_6383
; %bb.6380:                             ;   in Loop: Header=BB6_5167 Depth=3
	v_bfe_u32 v13, v27, 18, 5
	s_mov_b32 s72, exec_lo
	s_delay_alu instid0(VALU_DEP_1)
	v_cmpx_eq_u32_e32 0, v13
; %bb.6381:                             ;   in Loop: Header=BB6_5167 Depth=3
	v_clz_i32_u32_e32 v13, v19
	s_delay_alu instid0(VALU_DEP_1) | instskip(NEXT) | instid1(VALU_DEP_1)
	v_min_u32_e32 v13, 32, v13
	v_subrev_nc_u32_e32 v19, 29, v13
	s_delay_alu instid0(VALU_DEP_1) | instskip(NEXT) | instid1(VALU_DEP_1)
	v_lshlrev_b64_e32 v[22:23], v19, v[12:13]
	v_dual_sub_nc_u32 v13, 30, v13 :: v_dual_bitop2_b32 v19, 3, v22 bitop3:0x40
; %bb.6382:                             ;   in Loop: Header=BB6_5167 Depth=3
	s_or_b32 exec_lo, exec_lo, s72
	v_lshlrev_b32_e32 v12, 24, v12
	s_delay_alu instid0(VALU_DEP_1) | instskip(NEXT) | instid1(VALU_DEP_1)
	v_and_b32_e32 v12, 0x80000000, v12
	v_lshl_add_u32 v12, v13, 23, v12
	s_delay_alu instid0(VALU_DEP_1) | instskip(NEXT) | instid1(VALU_DEP_1)
	v_lshl_or_b32 v12, v19, 21, v12
                                        ; implicit-def: $vgpr19
	v_add_nc_u32_e32 v13, 0x38000000, v12
                                        ; implicit-def: $vgpr12
.LBB6_6383:                             ;   in Loop: Header=BB6_5167 Depth=3
	s_and_not1_saveexec_b32 s72, s13
; %bb.6384:                             ;   in Loop: Header=BB6_5167 Depth=3
	v_bfe_i32 v12, v12, 0, 8
	v_cmp_eq_u32_e32 vcc_lo, 0, v19
	s_delay_alu instid0(VALU_DEP_2) | instskip(SKIP_1) | instid1(VALU_DEP_1)
	v_cmp_lt_i16_e64 s13, -1, v12
	v_mov_b32_e32 v12, 0x7f800000
	v_cndmask_b32_e64 v12, 0xff800000, v12, s13
	s_delay_alu instid0(VALU_DEP_1)
	v_cndmask_b32_e32 v13, 0x7f800001, v12, vcc_lo
; %bb.6385:                             ;   in Loop: Header=BB6_5167 Depth=3
	s_or_b32 exec_lo, exec_lo, s72
.LBB6_6386:                             ;   in Loop: Header=BB6_5167 Depth=3
	s_delay_alu instid0(SALU_CYCLE_1)
	s_or_b32 exec_lo, exec_lo, s43
.LBB6_6387:                             ;   in Loop: Header=BB6_5167 Depth=3
	s_delay_alu instid0(SALU_CYCLE_1) | instskip(NEXT) | instid1(VALU_DEP_1)
	s_or_b32 exec_lo, exec_lo, s42
	v_dual_mul_f32 v18, v18, v13 :: v_dual_mov_b32 v23, v21
	v_mov_b32_e32 v13, v21
                                        ; implicit-def: $vgpr20
	s_mov_b32 s13, exec_lo
	s_delay_alu instid0(VALU_DEP_2) | instskip(SKIP_2) | instid1(VALU_DEP_3)
	v_and_b32_e32 v22, 0x7f800000, v18
	v_and_b32_e32 v12, 0x7fffff, v18
	v_lshrrev_b32_e32 v19, 24, v18
	v_cmpx_ne_u64_e32 0x7f800000, v[22:23]
	s_xor_b32 s42, exec_lo, s13
	s_cbranch_execz .LBB6_6401
; %bb.6388:                             ;   in Loop: Header=BB6_5167 Depth=3
	v_and_b32_e32 v22, 0x7fffffff, v18
	v_mov_b32_e32 v23, v21
                                        ; implicit-def: $vgpr20
	s_delay_alu instid0(VALU_DEP_1) | instskip(SKIP_2) | instid1(SALU_CYCLE_1)
	v_cmp_gt_u64_e32 vcc_lo, 0x47600001, v[22:23]
	v_and_b32_e32 v22, 0x80, v19
	s_and_saveexec_b32 s13, vcc_lo
	s_xor_b32 s43, exec_lo, s13
	s_cbranch_execz .LBB6_6398
; %bb.6389:                             ;   in Loop: Header=BB6_5167 Depth=3
	v_mov_b32_e32 v20, 0
	s_mov_b32 s72, exec_lo
	v_cmpx_ne_u32_e32 0, v18
	s_cbranch_execz .LBB6_6397
; %bb.6390:                             ;   in Loop: Header=BB6_5167 Depth=3
	v_bfe_u32 v20, v18, 23, 8
	v_or_b32_e32 v19, 0x800000, v12
	s_delay_alu instid0(VALU_DEP_2) | instskip(SKIP_2) | instid1(VALU_DEP_2)
	v_cmp_gt_u32_e64 s13, 0x72, v20
	v_sub_nc_u32_e32 v18, 0x71, v20
	v_cmp_eq_u32_e32 vcc_lo, 0, v20
	v_dual_cndmask_b32 v18, 0, v18, s13 :: v_dual_cndmask_b32 v12, v19, v12, vcc_lo
	s_delay_alu instid0(VALU_DEP_1) | instskip(NEXT) | instid1(VALU_DEP_1)
	v_cndmask_b32_e64 v23, v18, 0x70, vcc_lo
	v_dual_add_nc_u32 v18, 21, v23 :: v_dual_add_nc_u32 v84, 20, v23
	s_delay_alu instid0(VALU_DEP_1) | instskip(NEXT) | instid1(VALU_DEP_2)
	v_lshlrev_b64_e64 v[18:19], v18, -1
	v_lshlrev_b64_e64 v[84:85], v84, 1
	s_delay_alu instid0(VALU_DEP_2) | instskip(SKIP_1) | instid1(VALU_DEP_4)
	v_bfi_b32 v18, v18, 0, v12
	v_lshrrev_b64 v[12:13], v23, v[12:13]
	v_bfi_b32 v19, v19, 0, 0
	s_delay_alu instid0(VALU_DEP_1) | instskip(NEXT) | instid1(VALU_DEP_3)
	v_cmp_eq_u64_e64 s13, v[18:19], v[84:85]
	v_mov_b64_e32 v[18:19], v[12:13]
	s_and_saveexec_b32 s73, s13
; %bb.6391:                             ;   in Loop: Header=BB6_5167 Depth=3
	v_bfe_u32 v18, v12, 21, 1
	v_mov_b32_e32 v19, v21
	s_delay_alu instid0(VALU_DEP_1) | instskip(NEXT) | instid1(VALU_DEP_1)
	v_add_nc_u64_e32 v[18:19], v[12:13], v[18:19]
	v_add_nc_u64_e32 v[18:19], -1, v[18:19]
; %bb.6392:                             ;   in Loop: Header=BB6_5167 Depth=3
	s_or_b32 exec_lo, exec_lo, s73
	v_add_nc_u32_e32 v13, 0xffffff81, v20
	v_lshrrev_b32_e32 v19, 23, v12
	s_mov_b32 s13, exec_lo
	s_delay_alu instid0(VALU_DEP_2) | instskip(NEXT) | instid1(VALU_DEP_1)
	v_cndmask_b32_e64 v13, v13, 0xffffff82, vcc_lo
	v_add3_u32 v20, v23, v13, v19
	v_and_b32_e32 v13, 0x1fffff, v18
                                        ; implicit-def: $vgpr18
	s_delay_alu instid0(VALU_DEP_2) | instskip(NEXT) | instid1(VALU_DEP_2)
	v_add_nc_u32_e32 v19, 14, v20
	v_add_nc_u32_e32 v12, v13, v12
	v_mov_b32_e32 v13, v21
	s_delay_alu instid0(VALU_DEP_3)
	v_cmpx_ne_u32_e32 0, v19
	s_xor_b32 s13, exec_lo, s13
; %bb.6393:                             ;   in Loop: Header=BB6_5167 Depth=3
	s_delay_alu instid0(VALU_DEP_2) | instskip(SKIP_1) | instid1(VALU_DEP_1)
	v_cmp_lt_u64_e32 vcc_lo, 0xffffff, v[12:13]
	v_add_nc_u32_e32 v18, 15, v20
	v_cndmask_b32_e32 v18, v19, v18, vcc_lo
	v_cndmask_b32_e64 v19, 0, 1, vcc_lo
	s_delay_alu instid0(VALU_DEP_1)
	v_lshrrev_b64 v[12:13], v19, v[12:13]
; %bb.6394:                             ;   in Loop: Header=BB6_5167 Depth=3
	s_and_not1_saveexec_b32 s13, s13
; %bb.6395:                             ;   in Loop: Header=BB6_5167 Depth=3
	s_delay_alu instid0(VALU_DEP_1)
	v_bfe_u32 v18, v12, 23, 1
; %bb.6396:                             ;   in Loop: Header=BB6_5167 Depth=3
	s_or_b32 exec_lo, exec_lo, s13
	s_delay_alu instid0(VALU_DEP_2) | instskip(NEXT) | instid1(VALU_DEP_2)
	v_lshrrev_b64 v[12:13], 21, v[12:13]
	v_cmp_gt_i32_e32 vcc_lo, 32, v18
	v_min_i32_e32 v19, 31, v18
	v_cmp_eq_u32_e64 s13, 0, v18
	s_delay_alu instid0(VALU_DEP_2) | instskip(SKIP_1) | instid1(VALU_DEP_2)
	v_dual_cndmask_b32 v13, 0, v13, vcc_lo :: v_dual_lshlrev_b32 v19, 2, v19
	v_cndmask_b32_e32 v12, 3, v12, vcc_lo
	v_and_b32_e32 v19, 0xfc, v19
	s_delay_alu instid0(VALU_DEP_2) | instskip(NEXT) | instid1(VALU_DEP_2)
	v_cmp_eq_u64_e32 vcc_lo, 0, v[12:13]
	v_and_or_b32 v12, v12, 3, v19
	s_and_b32 s13, s13, vcc_lo
	s_delay_alu instid0(VALU_DEP_1) | instid1(SALU_CYCLE_1)
	v_cndmask_b32_e64 v12, v12, 0, s13
	s_delay_alu instid0(VALU_DEP_1)
	v_or_b32_e32 v20, v12, v22
.LBB6_6397:                             ;   in Loop: Header=BB6_5167 Depth=3
	s_or_b32 exec_lo, exec_lo, s72
                                        ; implicit-def: $vgpr22
.LBB6_6398:                             ;   in Loop: Header=BB6_5167 Depth=3
	s_and_not1_saveexec_b32 s13, s43
; %bb.6399:                             ;   in Loop: Header=BB6_5167 Depth=3
	v_or_b32_e32 v20, 0x7b, v22
; %bb.6400:                             ;   in Loop: Header=BB6_5167 Depth=3
	s_or_b32 exec_lo, exec_lo, s13
                                        ; implicit-def: $vgpr18
                                        ; implicit-def: $vgpr12_vgpr13
                                        ; implicit-def: $vgpr19
.LBB6_6401:                             ;   in Loop: Header=BB6_5167 Depth=3
	s_and_not1_saveexec_b32 s13, s42
	s_cbranch_execz .LBB6_6407
; %bb.6402:                             ;   in Loop: Header=BB6_5167 Depth=3
	s_mov_b32 s42, exec_lo
                                        ; implicit-def: $vgpr20
	v_cmpx_ne_u64_e32 0, v[12:13]
	s_xor_b32 s42, exec_lo, s42
; %bb.6403:                             ;   in Loop: Header=BB6_5167 Depth=3
	v_or_b32_e32 v20, 0x7f, v19
                                        ; implicit-def: $vgpr18
; %bb.6404:                             ;   in Loop: Header=BB6_5167 Depth=3
	s_and_not1_saveexec_b32 s42, s42
; %bb.6405:                             ;   in Loop: Header=BB6_5167 Depth=3
	v_cmp_lt_i32_e32 vcc_lo, -1, v18
	v_mov_b32_e32 v12, 0x7c
	s_delay_alu instid0(VALU_DEP_1)
	v_cndmask_b32_e32 v20, 0xfc, v12, vcc_lo
; %bb.6406:                             ;   in Loop: Header=BB6_5167 Depth=3
	s_or_b32 exec_lo, exec_lo, s42
.LBB6_6407:                             ;   in Loop: Header=BB6_5167 Depth=3
	s_delay_alu instid0(SALU_CYCLE_1)
	s_or_b32 exec_lo, exec_lo, s13
	v_dual_mov_b32 v13, 0 :: v_dual_mov_b32 v18, 0
	s_mov_b32 s42, exec_lo
	v_cmpx_lt_u64_e64 s[22:23], v[34:35]
	s_cbranch_execz .LBB6_6417
; %bb.6408:                             ;   in Loop: Header=BB6_5167 Depth=3
	v_lshrrev_b32_e32 v12, 24, v35
	v_bfrev_b32_e32 v18, 1
	s_mov_b32 s43, exec_lo
	s_delay_alu instid0(VALU_DEP_2)
	v_cmpx_ne_u32_e32 0x80, v12
	s_cbranch_execz .LBB6_6416
; %bb.6409:                             ;   in Loop: Header=BB6_5167 Depth=3
	v_and_b32_e32 v18, 0x7c000000, v35
	v_bfe_u32 v19, v35, 24, 2
	s_delay_alu instid0(VALU_DEP_2) | instskip(SKIP_1) | instid1(SALU_CYCLE_1)
	v_cmp_ne_u32_e32 vcc_lo, 0x7c000000, v18
                                        ; implicit-def: $vgpr18
	s_and_saveexec_b32 s13, vcc_lo
	s_xor_b32 s13, exec_lo, s13
	s_cbranch_execz .LBB6_6413
; %bb.6410:                             ;   in Loop: Header=BB6_5167 Depth=3
	v_bfe_u32 v18, v35, 26, 5
	s_mov_b32 s72, exec_lo
	s_delay_alu instid0(VALU_DEP_1)
	v_cmpx_eq_u32_e32 0, v18
; %bb.6411:                             ;   in Loop: Header=BB6_5167 Depth=3
	v_clz_i32_u32_e32 v18, v19
	s_delay_alu instid0(VALU_DEP_1) | instskip(NEXT) | instid1(VALU_DEP_1)
	v_min_u32_e32 v18, 32, v18
	v_subrev_nc_u32_e32 v19, 29, v18
	v_sub_nc_u32_e32 v18, 30, v18
	s_delay_alu instid0(VALU_DEP_2) | instskip(NEXT) | instid1(VALU_DEP_1)
	v_lshlrev_b64_e32 v[22:23], v19, v[12:13]
	v_and_b32_e32 v19, 3, v22
; %bb.6412:                             ;   in Loop: Header=BB6_5167 Depth=3
	s_or_b32 exec_lo, exec_lo, s72
	v_and_b32_e32 v12, 0x80000000, v35
                                        ; implicit-def: $vgpr34_vgpr35
	s_delay_alu instid0(VALU_DEP_1) | instskip(NEXT) | instid1(VALU_DEP_1)
	v_lshl_add_u32 v12, v18, 23, v12
	v_lshl_or_b32 v12, v19, 21, v12
                                        ; implicit-def: $vgpr19
	s_delay_alu instid0(VALU_DEP_1)
	v_add_nc_u32_e32 v18, 0x38000000, v12
.LBB6_6413:                             ;   in Loop: Header=BB6_5167 Depth=3
	s_and_not1_saveexec_b32 s72, s13
; %bb.6414:                             ;   in Loop: Header=BB6_5167 Depth=3
	v_cmp_lt_i64_e64 s13, -1, v[34:35]
	v_mov_b32_e32 v12, 0x7f800000
	v_cmp_eq_u32_e32 vcc_lo, 0, v19
	s_delay_alu instid0(VALU_DEP_2) | instskip(NEXT) | instid1(VALU_DEP_1)
	v_cndmask_b32_e64 v12, 0xff800000, v12, s13
	v_cndmask_b32_e32 v18, 0x7f800001, v12, vcc_lo
; %bb.6415:                             ;   in Loop: Header=BB6_5167 Depth=3
	s_or_b32 exec_lo, exec_lo, s72
.LBB6_6416:                             ;   in Loop: Header=BB6_5167 Depth=3
	s_delay_alu instid0(SALU_CYCLE_1)
	s_or_b32 exec_lo, exec_lo, s43
.LBB6_6417:                             ;   in Loop: Header=BB6_5167 Depth=3
	s_delay_alu instid0(SALU_CYCLE_1) | instskip(NEXT) | instid1(SALU_CYCLE_1)
	s_or_b32 exec_lo, exec_lo, s42
	s_mov_b32 s42, exec_lo
	v_cmpx_lt_u64_e64 s[22:23], v[26:27]
	s_cbranch_execz .LBB6_6427
; %bb.6418:                             ;   in Loop: Header=BB6_5167 Depth=3
	v_lshrrev_b32_e32 v12, 24, v27
	v_bfrev_b32_e32 v13, 1
	s_mov_b32 s43, exec_lo
	s_delay_alu instid0(VALU_DEP_2)
	v_cmpx_ne_u32_e32 0x80, v12
	s_cbranch_execz .LBB6_6426
; %bb.6419:                             ;   in Loop: Header=BB6_5167 Depth=3
	v_and_b32_e32 v13, 0x7c000000, v27
	v_bfe_u32 v19, v27, 24, 2
	s_delay_alu instid0(VALU_DEP_2) | instskip(SKIP_1) | instid1(SALU_CYCLE_1)
	v_cmp_ne_u32_e32 vcc_lo, 0x7c000000, v13
                                        ; implicit-def: $vgpr13
	s_and_saveexec_b32 s13, vcc_lo
	s_xor_b32 s13, exec_lo, s13
	s_cbranch_execz .LBB6_6423
; %bb.6420:                             ;   in Loop: Header=BB6_5167 Depth=3
	v_bfe_u32 v13, v27, 26, 5
	s_mov_b32 s72, exec_lo
	s_delay_alu instid0(VALU_DEP_1)
	v_cmpx_eq_u32_e32 0, v13
; %bb.6421:                             ;   in Loop: Header=BB6_5167 Depth=3
	v_clz_i32_u32_e32 v13, v19
	s_delay_alu instid0(VALU_DEP_1) | instskip(NEXT) | instid1(VALU_DEP_1)
	v_min_u32_e32 v19, 32, v13
	v_subrev_nc_u32_e32 v13, 29, v19
	s_delay_alu instid0(VALU_DEP_1) | instskip(NEXT) | instid1(VALU_DEP_1)
	v_lshlrev_b64_e32 v[12:13], v13, v[12:13]
	v_dual_sub_nc_u32 v13, 30, v19 :: v_dual_bitop2_b32 v19, 3, v12 bitop3:0x40
; %bb.6422:                             ;   in Loop: Header=BB6_5167 Depth=3
	s_or_b32 exec_lo, exec_lo, s72
	v_and_b32_e32 v12, 0x80000000, v27
                                        ; implicit-def: $vgpr26_vgpr27
	s_delay_alu instid0(VALU_DEP_1) | instskip(NEXT) | instid1(VALU_DEP_1)
	v_lshl_add_u32 v12, v13, 23, v12
	v_lshl_or_b32 v12, v19, 21, v12
                                        ; implicit-def: $vgpr19
	s_delay_alu instid0(VALU_DEP_1)
	v_add_nc_u32_e32 v13, 0x38000000, v12
.LBB6_6423:                             ;   in Loop: Header=BB6_5167 Depth=3
	s_and_not1_saveexec_b32 s72, s13
; %bb.6424:                             ;   in Loop: Header=BB6_5167 Depth=3
	v_cmp_lt_i64_e64 s13, -1, v[26:27]
	v_mov_b32_e32 v12, 0x7f800000
	v_cmp_eq_u32_e32 vcc_lo, 0, v19
	s_delay_alu instid0(VALU_DEP_2) | instskip(NEXT) | instid1(VALU_DEP_1)
	v_cndmask_b32_e64 v12, 0xff800000, v12, s13
	v_cndmask_b32_e32 v13, 0x7f800001, v12, vcc_lo
; %bb.6425:                             ;   in Loop: Header=BB6_5167 Depth=3
	s_or_b32 exec_lo, exec_lo, s72
.LBB6_6426:                             ;   in Loop: Header=BB6_5167 Depth=3
	s_delay_alu instid0(SALU_CYCLE_1)
	s_or_b32 exec_lo, exec_lo, s43
.LBB6_6427:                             ;   in Loop: Header=BB6_5167 Depth=3
	s_delay_alu instid0(SALU_CYCLE_1) | instskip(NEXT) | instid1(VALU_DEP_1)
	s_or_b32 exec_lo, exec_lo, s42
	v_dual_mul_f32 v18, v18, v13 :: v_dual_mov_b32 v23, v21
	v_mov_b32_e32 v13, v21
                                        ; implicit-def: $vgpr26
	s_mov_b32 s13, exec_lo
	s_delay_alu instid0(VALU_DEP_2) | instskip(SKIP_2) | instid1(VALU_DEP_3)
	v_and_b32_e32 v22, 0x7f800000, v18
	v_and_b32_e32 v12, 0x7fffff, v18
	v_lshrrev_b32_e32 v19, 24, v18
	v_cmpx_ne_u64_e32 0x7f800000, v[22:23]
	s_xor_b32 s42, exec_lo, s13
	s_cbranch_execz .LBB6_6441
; %bb.6428:                             ;   in Loop: Header=BB6_5167 Depth=3
	v_and_b32_e32 v22, 0x7fffffff, v18
	v_mov_b32_e32 v23, v21
                                        ; implicit-def: $vgpr26
	s_delay_alu instid0(VALU_DEP_1) | instskip(SKIP_2) | instid1(SALU_CYCLE_1)
	v_cmp_gt_u64_e32 vcc_lo, 0x47600001, v[22:23]
	v_and_b32_e32 v22, 0x80, v19
	s_and_saveexec_b32 s13, vcc_lo
	s_xor_b32 s43, exec_lo, s13
	s_cbranch_execz .LBB6_6438
; %bb.6429:                             ;   in Loop: Header=BB6_5167 Depth=3
	v_mov_b32_e32 v26, 0
	s_mov_b32 s72, exec_lo
	v_cmpx_ne_u32_e32 0, v18
	s_cbranch_execz .LBB6_6437
; %bb.6430:                             ;   in Loop: Header=BB6_5167 Depth=3
	v_bfe_u32 v23, v18, 23, 8
	v_or_b32_e32 v19, 0x800000, v12
	s_delay_alu instid0(VALU_DEP_2) | instskip(SKIP_2) | instid1(VALU_DEP_2)
	v_cmp_gt_u32_e64 s13, 0x72, v23
	v_sub_nc_u32_e32 v18, 0x71, v23
	v_cmp_eq_u32_e32 vcc_lo, 0, v23
	v_dual_cndmask_b32 v18, 0, v18, s13 :: v_dual_cndmask_b32 v12, v19, v12, vcc_lo
	s_delay_alu instid0(VALU_DEP_1) | instskip(NEXT) | instid1(VALU_DEP_1)
	v_cndmask_b32_e64 v26, v18, 0x70, vcc_lo
	v_dual_add_nc_u32 v18, 21, v26 :: v_dual_add_nc_u32 v27, 20, v26
	s_delay_alu instid0(VALU_DEP_1) | instskip(NEXT) | instid1(VALU_DEP_2)
	v_lshlrev_b64_e64 v[18:19], v18, -1
	v_lshlrev_b64_e64 v[34:35], v27, 1
	s_delay_alu instid0(VALU_DEP_2) | instskip(SKIP_1) | instid1(VALU_DEP_4)
	v_bfi_b32 v18, v18, 0, v12
	v_lshrrev_b64 v[12:13], v26, v[12:13]
	v_bfi_b32 v19, v19, 0, 0
	s_delay_alu instid0(VALU_DEP_1) | instskip(NEXT) | instid1(VALU_DEP_3)
	v_cmp_eq_u64_e64 s13, v[18:19], v[34:35]
	v_mov_b64_e32 v[18:19], v[12:13]
	s_and_saveexec_b32 s73, s13
; %bb.6431:                             ;   in Loop: Header=BB6_5167 Depth=3
	v_bfe_u32 v18, v12, 21, 1
	v_mov_b32_e32 v19, v21
	s_delay_alu instid0(VALU_DEP_1) | instskip(NEXT) | instid1(VALU_DEP_1)
	v_add_nc_u64_e32 v[18:19], v[12:13], v[18:19]
	v_add_nc_u64_e32 v[18:19], -1, v[18:19]
; %bb.6432:                             ;   in Loop: Header=BB6_5167 Depth=3
	s_or_b32 exec_lo, exec_lo, s73
	v_add_nc_u32_e32 v13, 0xffffff81, v23
	v_lshrrev_b32_e32 v19, 23, v12
	s_mov_b32 s13, exec_lo
	s_delay_alu instid0(VALU_DEP_2) | instskip(NEXT) | instid1(VALU_DEP_1)
	v_cndmask_b32_e64 v13, v13, 0xffffff82, vcc_lo
	v_add3_u32 v23, v26, v13, v19
	v_and_b32_e32 v13, 0x1fffff, v18
                                        ; implicit-def: $vgpr18
	s_delay_alu instid0(VALU_DEP_1) | instskip(SKIP_1) | instid1(VALU_DEP_2)
	v_dual_add_nc_u32 v19, 14, v23 :: v_dual_add_nc_u32 v12, v13, v12
	v_mov_b32_e32 v13, v21
	v_cmpx_ne_u32_e32 0, v19
	s_xor_b32 s13, exec_lo, s13
; %bb.6433:                             ;   in Loop: Header=BB6_5167 Depth=3
	s_delay_alu instid0(VALU_DEP_2) | instskip(SKIP_1) | instid1(VALU_DEP_1)
	v_cmp_lt_u64_e32 vcc_lo, 0xffffff, v[12:13]
	v_add_nc_u32_e32 v18, 15, v23
	v_cndmask_b32_e32 v18, v19, v18, vcc_lo
	v_cndmask_b32_e64 v19, 0, 1, vcc_lo
	s_delay_alu instid0(VALU_DEP_1)
	v_lshrrev_b64 v[12:13], v19, v[12:13]
; %bb.6434:                             ;   in Loop: Header=BB6_5167 Depth=3
	s_and_not1_saveexec_b32 s13, s13
; %bb.6435:                             ;   in Loop: Header=BB6_5167 Depth=3
	s_delay_alu instid0(VALU_DEP_1)
	v_bfe_u32 v18, v12, 23, 1
; %bb.6436:                             ;   in Loop: Header=BB6_5167 Depth=3
	s_or_b32 exec_lo, exec_lo, s13
	s_delay_alu instid0(VALU_DEP_2) | instskip(NEXT) | instid1(VALU_DEP_2)
	v_lshrrev_b64 v[12:13], 21, v[12:13]
	v_cmp_gt_i32_e32 vcc_lo, 32, v18
	v_min_i32_e32 v19, 31, v18
	v_cmp_eq_u32_e64 s13, 0, v18
	s_delay_alu instid0(VALU_DEP_2) | instskip(SKIP_1) | instid1(VALU_DEP_2)
	v_dual_cndmask_b32 v13, 0, v13, vcc_lo :: v_dual_lshlrev_b32 v19, 2, v19
	v_cndmask_b32_e32 v12, 3, v12, vcc_lo
	v_and_b32_e32 v19, 0xfc, v19
	s_delay_alu instid0(VALU_DEP_2) | instskip(NEXT) | instid1(VALU_DEP_2)
	v_cmp_eq_u64_e32 vcc_lo, 0, v[12:13]
	v_and_or_b32 v12, v12, 3, v19
	s_and_b32 s13, s13, vcc_lo
	s_delay_alu instid0(VALU_DEP_1) | instid1(SALU_CYCLE_1)
	v_cndmask_b32_e64 v12, v12, 0, s13
	s_delay_alu instid0(VALU_DEP_1)
	v_or_b32_e32 v26, v12, v22
.LBB6_6437:                             ;   in Loop: Header=BB6_5167 Depth=3
	s_or_b32 exec_lo, exec_lo, s72
                                        ; implicit-def: $vgpr22
.LBB6_6438:                             ;   in Loop: Header=BB6_5167 Depth=3
	s_and_not1_saveexec_b32 s13, s43
; %bb.6439:                             ;   in Loop: Header=BB6_5167 Depth=3
	v_or_b32_e32 v26, 0x7b, v22
; %bb.6440:                             ;   in Loop: Header=BB6_5167 Depth=3
	s_or_b32 exec_lo, exec_lo, s13
                                        ; implicit-def: $vgpr18
                                        ; implicit-def: $vgpr12_vgpr13
                                        ; implicit-def: $vgpr19
.LBB6_6441:                             ;   in Loop: Header=BB6_5167 Depth=3
	s_and_not1_saveexec_b32 s13, s42
	s_cbranch_execz .LBB6_6447
; %bb.6442:                             ;   in Loop: Header=BB6_5167 Depth=3
	s_mov_b32 s42, exec_lo
                                        ; implicit-def: $vgpr26
	v_cmpx_ne_u64_e32 0, v[12:13]
	s_xor_b32 s42, exec_lo, s42
; %bb.6443:                             ;   in Loop: Header=BB6_5167 Depth=3
	v_or_b32_e32 v26, 0x7f, v19
                                        ; implicit-def: $vgpr18
; %bb.6444:                             ;   in Loop: Header=BB6_5167 Depth=3
	s_and_not1_saveexec_b32 s42, s42
; %bb.6445:                             ;   in Loop: Header=BB6_5167 Depth=3
	v_cmp_lt_i32_e32 vcc_lo, -1, v18
	v_mov_b32_e32 v12, 0x7c
	s_delay_alu instid0(VALU_DEP_1)
	v_cndmask_b32_e32 v26, 0xfc, v12, vcc_lo
; %bb.6446:                             ;   in Loop: Header=BB6_5167 Depth=3
	s_or_b32 exec_lo, exec_lo, s42
.LBB6_6447:                             ;   in Loop: Header=BB6_5167 Depth=3
	s_delay_alu instid0(SALU_CYCLE_1) | instskip(SKIP_2) | instid1(VALU_DEP_2)
	s_or_b32 exec_lo, exec_lo, s13
	v_and_b32_e32 v13, 0xff, v14
	v_mov_b32_e32 v12, 0
	v_cmp_ne_u16_e32 vcc_lo, 0, v13
	v_mov_b32_e32 v13, 0
	s_and_saveexec_b32 s42, vcc_lo
	s_cbranch_execz .LBB6_6457
; %bb.6448:                             ;   in Loop: Header=BB6_5167 Depth=3
	v_bfe_i32 v19, v14, 0, 8
	v_bfrev_b32_e32 v13, 1
	s_mov_b32 s43, exec_lo
	s_delay_alu instid0(VALU_DEP_2)
	v_cmpx_ne_u16_e32 0xff80, v19
	s_cbranch_execz .LBB6_6456
; %bb.6449:                             ;   in Loop: Header=BB6_5167 Depth=3
	v_and_b32_e32 v13, 0x7c, v14
	v_and_b32_e32 v18, 3, v14
	s_delay_alu instid0(VALU_DEP_2) | instskip(SKIP_1) | instid1(SALU_CYCLE_1)
	v_cmp_ne_u32_e32 vcc_lo, 0x7c, v13
                                        ; implicit-def: $vgpr13
	s_and_saveexec_b32 s13, vcc_lo
	s_xor_b32 s13, exec_lo, s13
	s_cbranch_execz .LBB6_6453
; %bb.6450:                             ;   in Loop: Header=BB6_5167 Depth=3
	v_bfe_u32 v13, v14, 2, 5
	s_mov_b32 s72, exec_lo
	s_delay_alu instid0(VALU_DEP_1)
	v_cmpx_eq_u32_e32 0, v13
; %bb.6451:                             ;   in Loop: Header=BB6_5167 Depth=3
	v_clz_i32_u32_e32 v13, v18
	s_delay_alu instid0(VALU_DEP_1) | instskip(NEXT) | instid1(VALU_DEP_1)
	v_min_u32_e32 v13, 32, v13
	v_subrev_nc_u32_e32 v18, 29, v13
	s_delay_alu instid0(VALU_DEP_1) | instskip(NEXT) | instid1(VALU_DEP_1)
	v_lshlrev_b64_e32 v[18:19], v18, v[14:15]
	v_dual_sub_nc_u32 v13, 30, v13 :: v_dual_bitop2_b32 v18, 3, v18 bitop3:0x40
; %bb.6452:                             ;   in Loop: Header=BB6_5167 Depth=3
	s_or_b32 exec_lo, exec_lo, s72
	v_lshlrev_b32_e32 v19, 24, v14
	s_delay_alu instid0(VALU_DEP_1) | instskip(NEXT) | instid1(VALU_DEP_1)
	v_and_b32_e32 v19, 0x80000000, v19
	v_lshl_add_u32 v13, v13, 23, v19
                                        ; implicit-def: $vgpr19
	s_delay_alu instid0(VALU_DEP_1) | instskip(NEXT) | instid1(VALU_DEP_1)
	v_lshl_or_b32 v13, v18, 21, v13
                                        ; implicit-def: $vgpr18
	v_add_nc_u32_e32 v13, 0x38000000, v13
.LBB6_6453:                             ;   in Loop: Header=BB6_5167 Depth=3
	s_and_not1_saveexec_b32 s72, s13
; %bb.6454:                             ;   in Loop: Header=BB6_5167 Depth=3
	v_cmp_lt_i16_e64 s13, -1, v19
	v_mov_b32_e32 v13, 0x7f800000
	v_cmp_eq_u32_e32 vcc_lo, 0, v18
	s_delay_alu instid0(VALU_DEP_2) | instskip(NEXT) | instid1(VALU_DEP_1)
	v_cndmask_b32_e64 v13, 0xff800000, v13, s13
	v_cndmask_b32_e32 v13, 0x7f800001, v13, vcc_lo
; %bb.6455:                             ;   in Loop: Header=BB6_5167 Depth=3
	s_or_b32 exec_lo, exec_lo, s72
.LBB6_6456:                             ;   in Loop: Header=BB6_5167 Depth=3
	s_delay_alu instid0(SALU_CYCLE_1)
	s_or_b32 exec_lo, exec_lo, s43
.LBB6_6457:                             ;   in Loop: Header=BB6_5167 Depth=3
	s_delay_alu instid0(SALU_CYCLE_1) | instskip(SKIP_3) | instid1(VALU_DEP_1)
	s_or_b32 exec_lo, exec_lo, s42
	s_wait_loadcnt 0x1
	v_and_b32_e32 v18, 0xff, v4
	s_mov_b32 s42, exec_lo
	v_cmpx_ne_u16_e32 0, v18
	s_cbranch_execz .LBB6_6467
; %bb.6458:                             ;   in Loop: Header=BB6_5167 Depth=3
	v_bfe_i32 v19, v4, 0, 8
	v_bfrev_b32_e32 v12, 1
	s_mov_b32 s43, exec_lo
	s_delay_alu instid0(VALU_DEP_2)
	v_cmpx_ne_u16_e32 0xff80, v19
	s_cbranch_execz .LBB6_6466
; %bb.6459:                             ;   in Loop: Header=BB6_5167 Depth=3
	v_and_b32_e32 v12, 0x7c, v4
	v_and_b32_e32 v18, 3, v4
	s_delay_alu instid0(VALU_DEP_2) | instskip(SKIP_1) | instid1(SALU_CYCLE_1)
	v_cmp_ne_u32_e32 vcc_lo, 0x7c, v12
                                        ; implicit-def: $vgpr12
	s_and_saveexec_b32 s13, vcc_lo
	s_xor_b32 s13, exec_lo, s13
	s_cbranch_execz .LBB6_6463
; %bb.6460:                             ;   in Loop: Header=BB6_5167 Depth=3
	v_bfe_u32 v12, v4, 2, 5
	s_mov_b32 s72, exec_lo
	s_delay_alu instid0(VALU_DEP_1)
	v_cmpx_eq_u32_e32 0, v12
; %bb.6461:                             ;   in Loop: Header=BB6_5167 Depth=3
	v_clz_i32_u32_e32 v12, v18
	s_delay_alu instid0(VALU_DEP_1) | instskip(NEXT) | instid1(VALU_DEP_1)
	v_min_u32_e32 v12, 32, v12
	v_subrev_nc_u32_e32 v18, 29, v12
	s_delay_alu instid0(VALU_DEP_1) | instskip(NEXT) | instid1(VALU_DEP_1)
	v_lshlrev_b64_e32 v[18:19], v18, v[4:5]
	v_dual_sub_nc_u32 v12, 30, v12 :: v_dual_bitop2_b32 v18, 3, v18 bitop3:0x40
; %bb.6462:                             ;   in Loop: Header=BB6_5167 Depth=3
	s_or_b32 exec_lo, exec_lo, s72
	v_lshlrev_b32_e32 v19, 24, v4
	s_delay_alu instid0(VALU_DEP_1) | instskip(NEXT) | instid1(VALU_DEP_1)
	v_and_b32_e32 v19, 0x80000000, v19
	v_lshl_add_u32 v12, v12, 23, v19
                                        ; implicit-def: $vgpr19
	s_delay_alu instid0(VALU_DEP_1) | instskip(NEXT) | instid1(VALU_DEP_1)
	v_lshl_or_b32 v12, v18, 21, v12
                                        ; implicit-def: $vgpr18
	v_add_nc_u32_e32 v12, 0x38000000, v12
.LBB6_6463:                             ;   in Loop: Header=BB6_5167 Depth=3
	s_and_not1_saveexec_b32 s72, s13
; %bb.6464:                             ;   in Loop: Header=BB6_5167 Depth=3
	v_cmp_lt_i16_e64 s13, -1, v19
	v_mov_b32_e32 v12, 0x7f800000
	v_cmp_eq_u32_e32 vcc_lo, 0, v18
	s_delay_alu instid0(VALU_DEP_2) | instskip(NEXT) | instid1(VALU_DEP_1)
	v_cndmask_b32_e64 v12, 0xff800000, v12, s13
	v_cndmask_b32_e32 v12, 0x7f800001, v12, vcc_lo
; %bb.6465:                             ;   in Loop: Header=BB6_5167 Depth=3
	s_or_b32 exec_lo, exec_lo, s72
.LBB6_6466:                             ;   in Loop: Header=BB6_5167 Depth=3
	s_delay_alu instid0(SALU_CYCLE_1)
	s_or_b32 exec_lo, exec_lo, s43
.LBB6_6467:                             ;   in Loop: Header=BB6_5167 Depth=3
	s_delay_alu instid0(SALU_CYCLE_1) | instskip(NEXT) | instid1(VALU_DEP_1)
	s_or_b32 exec_lo, exec_lo, s42
	v_mul_f32_e32 v18, v13, v12
	v_dual_mov_b32 v23, v21 :: v_dual_mov_b32 v13, v21
                                        ; implicit-def: $vgpr27
	s_mov_b32 s13, exec_lo
	s_delay_alu instid0(VALU_DEP_2) | instskip(SKIP_2) | instid1(VALU_DEP_3)
	v_and_b32_e32 v22, 0x7f800000, v18
	v_and_b32_e32 v12, 0x7fffff, v18
	v_lshrrev_b32_e32 v19, 24, v18
	v_cmpx_ne_u64_e32 0x7f800000, v[22:23]
	s_xor_b32 s42, exec_lo, s13
	s_cbranch_execz .LBB6_6481
; %bb.6468:                             ;   in Loop: Header=BB6_5167 Depth=3
	v_and_b32_e32 v22, 0x7fffffff, v18
	v_mov_b32_e32 v23, v21
                                        ; implicit-def: $vgpr27
	s_delay_alu instid0(VALU_DEP_1) | instskip(SKIP_2) | instid1(SALU_CYCLE_1)
	v_cmp_gt_u64_e32 vcc_lo, 0x47600001, v[22:23]
	v_and_b32_e32 v22, 0x80, v19
	s_and_saveexec_b32 s13, vcc_lo
	s_xor_b32 s43, exec_lo, s13
	s_cbranch_execz .LBB6_6478
; %bb.6469:                             ;   in Loop: Header=BB6_5167 Depth=3
	v_mov_b32_e32 v27, 0
	s_mov_b32 s72, exec_lo
	v_cmpx_ne_u32_e32 0, v18
	s_cbranch_execz .LBB6_6477
; %bb.6470:                             ;   in Loop: Header=BB6_5167 Depth=3
	v_bfe_u32 v23, v18, 23, 8
	v_or_b32_e32 v19, 0x800000, v12
	s_delay_alu instid0(VALU_DEP_2) | instskip(SKIP_2) | instid1(VALU_DEP_2)
	v_cmp_gt_u32_e64 s13, 0x72, v23
	v_sub_nc_u32_e32 v18, 0x71, v23
	v_cmp_eq_u32_e32 vcc_lo, 0, v23
	v_dual_cndmask_b32 v18, 0, v18, s13 :: v_dual_cndmask_b32 v12, v19, v12, vcc_lo
	s_delay_alu instid0(VALU_DEP_1) | instskip(NEXT) | instid1(VALU_DEP_1)
	v_cndmask_b32_e64 v27, v18, 0x70, vcc_lo
	v_dual_add_nc_u32 v18, 21, v27 :: v_dual_add_nc_u32 v34, 20, v27
	s_delay_alu instid0(VALU_DEP_1) | instskip(NEXT) | instid1(VALU_DEP_2)
	v_lshlrev_b64_e64 v[18:19], v18, -1
	v_lshlrev_b64_e64 v[34:35], v34, 1
	s_delay_alu instid0(VALU_DEP_2) | instskip(SKIP_1) | instid1(VALU_DEP_4)
	v_bfi_b32 v18, v18, 0, v12
	v_lshrrev_b64 v[12:13], v27, v[12:13]
	v_bfi_b32 v19, v19, 0, 0
	s_delay_alu instid0(VALU_DEP_1) | instskip(NEXT) | instid1(VALU_DEP_3)
	v_cmp_eq_u64_e64 s13, v[18:19], v[34:35]
	v_mov_b64_e32 v[18:19], v[12:13]
	s_and_saveexec_b32 s73, s13
; %bb.6471:                             ;   in Loop: Header=BB6_5167 Depth=3
	v_bfe_u32 v18, v12, 21, 1
	v_mov_b32_e32 v19, v21
	s_delay_alu instid0(VALU_DEP_1) | instskip(NEXT) | instid1(VALU_DEP_1)
	v_add_nc_u64_e32 v[18:19], v[12:13], v[18:19]
	v_add_nc_u64_e32 v[18:19], -1, v[18:19]
; %bb.6472:                             ;   in Loop: Header=BB6_5167 Depth=3
	s_or_b32 exec_lo, exec_lo, s73
	v_add_nc_u32_e32 v13, 0xffffff81, v23
	v_lshrrev_b32_e32 v19, 23, v12
	s_mov_b32 s13, exec_lo
	s_delay_alu instid0(VALU_DEP_2) | instskip(NEXT) | instid1(VALU_DEP_1)
	v_cndmask_b32_e64 v13, v13, 0xffffff82, vcc_lo
	v_add3_u32 v23, v27, v13, v19
	v_and_b32_e32 v13, 0x1fffff, v18
                                        ; implicit-def: $vgpr18
	s_delay_alu instid0(VALU_DEP_1) | instskip(SKIP_1) | instid1(VALU_DEP_2)
	v_dual_add_nc_u32 v19, 14, v23 :: v_dual_add_nc_u32 v12, v13, v12
	v_mov_b32_e32 v13, v21
	v_cmpx_ne_u32_e32 0, v19
	s_xor_b32 s13, exec_lo, s13
; %bb.6473:                             ;   in Loop: Header=BB6_5167 Depth=3
	s_delay_alu instid0(VALU_DEP_2) | instskip(SKIP_1) | instid1(VALU_DEP_1)
	v_cmp_lt_u64_e32 vcc_lo, 0xffffff, v[12:13]
	v_add_nc_u32_e32 v18, 15, v23
	v_cndmask_b32_e32 v18, v19, v18, vcc_lo
	v_cndmask_b32_e64 v19, 0, 1, vcc_lo
	s_delay_alu instid0(VALU_DEP_1)
	v_lshrrev_b64 v[12:13], v19, v[12:13]
; %bb.6474:                             ;   in Loop: Header=BB6_5167 Depth=3
	s_and_not1_saveexec_b32 s13, s13
; %bb.6475:                             ;   in Loop: Header=BB6_5167 Depth=3
	s_delay_alu instid0(VALU_DEP_1)
	v_bfe_u32 v18, v12, 23, 1
; %bb.6476:                             ;   in Loop: Header=BB6_5167 Depth=3
	s_or_b32 exec_lo, exec_lo, s13
	s_delay_alu instid0(VALU_DEP_2) | instskip(NEXT) | instid1(VALU_DEP_2)
	v_lshrrev_b64 v[12:13], 21, v[12:13]
	v_cmp_gt_i32_e32 vcc_lo, 32, v18
	v_min_i32_e32 v19, 31, v18
	v_cmp_eq_u32_e64 s13, 0, v18
	s_delay_alu instid0(VALU_DEP_2) | instskip(SKIP_1) | instid1(VALU_DEP_2)
	v_dual_cndmask_b32 v13, 0, v13, vcc_lo :: v_dual_lshlrev_b32 v19, 2, v19
	v_cndmask_b32_e32 v12, 3, v12, vcc_lo
	v_and_b32_e32 v19, 0xfc, v19
	s_delay_alu instid0(VALU_DEP_2) | instskip(NEXT) | instid1(VALU_DEP_2)
	v_cmp_eq_u64_e32 vcc_lo, 0, v[12:13]
	v_and_or_b32 v12, v12, 3, v19
	s_and_b32 s13, s13, vcc_lo
	s_delay_alu instid0(VALU_DEP_1) | instid1(SALU_CYCLE_1)
	v_cndmask_b32_e64 v12, v12, 0, s13
	s_delay_alu instid0(VALU_DEP_1)
	v_or_b32_e32 v27, v12, v22
.LBB6_6477:                             ;   in Loop: Header=BB6_5167 Depth=3
	s_or_b32 exec_lo, exec_lo, s72
                                        ; implicit-def: $vgpr22
.LBB6_6478:                             ;   in Loop: Header=BB6_5167 Depth=3
	s_and_not1_saveexec_b32 s13, s43
; %bb.6479:                             ;   in Loop: Header=BB6_5167 Depth=3
	v_or_b32_e32 v27, 0x7b, v22
; %bb.6480:                             ;   in Loop: Header=BB6_5167 Depth=3
	s_or_b32 exec_lo, exec_lo, s13
                                        ; implicit-def: $vgpr18
                                        ; implicit-def: $vgpr12_vgpr13
                                        ; implicit-def: $vgpr19
.LBB6_6481:                             ;   in Loop: Header=BB6_5167 Depth=3
	s_and_not1_saveexec_b32 s13, s42
	s_cbranch_execz .LBB6_6487
; %bb.6482:                             ;   in Loop: Header=BB6_5167 Depth=3
	s_mov_b32 s42, exec_lo
                                        ; implicit-def: $vgpr27
	v_cmpx_ne_u64_e32 0, v[12:13]
	s_xor_b32 s42, exec_lo, s42
; %bb.6483:                             ;   in Loop: Header=BB6_5167 Depth=3
	v_or_b32_e32 v27, 0x7f, v19
                                        ; implicit-def: $vgpr18
; %bb.6484:                             ;   in Loop: Header=BB6_5167 Depth=3
	s_and_not1_saveexec_b32 s42, s42
; %bb.6485:                             ;   in Loop: Header=BB6_5167 Depth=3
	v_cmp_lt_i32_e32 vcc_lo, -1, v18
	v_mov_b32_e32 v12, 0x7c
	s_delay_alu instid0(VALU_DEP_1)
	v_cndmask_b32_e32 v27, 0xfc, v12, vcc_lo
; %bb.6486:                             ;   in Loop: Header=BB6_5167 Depth=3
	s_or_b32 exec_lo, exec_lo, s42
.LBB6_6487:                             ;   in Loop: Header=BB6_5167 Depth=3
	s_delay_alu instid0(SALU_CYCLE_1) | instskip(SKIP_3) | instid1(VALU_DEP_2)
	s_or_b32 exec_lo, exec_lo, s13
	v_lshrrev_b16 v12, 8, v14
	v_dual_mov_b32 v18, 0 :: v_dual_mov_b32 v19, 0
	s_mov_b32 s42, exec_lo
	v_cmpx_ne_u16_e32 0, v12
	s_cbranch_execz .LBB6_6497
; %bb.6488:                             ;   in Loop: Header=BB6_5167 Depth=3
	v_bfrev_b32_e32 v19, 1
	s_mov_b32 s43, exec_lo
	v_cmpx_ne_u16_e32 0x80, v12
	s_cbranch_execz .LBB6_6496
; %bb.6489:                             ;   in Loop: Header=BB6_5167 Depth=3
	v_and_b32_e32 v22, 0xffff, v12
	s_delay_alu instid0(VALU_DEP_1) | instskip(SKIP_1) | instid1(VALU_DEP_2)
	v_and_b32_e32 v19, 0x7c, v22
	v_and_b32_e32 v13, 3, v22
	v_cmp_ne_u32_e32 vcc_lo, 0x7c, v19
                                        ; implicit-def: $vgpr19
	s_and_saveexec_b32 s13, vcc_lo
	s_delay_alu instid0(SALU_CYCLE_1)
	s_xor_b32 s13, exec_lo, s13
	s_cbranch_execz .LBB6_6493
; %bb.6490:                             ;   in Loop: Header=BB6_5167 Depth=3
	v_bfe_u32 v19, v22, 2, 5
	s_mov_b32 s72, exec_lo
	s_delay_alu instid0(VALU_DEP_1)
	v_cmpx_eq_u32_e32 0, v19
	s_cbranch_execz .LBB6_6492
; %bb.6491:                             ;   in Loop: Header=BB6_5167 Depth=3
	v_clz_i32_u32_e32 v13, v13
	s_delay_alu instid0(VALU_DEP_1) | instskip(SKIP_1) | instid1(VALU_DEP_2)
	v_min_u32_e32 v19, 32, v13
	v_mov_b32_e32 v13, v21
	v_subrev_nc_u32_e32 v22, 29, v19
	v_sub_nc_u32_e32 v19, 30, v19
	s_delay_alu instid0(VALU_DEP_2) | instskip(NEXT) | instid1(VALU_DEP_1)
	v_lshlrev_b64_e32 v[12:13], v22, v[12:13]
	v_and_b32_e32 v13, 3, v12
.LBB6_6492:                             ;   in Loop: Header=BB6_5167 Depth=3
	s_or_b32 exec_lo, exec_lo, s72
	v_lshlrev_b32_e32 v12, 16, v14
	s_delay_alu instid0(VALU_DEP_1) | instskip(NEXT) | instid1(VALU_DEP_1)
	v_and_b32_e32 v12, 0x80000000, v12
	v_lshl_add_u32 v12, v19, 23, v12
	s_delay_alu instid0(VALU_DEP_1) | instskip(NEXT) | instid1(VALU_DEP_1)
	v_lshl_or_b32 v12, v13, 21, v12
                                        ; implicit-def: $vgpr13
	v_add_nc_u32_e32 v19, 0x38000000, v12
.LBB6_6493:                             ;   in Loop: Header=BB6_5167 Depth=3
	s_and_not1_saveexec_b32 s72, s13
; %bb.6494:                             ;   in Loop: Header=BB6_5167 Depth=3
	v_cmp_lt_i16_e64 s13, -1, v14
	v_mov_b32_e32 v12, 0x7f800000
	v_cmp_eq_u32_e32 vcc_lo, 0, v13
	s_delay_alu instid0(VALU_DEP_2) | instskip(NEXT) | instid1(VALU_DEP_1)
	v_cndmask_b32_e64 v12, 0xff800000, v12, s13
	v_cndmask_b32_e32 v19, 0x7f800001, v12, vcc_lo
; %bb.6495:                             ;   in Loop: Header=BB6_5167 Depth=3
	s_or_b32 exec_lo, exec_lo, s72
.LBB6_6496:                             ;   in Loop: Header=BB6_5167 Depth=3
	s_delay_alu instid0(SALU_CYCLE_1)
	s_or_b32 exec_lo, exec_lo, s43
.LBB6_6497:                             ;   in Loop: Header=BB6_5167 Depth=3
	s_delay_alu instid0(SALU_CYCLE_1) | instskip(SKIP_2) | instid1(VALU_DEP_1)
	s_or_b32 exec_lo, exec_lo, s42
	v_lshrrev_b16 v12, 8, v4
	s_mov_b32 s42, exec_lo
	v_cmpx_ne_u16_e32 0, v12
	s_cbranch_execz .LBB6_6507
; %bb.6498:                             ;   in Loop: Header=BB6_5167 Depth=3
	v_bfrev_b32_e32 v18, 1
	s_mov_b32 s43, exec_lo
	v_cmpx_ne_u16_e32 0x80, v12
	s_cbranch_execz .LBB6_6506
; %bb.6499:                             ;   in Loop: Header=BB6_5167 Depth=3
	v_and_b32_e32 v22, 0xffff, v12
	s_delay_alu instid0(VALU_DEP_1) | instskip(SKIP_1) | instid1(VALU_DEP_2)
	v_and_b32_e32 v18, 0x7c, v22
	v_and_b32_e32 v13, 3, v22
	v_cmp_ne_u32_e32 vcc_lo, 0x7c, v18
                                        ; implicit-def: $vgpr18
	s_and_saveexec_b32 s13, vcc_lo
	s_delay_alu instid0(SALU_CYCLE_1)
	s_xor_b32 s13, exec_lo, s13
	s_cbranch_execz .LBB6_6503
; %bb.6500:                             ;   in Loop: Header=BB6_5167 Depth=3
	v_bfe_u32 v18, v22, 2, 5
	s_mov_b32 s72, exec_lo
	s_delay_alu instid0(VALU_DEP_1)
	v_cmpx_eq_u32_e32 0, v18
	s_cbranch_execz .LBB6_6502
; %bb.6501:                             ;   in Loop: Header=BB6_5167 Depth=3
	v_clz_i32_u32_e32 v13, v13
	s_delay_alu instid0(VALU_DEP_1) | instskip(SKIP_1) | instid1(VALU_DEP_2)
	v_min_u32_e32 v18, 32, v13
	v_mov_b32_e32 v13, v21
	v_subrev_nc_u32_e32 v22, 29, v18
	v_sub_nc_u32_e32 v18, 30, v18
	s_delay_alu instid0(VALU_DEP_2) | instskip(NEXT) | instid1(VALU_DEP_1)
	v_lshlrev_b64_e32 v[12:13], v22, v[12:13]
	v_and_b32_e32 v13, 3, v12
.LBB6_6502:                             ;   in Loop: Header=BB6_5167 Depth=3
	s_or_b32 exec_lo, exec_lo, s72
	v_lshlrev_b32_e32 v12, 16, v4
	s_delay_alu instid0(VALU_DEP_1) | instskip(NEXT) | instid1(VALU_DEP_1)
	v_and_b32_e32 v12, 0x80000000, v12
	v_lshl_add_u32 v12, v18, 23, v12
	s_delay_alu instid0(VALU_DEP_1) | instskip(NEXT) | instid1(VALU_DEP_1)
	v_lshl_or_b32 v12, v13, 21, v12
                                        ; implicit-def: $vgpr13
	v_add_nc_u32_e32 v18, 0x38000000, v12
.LBB6_6503:                             ;   in Loop: Header=BB6_5167 Depth=3
	s_and_not1_saveexec_b32 s72, s13
; %bb.6504:                             ;   in Loop: Header=BB6_5167 Depth=3
	v_cmp_lt_i16_e64 s13, -1, v4
	v_mov_b32_e32 v12, 0x7f800000
	v_cmp_eq_u32_e32 vcc_lo, 0, v13
	s_delay_alu instid0(VALU_DEP_2) | instskip(NEXT) | instid1(VALU_DEP_1)
	v_cndmask_b32_e64 v12, 0xff800000, v12, s13
	v_cndmask_b32_e32 v18, 0x7f800001, v12, vcc_lo
; %bb.6505:                             ;   in Loop: Header=BB6_5167 Depth=3
	s_or_b32 exec_lo, exec_lo, s72
.LBB6_6506:                             ;   in Loop: Header=BB6_5167 Depth=3
	s_delay_alu instid0(SALU_CYCLE_1)
	s_or_b32 exec_lo, exec_lo, s43
.LBB6_6507:                             ;   in Loop: Header=BB6_5167 Depth=3
	s_delay_alu instid0(SALU_CYCLE_1) | instskip(NEXT) | instid1(VALU_DEP_1)
	s_or_b32 exec_lo, exec_lo, s42
	v_dual_mul_f32 v18, v19, v18 :: v_dual_mov_b32 v23, v21
	v_mov_b32_e32 v13, v21
                                        ; implicit-def: $vgpr34
	s_mov_b32 s13, exec_lo
	s_delay_alu instid0(VALU_DEP_2) | instskip(SKIP_2) | instid1(VALU_DEP_3)
	v_and_b32_e32 v22, 0x7f800000, v18
	v_and_b32_e32 v12, 0x7fffff, v18
	v_lshrrev_b32_e32 v19, 24, v18
	v_cmpx_ne_u64_e32 0x7f800000, v[22:23]
	s_xor_b32 s42, exec_lo, s13
	s_cbranch_execz .LBB6_6521
; %bb.6508:                             ;   in Loop: Header=BB6_5167 Depth=3
	v_and_b32_e32 v22, 0x7fffffff, v18
	v_mov_b32_e32 v23, v21
                                        ; implicit-def: $vgpr34
	s_delay_alu instid0(VALU_DEP_1) | instskip(SKIP_2) | instid1(SALU_CYCLE_1)
	v_cmp_gt_u64_e32 vcc_lo, 0x47600001, v[22:23]
	v_and_b32_e32 v22, 0x80, v19
	s_and_saveexec_b32 s13, vcc_lo
	s_xor_b32 s43, exec_lo, s13
	s_cbranch_execz .LBB6_6518
; %bb.6509:                             ;   in Loop: Header=BB6_5167 Depth=3
	v_mov_b32_e32 v34, 0
	s_mov_b32 s72, exec_lo
	v_cmpx_ne_u32_e32 0, v18
	s_cbranch_execz .LBB6_6517
; %bb.6510:                             ;   in Loop: Header=BB6_5167 Depth=3
	v_bfe_u32 v23, v18, 23, 8
	v_or_b32_e32 v19, 0x800000, v12
	s_delay_alu instid0(VALU_DEP_2) | instskip(SKIP_2) | instid1(VALU_DEP_2)
	v_cmp_gt_u32_e64 s13, 0x72, v23
	v_sub_nc_u32_e32 v18, 0x71, v23
	v_cmp_eq_u32_e32 vcc_lo, 0, v23
	v_dual_cndmask_b32 v18, 0, v18, s13 :: v_dual_cndmask_b32 v12, v19, v12, vcc_lo
	s_delay_alu instid0(VALU_DEP_1) | instskip(NEXT) | instid1(VALU_DEP_1)
	v_cndmask_b32_e64 v34, v18, 0x70, vcc_lo
	v_dual_add_nc_u32 v18, 21, v34 :: v_dual_add_nc_u32 v35, 20, v34
	s_delay_alu instid0(VALU_DEP_1) | instskip(NEXT) | instid1(VALU_DEP_2)
	v_lshlrev_b64_e64 v[18:19], v18, -1
	v_lshlrev_b64_e64 v[84:85], v35, 1
	s_delay_alu instid0(VALU_DEP_2) | instskip(SKIP_1) | instid1(VALU_DEP_4)
	v_bfi_b32 v18, v18, 0, v12
	v_lshrrev_b64 v[12:13], v34, v[12:13]
	v_bfi_b32 v19, v19, 0, 0
	s_delay_alu instid0(VALU_DEP_1) | instskip(NEXT) | instid1(VALU_DEP_3)
	v_cmp_eq_u64_e64 s13, v[18:19], v[84:85]
	v_mov_b64_e32 v[18:19], v[12:13]
	s_and_saveexec_b32 s73, s13
; %bb.6511:                             ;   in Loop: Header=BB6_5167 Depth=3
	v_bfe_u32 v18, v12, 21, 1
	v_mov_b32_e32 v19, v21
	s_delay_alu instid0(VALU_DEP_1) | instskip(NEXT) | instid1(VALU_DEP_1)
	v_add_nc_u64_e32 v[18:19], v[12:13], v[18:19]
	v_add_nc_u64_e32 v[18:19], -1, v[18:19]
; %bb.6512:                             ;   in Loop: Header=BB6_5167 Depth=3
	s_or_b32 exec_lo, exec_lo, s73
	v_add_nc_u32_e32 v13, 0xffffff81, v23
	v_lshrrev_b32_e32 v19, 23, v12
	s_mov_b32 s13, exec_lo
	s_delay_alu instid0(VALU_DEP_2) | instskip(NEXT) | instid1(VALU_DEP_1)
	v_cndmask_b32_e64 v13, v13, 0xffffff82, vcc_lo
	v_add3_u32 v23, v34, v13, v19
	v_and_b32_e32 v13, 0x1fffff, v18
                                        ; implicit-def: $vgpr18
	s_delay_alu instid0(VALU_DEP_1) | instskip(SKIP_1) | instid1(VALU_DEP_2)
	v_dual_add_nc_u32 v19, 14, v23 :: v_dual_add_nc_u32 v12, v13, v12
	v_mov_b32_e32 v13, v21
	v_cmpx_ne_u32_e32 0, v19
	s_xor_b32 s13, exec_lo, s13
; %bb.6513:                             ;   in Loop: Header=BB6_5167 Depth=3
	s_delay_alu instid0(VALU_DEP_2) | instskip(SKIP_1) | instid1(VALU_DEP_1)
	v_cmp_lt_u64_e32 vcc_lo, 0xffffff, v[12:13]
	v_add_nc_u32_e32 v18, 15, v23
	v_cndmask_b32_e32 v18, v19, v18, vcc_lo
	v_cndmask_b32_e64 v19, 0, 1, vcc_lo
	s_delay_alu instid0(VALU_DEP_1)
	v_lshrrev_b64 v[12:13], v19, v[12:13]
; %bb.6514:                             ;   in Loop: Header=BB6_5167 Depth=3
	s_and_not1_saveexec_b32 s13, s13
; %bb.6515:                             ;   in Loop: Header=BB6_5167 Depth=3
	s_delay_alu instid0(VALU_DEP_1)
	v_bfe_u32 v18, v12, 23, 1
; %bb.6516:                             ;   in Loop: Header=BB6_5167 Depth=3
	s_or_b32 exec_lo, exec_lo, s13
	s_delay_alu instid0(VALU_DEP_2) | instskip(NEXT) | instid1(VALU_DEP_2)
	v_lshrrev_b64 v[12:13], 21, v[12:13]
	v_cmp_gt_i32_e32 vcc_lo, 32, v18
	v_min_i32_e32 v19, 31, v18
	v_cmp_eq_u32_e64 s13, 0, v18
	s_delay_alu instid0(VALU_DEP_2) | instskip(SKIP_1) | instid1(VALU_DEP_2)
	v_dual_cndmask_b32 v13, 0, v13, vcc_lo :: v_dual_lshlrev_b32 v19, 2, v19
	v_cndmask_b32_e32 v12, 3, v12, vcc_lo
	v_and_b32_e32 v19, 0xfc, v19
	s_delay_alu instid0(VALU_DEP_2) | instskip(NEXT) | instid1(VALU_DEP_2)
	v_cmp_eq_u64_e32 vcc_lo, 0, v[12:13]
	v_and_or_b32 v12, v12, 3, v19
	s_and_b32 s13, s13, vcc_lo
	s_delay_alu instid0(VALU_DEP_1) | instid1(SALU_CYCLE_1)
	v_cndmask_b32_e64 v12, v12, 0, s13
	s_delay_alu instid0(VALU_DEP_1)
	v_or_b32_e32 v34, v12, v22
.LBB6_6517:                             ;   in Loop: Header=BB6_5167 Depth=3
	s_or_b32 exec_lo, exec_lo, s72
                                        ; implicit-def: $vgpr22
.LBB6_6518:                             ;   in Loop: Header=BB6_5167 Depth=3
	s_and_not1_saveexec_b32 s13, s43
; %bb.6519:                             ;   in Loop: Header=BB6_5167 Depth=3
	v_or_b32_e32 v34, 0x7b, v22
; %bb.6520:                             ;   in Loop: Header=BB6_5167 Depth=3
	s_or_b32 exec_lo, exec_lo, s13
                                        ; implicit-def: $vgpr18
                                        ; implicit-def: $vgpr12_vgpr13
                                        ; implicit-def: $vgpr19
.LBB6_6521:                             ;   in Loop: Header=BB6_5167 Depth=3
	s_and_not1_saveexec_b32 s13, s42
	s_cbranch_execz .LBB6_6527
; %bb.6522:                             ;   in Loop: Header=BB6_5167 Depth=3
	s_mov_b32 s42, exec_lo
                                        ; implicit-def: $vgpr34
	v_cmpx_ne_u64_e32 0, v[12:13]
	s_xor_b32 s42, exec_lo, s42
; %bb.6523:                             ;   in Loop: Header=BB6_5167 Depth=3
	v_or_b32_e32 v34, 0x7f, v19
                                        ; implicit-def: $vgpr18
; %bb.6524:                             ;   in Loop: Header=BB6_5167 Depth=3
	s_and_not1_saveexec_b32 s42, s42
; %bb.6525:                             ;   in Loop: Header=BB6_5167 Depth=3
	v_cmp_lt_i32_e32 vcc_lo, -1, v18
	v_mov_b32_e32 v12, 0x7c
	s_delay_alu instid0(VALU_DEP_1)
	v_cndmask_b32_e32 v34, 0xfc, v12, vcc_lo
; %bb.6526:                             ;   in Loop: Header=BB6_5167 Depth=3
	s_or_b32 exec_lo, exec_lo, s42
.LBB6_6527:                             ;   in Loop: Header=BB6_5167 Depth=3
	s_delay_alu instid0(SALU_CYCLE_1) | instskip(SKIP_3) | instid1(VALU_DEP_2)
	s_or_b32 exec_lo, exec_lo, s13
	v_dual_mov_b32 v13, 0 :: v_dual_lshrrev_b32 v12, 16, v14
	v_mov_b32_e32 v18, 0
	s_mov_b32 s42, exec_lo
	v_and_b32_e32 v19, 0xff, v12
	s_delay_alu instid0(VALU_DEP_1)
	v_cmpx_ne_u16_e32 0, v19
	s_cbranch_execz .LBB6_6537
; %bb.6528:                             ;   in Loop: Header=BB6_5167 Depth=3
	v_bfrev_b32_e32 v18, 1
	s_mov_b32 s43, exec_lo
	v_cmpx_ne_u16_e32 0x80, v19
	s_cbranch_execz .LBB6_6536
; %bb.6529:                             ;   in Loop: Header=BB6_5167 Depth=3
	v_and_b32_e32 v18, 0x7c0000, v14
	v_bfe_u32 v19, v14, 16, 2
	s_delay_alu instid0(VALU_DEP_2) | instskip(SKIP_1) | instid1(SALU_CYCLE_1)
	v_cmp_ne_u32_e32 vcc_lo, 0x7c0000, v18
                                        ; implicit-def: $vgpr18
	s_and_saveexec_b32 s13, vcc_lo
	s_xor_b32 s13, exec_lo, s13
	s_cbranch_execz .LBB6_6533
; %bb.6530:                             ;   in Loop: Header=BB6_5167 Depth=3
	v_bfe_u32 v18, v14, 18, 5
	s_mov_b32 s72, exec_lo
	s_delay_alu instid0(VALU_DEP_1)
	v_cmpx_eq_u32_e32 0, v18
; %bb.6531:                             ;   in Loop: Header=BB6_5167 Depth=3
	v_clz_i32_u32_e32 v18, v19
	s_delay_alu instid0(VALU_DEP_1) | instskip(NEXT) | instid1(VALU_DEP_1)
	v_min_u32_e32 v18, 32, v18
	v_subrev_nc_u32_e32 v19, 29, v18
	v_sub_nc_u32_e32 v18, 30, v18
	s_delay_alu instid0(VALU_DEP_2) | instskip(NEXT) | instid1(VALU_DEP_1)
	v_lshlrev_b64_e32 v[22:23], v19, v[12:13]
	v_and_b32_e32 v19, 3, v22
; %bb.6532:                             ;   in Loop: Header=BB6_5167 Depth=3
	s_or_b32 exec_lo, exec_lo, s72
	v_lshlrev_b32_e32 v12, 24, v12
	s_delay_alu instid0(VALU_DEP_1) | instskip(NEXT) | instid1(VALU_DEP_1)
	v_and_b32_e32 v12, 0x80000000, v12
	v_lshl_add_u32 v12, v18, 23, v12
	s_delay_alu instid0(VALU_DEP_1) | instskip(NEXT) | instid1(VALU_DEP_1)
	v_lshl_or_b32 v12, v19, 21, v12
                                        ; implicit-def: $vgpr19
	v_add_nc_u32_e32 v18, 0x38000000, v12
                                        ; implicit-def: $vgpr12
.LBB6_6533:                             ;   in Loop: Header=BB6_5167 Depth=3
	s_and_not1_saveexec_b32 s72, s13
; %bb.6534:                             ;   in Loop: Header=BB6_5167 Depth=3
	v_bfe_i32 v12, v12, 0, 8
	v_cmp_eq_u32_e32 vcc_lo, 0, v19
	s_delay_alu instid0(VALU_DEP_2) | instskip(SKIP_1) | instid1(VALU_DEP_1)
	v_cmp_lt_i16_e64 s13, -1, v12
	v_mov_b32_e32 v12, 0x7f800000
	v_cndmask_b32_e64 v12, 0xff800000, v12, s13
	s_delay_alu instid0(VALU_DEP_1)
	v_cndmask_b32_e32 v18, 0x7f800001, v12, vcc_lo
; %bb.6535:                             ;   in Loop: Header=BB6_5167 Depth=3
	s_or_b32 exec_lo, exec_lo, s72
.LBB6_6536:                             ;   in Loop: Header=BB6_5167 Depth=3
	s_delay_alu instid0(SALU_CYCLE_1)
	s_or_b32 exec_lo, exec_lo, s43
.LBB6_6537:                             ;   in Loop: Header=BB6_5167 Depth=3
	s_delay_alu instid0(SALU_CYCLE_1) | instskip(SKIP_2) | instid1(VALU_DEP_1)
	s_or_b32 exec_lo, exec_lo, s42
	v_lshrrev_b32_e32 v12, 16, v4
	s_mov_b32 s42, exec_lo
	v_and_b32_e32 v19, 0xff, v12
	s_delay_alu instid0(VALU_DEP_1)
	v_cmpx_ne_u16_e32 0, v19
	s_cbranch_execz .LBB6_6547
; %bb.6538:                             ;   in Loop: Header=BB6_5167 Depth=3
	v_bfrev_b32_e32 v13, 1
	s_mov_b32 s43, exec_lo
	v_cmpx_ne_u16_e32 0x80, v19
	s_cbranch_execz .LBB6_6546
; %bb.6539:                             ;   in Loop: Header=BB6_5167 Depth=3
	v_and_b32_e32 v13, 0x7c0000, v4
	v_bfe_u32 v19, v4, 16, 2
	s_delay_alu instid0(VALU_DEP_2) | instskip(SKIP_1) | instid1(SALU_CYCLE_1)
	v_cmp_ne_u32_e32 vcc_lo, 0x7c0000, v13
                                        ; implicit-def: $vgpr13
	s_and_saveexec_b32 s13, vcc_lo
	s_xor_b32 s13, exec_lo, s13
	s_cbranch_execz .LBB6_6543
; %bb.6540:                             ;   in Loop: Header=BB6_5167 Depth=3
	v_bfe_u32 v13, v4, 18, 5
	s_mov_b32 s72, exec_lo
	s_delay_alu instid0(VALU_DEP_1)
	v_cmpx_eq_u32_e32 0, v13
; %bb.6541:                             ;   in Loop: Header=BB6_5167 Depth=3
	v_clz_i32_u32_e32 v13, v19
	s_delay_alu instid0(VALU_DEP_1) | instskip(NEXT) | instid1(VALU_DEP_1)
	v_min_u32_e32 v13, 32, v13
	v_subrev_nc_u32_e32 v19, 29, v13
	s_delay_alu instid0(VALU_DEP_1) | instskip(NEXT) | instid1(VALU_DEP_1)
	v_lshlrev_b64_e32 v[22:23], v19, v[12:13]
	v_dual_sub_nc_u32 v13, 30, v13 :: v_dual_bitop2_b32 v19, 3, v22 bitop3:0x40
; %bb.6542:                             ;   in Loop: Header=BB6_5167 Depth=3
	s_or_b32 exec_lo, exec_lo, s72
	v_lshlrev_b32_e32 v12, 24, v12
	s_delay_alu instid0(VALU_DEP_1) | instskip(NEXT) | instid1(VALU_DEP_1)
	v_and_b32_e32 v12, 0x80000000, v12
	v_lshl_add_u32 v12, v13, 23, v12
	s_delay_alu instid0(VALU_DEP_1) | instskip(NEXT) | instid1(VALU_DEP_1)
	v_lshl_or_b32 v12, v19, 21, v12
                                        ; implicit-def: $vgpr19
	v_add_nc_u32_e32 v13, 0x38000000, v12
                                        ; implicit-def: $vgpr12
.LBB6_6543:                             ;   in Loop: Header=BB6_5167 Depth=3
	s_and_not1_saveexec_b32 s72, s13
; %bb.6544:                             ;   in Loop: Header=BB6_5167 Depth=3
	v_bfe_i32 v12, v12, 0, 8
	v_cmp_eq_u32_e32 vcc_lo, 0, v19
	s_delay_alu instid0(VALU_DEP_2) | instskip(SKIP_1) | instid1(VALU_DEP_1)
	v_cmp_lt_i16_e64 s13, -1, v12
	v_mov_b32_e32 v12, 0x7f800000
	v_cndmask_b32_e64 v12, 0xff800000, v12, s13
	s_delay_alu instid0(VALU_DEP_1)
	v_cndmask_b32_e32 v13, 0x7f800001, v12, vcc_lo
; %bb.6545:                             ;   in Loop: Header=BB6_5167 Depth=3
	s_or_b32 exec_lo, exec_lo, s72
.LBB6_6546:                             ;   in Loop: Header=BB6_5167 Depth=3
	s_delay_alu instid0(SALU_CYCLE_1)
	s_or_b32 exec_lo, exec_lo, s43
.LBB6_6547:                             ;   in Loop: Header=BB6_5167 Depth=3
	s_delay_alu instid0(SALU_CYCLE_1) | instskip(NEXT) | instid1(VALU_DEP_1)
	s_or_b32 exec_lo, exec_lo, s42
	v_dual_mul_f32 v18, v18, v13 :: v_dual_mov_b32 v23, v21
	v_mov_b32_e32 v13, v21
                                        ; implicit-def: $vgpr35
	s_mov_b32 s13, exec_lo
	s_delay_alu instid0(VALU_DEP_2) | instskip(SKIP_2) | instid1(VALU_DEP_3)
	v_and_b32_e32 v22, 0x7f800000, v18
	v_and_b32_e32 v12, 0x7fffff, v18
	v_lshrrev_b32_e32 v19, 24, v18
	v_cmpx_ne_u64_e32 0x7f800000, v[22:23]
	s_xor_b32 s42, exec_lo, s13
	s_cbranch_execz .LBB6_6561
; %bb.6548:                             ;   in Loop: Header=BB6_5167 Depth=3
	v_and_b32_e32 v22, 0x7fffffff, v18
	v_mov_b32_e32 v23, v21
                                        ; implicit-def: $vgpr35
	s_delay_alu instid0(VALU_DEP_1) | instskip(SKIP_2) | instid1(SALU_CYCLE_1)
	v_cmp_gt_u64_e32 vcc_lo, 0x47600001, v[22:23]
	v_and_b32_e32 v22, 0x80, v19
	s_and_saveexec_b32 s13, vcc_lo
	s_xor_b32 s43, exec_lo, s13
	s_cbranch_execz .LBB6_6558
; %bb.6549:                             ;   in Loop: Header=BB6_5167 Depth=3
	v_mov_b32_e32 v35, 0
	s_mov_b32 s72, exec_lo
	v_cmpx_ne_u32_e32 0, v18
	s_cbranch_execz .LBB6_6557
; %bb.6550:                             ;   in Loop: Header=BB6_5167 Depth=3
	v_bfe_u32 v23, v18, 23, 8
	v_or_b32_e32 v19, 0x800000, v12
	s_delay_alu instid0(VALU_DEP_2) | instskip(SKIP_2) | instid1(VALU_DEP_2)
	v_cmp_gt_u32_e64 s13, 0x72, v23
	v_sub_nc_u32_e32 v18, 0x71, v23
	v_cmp_eq_u32_e32 vcc_lo, 0, v23
	v_dual_cndmask_b32 v18, 0, v18, s13 :: v_dual_cndmask_b32 v12, v19, v12, vcc_lo
	s_delay_alu instid0(VALU_DEP_1) | instskip(NEXT) | instid1(VALU_DEP_1)
	v_cndmask_b32_e64 v35, v18, 0x70, vcc_lo
	v_dual_add_nc_u32 v18, 21, v35 :: v_dual_add_nc_u32 v84, 20, v35
	s_delay_alu instid0(VALU_DEP_1) | instskip(NEXT) | instid1(VALU_DEP_2)
	v_lshlrev_b64_e64 v[18:19], v18, -1
	v_lshlrev_b64_e64 v[84:85], v84, 1
	s_delay_alu instid0(VALU_DEP_2) | instskip(SKIP_1) | instid1(VALU_DEP_4)
	v_bfi_b32 v18, v18, 0, v12
	v_lshrrev_b64 v[12:13], v35, v[12:13]
	v_bfi_b32 v19, v19, 0, 0
	s_delay_alu instid0(VALU_DEP_1) | instskip(NEXT) | instid1(VALU_DEP_3)
	v_cmp_eq_u64_e64 s13, v[18:19], v[84:85]
	v_mov_b64_e32 v[18:19], v[12:13]
	s_and_saveexec_b32 s73, s13
; %bb.6551:                             ;   in Loop: Header=BB6_5167 Depth=3
	v_bfe_u32 v18, v12, 21, 1
	v_mov_b32_e32 v19, v21
	s_delay_alu instid0(VALU_DEP_1) | instskip(NEXT) | instid1(VALU_DEP_1)
	v_add_nc_u64_e32 v[18:19], v[12:13], v[18:19]
	v_add_nc_u64_e32 v[18:19], -1, v[18:19]
; %bb.6552:                             ;   in Loop: Header=BB6_5167 Depth=3
	s_or_b32 exec_lo, exec_lo, s73
	v_add_nc_u32_e32 v13, 0xffffff81, v23
	v_lshrrev_b32_e32 v19, 23, v12
	s_mov_b32 s13, exec_lo
	s_delay_alu instid0(VALU_DEP_2) | instskip(NEXT) | instid1(VALU_DEP_1)
	v_cndmask_b32_e64 v13, v13, 0xffffff82, vcc_lo
	v_add3_u32 v23, v35, v13, v19
	v_and_b32_e32 v13, 0x1fffff, v18
                                        ; implicit-def: $vgpr18
	s_delay_alu instid0(VALU_DEP_1) | instskip(SKIP_1) | instid1(VALU_DEP_2)
	v_dual_add_nc_u32 v19, 14, v23 :: v_dual_add_nc_u32 v12, v13, v12
	v_mov_b32_e32 v13, v21
	v_cmpx_ne_u32_e32 0, v19
	s_xor_b32 s13, exec_lo, s13
; %bb.6553:                             ;   in Loop: Header=BB6_5167 Depth=3
	s_delay_alu instid0(VALU_DEP_2) | instskip(SKIP_1) | instid1(VALU_DEP_1)
	v_cmp_lt_u64_e32 vcc_lo, 0xffffff, v[12:13]
	v_add_nc_u32_e32 v18, 15, v23
	v_cndmask_b32_e32 v18, v19, v18, vcc_lo
	v_cndmask_b32_e64 v19, 0, 1, vcc_lo
	s_delay_alu instid0(VALU_DEP_1)
	v_lshrrev_b64 v[12:13], v19, v[12:13]
; %bb.6554:                             ;   in Loop: Header=BB6_5167 Depth=3
	s_and_not1_saveexec_b32 s13, s13
; %bb.6555:                             ;   in Loop: Header=BB6_5167 Depth=3
	s_delay_alu instid0(VALU_DEP_1)
	v_bfe_u32 v18, v12, 23, 1
; %bb.6556:                             ;   in Loop: Header=BB6_5167 Depth=3
	s_or_b32 exec_lo, exec_lo, s13
	s_delay_alu instid0(VALU_DEP_2) | instskip(NEXT) | instid1(VALU_DEP_2)
	v_lshrrev_b64 v[12:13], 21, v[12:13]
	v_cmp_gt_i32_e32 vcc_lo, 32, v18
	v_min_i32_e32 v19, 31, v18
	v_cmp_eq_u32_e64 s13, 0, v18
	s_delay_alu instid0(VALU_DEP_2) | instskip(SKIP_1) | instid1(VALU_DEP_2)
	v_dual_cndmask_b32 v13, 0, v13, vcc_lo :: v_dual_lshlrev_b32 v19, 2, v19
	v_cndmask_b32_e32 v12, 3, v12, vcc_lo
	v_and_b32_e32 v19, 0xfc, v19
	s_delay_alu instid0(VALU_DEP_2) | instskip(NEXT) | instid1(VALU_DEP_2)
	v_cmp_eq_u64_e32 vcc_lo, 0, v[12:13]
	v_and_or_b32 v12, v12, 3, v19
	s_and_b32 s13, s13, vcc_lo
	s_delay_alu instid0(VALU_DEP_1) | instid1(SALU_CYCLE_1)
	v_cndmask_b32_e64 v12, v12, 0, s13
	s_delay_alu instid0(VALU_DEP_1)
	v_or_b32_e32 v35, v12, v22
.LBB6_6557:                             ;   in Loop: Header=BB6_5167 Depth=3
	s_or_b32 exec_lo, exec_lo, s72
                                        ; implicit-def: $vgpr22
.LBB6_6558:                             ;   in Loop: Header=BB6_5167 Depth=3
	s_and_not1_saveexec_b32 s13, s43
; %bb.6559:                             ;   in Loop: Header=BB6_5167 Depth=3
	v_or_b32_e32 v35, 0x7b, v22
; %bb.6560:                             ;   in Loop: Header=BB6_5167 Depth=3
	s_or_b32 exec_lo, exec_lo, s13
                                        ; implicit-def: $vgpr18
                                        ; implicit-def: $vgpr12_vgpr13
                                        ; implicit-def: $vgpr19
.LBB6_6561:                             ;   in Loop: Header=BB6_5167 Depth=3
	s_and_not1_saveexec_b32 s13, s42
	s_cbranch_execz .LBB6_6567
; %bb.6562:                             ;   in Loop: Header=BB6_5167 Depth=3
	s_mov_b32 s42, exec_lo
                                        ; implicit-def: $vgpr35
	v_cmpx_ne_u64_e32 0, v[12:13]
	s_xor_b32 s42, exec_lo, s42
; %bb.6563:                             ;   in Loop: Header=BB6_5167 Depth=3
	v_or_b32_e32 v35, 0x7f, v19
                                        ; implicit-def: $vgpr18
; %bb.6564:                             ;   in Loop: Header=BB6_5167 Depth=3
	s_and_not1_saveexec_b32 s42, s42
; %bb.6565:                             ;   in Loop: Header=BB6_5167 Depth=3
	v_cmp_lt_i32_e32 vcc_lo, -1, v18
	v_mov_b32_e32 v12, 0x7c
	s_delay_alu instid0(VALU_DEP_1)
	v_cndmask_b32_e32 v35, 0xfc, v12, vcc_lo
; %bb.6566:                             ;   in Loop: Header=BB6_5167 Depth=3
	s_or_b32 exec_lo, exec_lo, s42
.LBB6_6567:                             ;   in Loop: Header=BB6_5167 Depth=3
	s_delay_alu instid0(SALU_CYCLE_1)
	s_or_b32 exec_lo, exec_lo, s13
	v_dual_mov_b32 v13, 0 :: v_dual_mov_b32 v18, 0
	s_mov_b32 s42, exec_lo
	v_cmpx_lt_u32_e32 0xffffff, v14
	s_cbranch_execz .LBB6_6577
; %bb.6568:                             ;   in Loop: Header=BB6_5167 Depth=3
	v_lshrrev_b32_e32 v12, 24, v14
	v_bfrev_b32_e32 v18, 1
	s_mov_b32 s43, exec_lo
	s_delay_alu instid0(VALU_DEP_2)
	v_cmpx_ne_u32_e32 0x80, v12
	s_cbranch_execz .LBB6_6576
; %bb.6569:                             ;   in Loop: Header=BB6_5167 Depth=3
	v_and_b32_e32 v18, 0x7c000000, v14
	v_bfe_u32 v19, v14, 24, 2
	s_delay_alu instid0(VALU_DEP_2) | instskip(SKIP_1) | instid1(SALU_CYCLE_1)
	v_cmp_ne_u32_e32 vcc_lo, 0x7c000000, v18
                                        ; implicit-def: $vgpr18
	s_and_saveexec_b32 s13, vcc_lo
	s_xor_b32 s13, exec_lo, s13
	s_cbranch_execz .LBB6_6573
; %bb.6570:                             ;   in Loop: Header=BB6_5167 Depth=3
	v_bfe_u32 v18, v14, 26, 5
	s_mov_b32 s72, exec_lo
	s_delay_alu instid0(VALU_DEP_1)
	v_cmpx_eq_u32_e32 0, v18
; %bb.6571:                             ;   in Loop: Header=BB6_5167 Depth=3
	v_clz_i32_u32_e32 v18, v19
	s_delay_alu instid0(VALU_DEP_1) | instskip(NEXT) | instid1(VALU_DEP_1)
	v_min_u32_e32 v18, 32, v18
	v_subrev_nc_u32_e32 v19, 29, v18
	v_sub_nc_u32_e32 v18, 30, v18
	s_delay_alu instid0(VALU_DEP_2) | instskip(NEXT) | instid1(VALU_DEP_1)
	v_lshlrev_b64_e32 v[22:23], v19, v[12:13]
	v_and_b32_e32 v19, 3, v22
; %bb.6572:                             ;   in Loop: Header=BB6_5167 Depth=3
	s_or_b32 exec_lo, exec_lo, s72
	v_and_b32_e32 v12, 0x80000000, v14
	s_delay_alu instid0(VALU_DEP_1) | instskip(NEXT) | instid1(VALU_DEP_1)
	v_lshl_add_u32 v12, v18, 23, v12
	v_lshl_or_b32 v12, v19, 21, v12
                                        ; implicit-def: $vgpr19
	s_delay_alu instid0(VALU_DEP_1)
	v_add_nc_u32_e32 v18, 0x38000000, v12
.LBB6_6573:                             ;   in Loop: Header=BB6_5167 Depth=3
	s_and_not1_saveexec_b32 s72, s13
; %bb.6574:                             ;   in Loop: Header=BB6_5167 Depth=3
	v_cmp_lt_i32_e64 s13, -1, v14
	v_mov_b32_e32 v12, 0x7f800000
	v_cmp_eq_u32_e32 vcc_lo, 0, v19
	s_delay_alu instid0(VALU_DEP_2) | instskip(NEXT) | instid1(VALU_DEP_1)
	v_cndmask_b32_e64 v12, 0xff800000, v12, s13
	v_cndmask_b32_e32 v18, 0x7f800001, v12, vcc_lo
; %bb.6575:                             ;   in Loop: Header=BB6_5167 Depth=3
	s_or_b32 exec_lo, exec_lo, s72
.LBB6_6576:                             ;   in Loop: Header=BB6_5167 Depth=3
	s_delay_alu instid0(SALU_CYCLE_1)
	s_or_b32 exec_lo, exec_lo, s43
.LBB6_6577:                             ;   in Loop: Header=BB6_5167 Depth=3
	s_delay_alu instid0(SALU_CYCLE_1) | instskip(NEXT) | instid1(SALU_CYCLE_1)
	s_or_b32 exec_lo, exec_lo, s42
	s_mov_b32 s42, exec_lo
	v_cmpx_lt_u32_e32 0xffffff, v4
	s_cbranch_execz .LBB6_6587
; %bb.6578:                             ;   in Loop: Header=BB6_5167 Depth=3
	v_lshrrev_b32_e32 v12, 24, v4
	v_bfrev_b32_e32 v13, 1
	s_mov_b32 s43, exec_lo
	s_delay_alu instid0(VALU_DEP_2)
	v_cmpx_ne_u32_e32 0x80, v12
	s_cbranch_execz .LBB6_6586
; %bb.6579:                             ;   in Loop: Header=BB6_5167 Depth=3
	v_and_b32_e32 v13, 0x7c000000, v4
	v_bfe_u32 v19, v4, 24, 2
	s_delay_alu instid0(VALU_DEP_2) | instskip(SKIP_1) | instid1(SALU_CYCLE_1)
	v_cmp_ne_u32_e32 vcc_lo, 0x7c000000, v13
                                        ; implicit-def: $vgpr13
	s_and_saveexec_b32 s13, vcc_lo
	s_xor_b32 s13, exec_lo, s13
	s_cbranch_execz .LBB6_6583
; %bb.6580:                             ;   in Loop: Header=BB6_5167 Depth=3
	v_bfe_u32 v13, v4, 26, 5
	s_mov_b32 s72, exec_lo
	s_delay_alu instid0(VALU_DEP_1)
	v_cmpx_eq_u32_e32 0, v13
; %bb.6581:                             ;   in Loop: Header=BB6_5167 Depth=3
	v_clz_i32_u32_e32 v13, v19
	s_delay_alu instid0(VALU_DEP_1) | instskip(NEXT) | instid1(VALU_DEP_1)
	v_min_u32_e32 v19, 32, v13
	v_subrev_nc_u32_e32 v13, 29, v19
	s_delay_alu instid0(VALU_DEP_1) | instskip(NEXT) | instid1(VALU_DEP_1)
	v_lshlrev_b64_e32 v[12:13], v13, v[12:13]
	v_dual_sub_nc_u32 v13, 30, v19 :: v_dual_bitop2_b32 v19, 3, v12 bitop3:0x40
; %bb.6582:                             ;   in Loop: Header=BB6_5167 Depth=3
	s_or_b32 exec_lo, exec_lo, s72
	v_and_b32_e32 v12, 0x80000000, v4
	s_delay_alu instid0(VALU_DEP_1) | instskip(NEXT) | instid1(VALU_DEP_1)
	v_lshl_add_u32 v12, v13, 23, v12
	v_lshl_or_b32 v12, v19, 21, v12
                                        ; implicit-def: $vgpr19
	s_delay_alu instid0(VALU_DEP_1)
	v_add_nc_u32_e32 v13, 0x38000000, v12
.LBB6_6583:                             ;   in Loop: Header=BB6_5167 Depth=3
	s_and_not1_saveexec_b32 s72, s13
; %bb.6584:                             ;   in Loop: Header=BB6_5167 Depth=3
	v_cmp_lt_i32_e64 s13, -1, v4
	v_mov_b32_e32 v12, 0x7f800000
	v_cmp_eq_u32_e32 vcc_lo, 0, v19
	s_delay_alu instid0(VALU_DEP_2) | instskip(NEXT) | instid1(VALU_DEP_1)
	v_cndmask_b32_e64 v12, 0xff800000, v12, s13
	v_cndmask_b32_e32 v13, 0x7f800001, v12, vcc_lo
; %bb.6585:                             ;   in Loop: Header=BB6_5167 Depth=3
	s_or_b32 exec_lo, exec_lo, s72
.LBB6_6586:                             ;   in Loop: Header=BB6_5167 Depth=3
	s_delay_alu instid0(SALU_CYCLE_1)
	s_or_b32 exec_lo, exec_lo, s43
.LBB6_6587:                             ;   in Loop: Header=BB6_5167 Depth=3
	s_delay_alu instid0(SALU_CYCLE_1) | instskip(NEXT) | instid1(VALU_DEP_1)
	s_or_b32 exec_lo, exec_lo, s42
	v_dual_mul_f32 v18, v18, v13 :: v_dual_mov_b32 v23, v21
	v_mov_b32_e32 v13, v21
                                        ; implicit-def: $vgpr84
	s_mov_b32 s13, exec_lo
	s_delay_alu instid0(VALU_DEP_2) | instskip(SKIP_2) | instid1(VALU_DEP_3)
	v_and_b32_e32 v22, 0x7f800000, v18
	v_and_b32_e32 v12, 0x7fffff, v18
	v_lshrrev_b32_e32 v19, 24, v18
	v_cmpx_ne_u64_e32 0x7f800000, v[22:23]
	s_xor_b32 s42, exec_lo, s13
	s_cbranch_execz .LBB6_6601
; %bb.6588:                             ;   in Loop: Header=BB6_5167 Depth=3
	v_and_b32_e32 v22, 0x7fffffff, v18
	v_mov_b32_e32 v23, v21
                                        ; implicit-def: $vgpr84
	s_delay_alu instid0(VALU_DEP_1) | instskip(SKIP_2) | instid1(SALU_CYCLE_1)
	v_cmp_gt_u64_e32 vcc_lo, 0x47600001, v[22:23]
	v_and_b32_e32 v22, 0x80, v19
	s_and_saveexec_b32 s13, vcc_lo
	s_xor_b32 s43, exec_lo, s13
	s_cbranch_execz .LBB6_6598
; %bb.6589:                             ;   in Loop: Header=BB6_5167 Depth=3
	v_mov_b32_e32 v84, 0
	s_mov_b32 s72, exec_lo
	v_cmpx_ne_u32_e32 0, v18
	s_cbranch_execz .LBB6_6597
; %bb.6590:                             ;   in Loop: Header=BB6_5167 Depth=3
	v_bfe_u32 v23, v18, 23, 8
	v_or_b32_e32 v19, 0x800000, v12
	s_delay_alu instid0(VALU_DEP_2) | instskip(SKIP_2) | instid1(VALU_DEP_2)
	v_cmp_gt_u32_e64 s13, 0x72, v23
	v_sub_nc_u32_e32 v18, 0x71, v23
	v_cmp_eq_u32_e32 vcc_lo, 0, v23
	v_dual_cndmask_b32 v18, 0, v18, s13 :: v_dual_cndmask_b32 v12, v19, v12, vcc_lo
	s_delay_alu instid0(VALU_DEP_1) | instskip(NEXT) | instid1(VALU_DEP_1)
	v_cndmask_b32_e64 v84, v18, 0x70, vcc_lo
	v_dual_add_nc_u32 v18, 21, v84 :: v_dual_add_nc_u32 v85, 20, v84
	s_delay_alu instid0(VALU_DEP_1) | instskip(NEXT) | instid1(VALU_DEP_2)
	v_lshlrev_b64_e64 v[18:19], v18, -1
	v_lshlrev_b64_e64 v[86:87], v85, 1
	s_delay_alu instid0(VALU_DEP_2) | instskip(SKIP_1) | instid1(VALU_DEP_4)
	v_bfi_b32 v18, v18, 0, v12
	v_lshrrev_b64 v[12:13], v84, v[12:13]
	v_bfi_b32 v19, v19, 0, 0
	s_delay_alu instid0(VALU_DEP_1) | instskip(NEXT) | instid1(VALU_DEP_3)
	v_cmp_eq_u64_e64 s13, v[18:19], v[86:87]
	v_mov_b64_e32 v[18:19], v[12:13]
	s_and_saveexec_b32 s73, s13
; %bb.6591:                             ;   in Loop: Header=BB6_5167 Depth=3
	v_bfe_u32 v18, v12, 21, 1
	v_mov_b32_e32 v19, v21
	s_delay_alu instid0(VALU_DEP_1) | instskip(NEXT) | instid1(VALU_DEP_1)
	v_add_nc_u64_e32 v[18:19], v[12:13], v[18:19]
	v_add_nc_u64_e32 v[18:19], -1, v[18:19]
; %bb.6592:                             ;   in Loop: Header=BB6_5167 Depth=3
	s_or_b32 exec_lo, exec_lo, s73
	v_add_nc_u32_e32 v13, 0xffffff81, v23
	v_lshrrev_b32_e32 v19, 23, v12
	s_mov_b32 s13, exec_lo
	s_delay_alu instid0(VALU_DEP_2) | instskip(NEXT) | instid1(VALU_DEP_1)
	v_cndmask_b32_e64 v13, v13, 0xffffff82, vcc_lo
	v_add3_u32 v23, v84, v13, v19
	v_and_b32_e32 v13, 0x1fffff, v18
                                        ; implicit-def: $vgpr18
	s_delay_alu instid0(VALU_DEP_1) | instskip(SKIP_1) | instid1(VALU_DEP_2)
	v_dual_add_nc_u32 v19, 14, v23 :: v_dual_add_nc_u32 v12, v13, v12
	v_mov_b32_e32 v13, v21
	v_cmpx_ne_u32_e32 0, v19
	s_xor_b32 s13, exec_lo, s13
; %bb.6593:                             ;   in Loop: Header=BB6_5167 Depth=3
	s_delay_alu instid0(VALU_DEP_2) | instskip(SKIP_1) | instid1(VALU_DEP_1)
	v_cmp_lt_u64_e32 vcc_lo, 0xffffff, v[12:13]
	v_add_nc_u32_e32 v18, 15, v23
	v_cndmask_b32_e32 v18, v19, v18, vcc_lo
	v_cndmask_b32_e64 v19, 0, 1, vcc_lo
	s_delay_alu instid0(VALU_DEP_1)
	v_lshrrev_b64 v[12:13], v19, v[12:13]
; %bb.6594:                             ;   in Loop: Header=BB6_5167 Depth=3
	s_and_not1_saveexec_b32 s13, s13
; %bb.6595:                             ;   in Loop: Header=BB6_5167 Depth=3
	s_delay_alu instid0(VALU_DEP_1)
	v_bfe_u32 v18, v12, 23, 1
; %bb.6596:                             ;   in Loop: Header=BB6_5167 Depth=3
	s_or_b32 exec_lo, exec_lo, s13
	s_delay_alu instid0(VALU_DEP_2) | instskip(NEXT) | instid1(VALU_DEP_2)
	v_lshrrev_b64 v[12:13], 21, v[12:13]
	v_cmp_gt_i32_e32 vcc_lo, 32, v18
	v_min_i32_e32 v19, 31, v18
	v_cmp_eq_u32_e64 s13, 0, v18
	s_delay_alu instid0(VALU_DEP_2) | instskip(SKIP_1) | instid1(VALU_DEP_2)
	v_dual_cndmask_b32 v13, 0, v13, vcc_lo :: v_dual_lshlrev_b32 v19, 2, v19
	v_cndmask_b32_e32 v12, 3, v12, vcc_lo
	v_and_b32_e32 v19, 0xfc, v19
	s_delay_alu instid0(VALU_DEP_2) | instskip(NEXT) | instid1(VALU_DEP_2)
	v_cmp_eq_u64_e32 vcc_lo, 0, v[12:13]
	v_and_or_b32 v12, v12, 3, v19
	s_and_b32 s13, s13, vcc_lo
	s_delay_alu instid0(VALU_DEP_1) | instid1(SALU_CYCLE_1)
	v_cndmask_b32_e64 v12, v12, 0, s13
	s_delay_alu instid0(VALU_DEP_1)
	v_or_b32_e32 v84, v12, v22
.LBB6_6597:                             ;   in Loop: Header=BB6_5167 Depth=3
	s_or_b32 exec_lo, exec_lo, s72
                                        ; implicit-def: $vgpr22
.LBB6_6598:                             ;   in Loop: Header=BB6_5167 Depth=3
	s_and_not1_saveexec_b32 s13, s43
; %bb.6599:                             ;   in Loop: Header=BB6_5167 Depth=3
	v_or_b32_e32 v84, 0x7b, v22
; %bb.6600:                             ;   in Loop: Header=BB6_5167 Depth=3
	s_or_b32 exec_lo, exec_lo, s13
                                        ; implicit-def: $vgpr18
                                        ; implicit-def: $vgpr12_vgpr13
                                        ; implicit-def: $vgpr19
.LBB6_6601:                             ;   in Loop: Header=BB6_5167 Depth=3
	s_and_not1_saveexec_b32 s13, s42
	s_cbranch_execz .LBB6_6607
; %bb.6602:                             ;   in Loop: Header=BB6_5167 Depth=3
	s_mov_b32 s42, exec_lo
                                        ; implicit-def: $vgpr84
	v_cmpx_ne_u64_e32 0, v[12:13]
	s_xor_b32 s42, exec_lo, s42
; %bb.6603:                             ;   in Loop: Header=BB6_5167 Depth=3
	v_or_b32_e32 v84, 0x7f, v19
                                        ; implicit-def: $vgpr18
; %bb.6604:                             ;   in Loop: Header=BB6_5167 Depth=3
	s_and_not1_saveexec_b32 s42, s42
; %bb.6605:                             ;   in Loop: Header=BB6_5167 Depth=3
	v_cmp_lt_i32_e32 vcc_lo, -1, v18
	v_mov_b32_e32 v12, 0x7c
	s_delay_alu instid0(VALU_DEP_1)
	v_cndmask_b32_e32 v84, 0xfc, v12, vcc_lo
; %bb.6606:                             ;   in Loop: Header=BB6_5167 Depth=3
	s_or_b32 exec_lo, exec_lo, s42
.LBB6_6607:                             ;   in Loop: Header=BB6_5167 Depth=3
	s_delay_alu instid0(SALU_CYCLE_1) | instskip(SKIP_4) | instid1(VALU_DEP_3)
	s_or_b32 exec_lo, exec_lo, s13
	v_and_b32_e32 v22, 0xff, v15
	v_dual_mov_b32 v12, v15 :: v_dual_mov_b32 v13, v21
	v_dual_mov_b32 v19, 0 :: v_dual_mov_b32 v18, 0
	s_mov_b32 s42, exec_lo
	v_cmpx_ne_u16_e32 0, v22
	s_cbranch_execz .LBB6_6617
; %bb.6608:                             ;   in Loop: Header=BB6_5167 Depth=3
	v_bfrev_b32_e32 v18, 1
	s_mov_b32 s43, exec_lo
	v_cmpx_ne_u16_e32 0x80, v22
	s_cbranch_execz .LBB6_6616
; %bb.6609:                             ;   in Loop: Header=BB6_5167 Depth=3
	v_and_b32_e32 v18, 0x7c, v15
	v_and_b32_e32 v22, 3, v15
	s_delay_alu instid0(VALU_DEP_2) | instskip(SKIP_1) | instid1(SALU_CYCLE_1)
	v_cmp_ne_u32_e32 vcc_lo, 0x7c, v18
                                        ; implicit-def: $vgpr18
	s_and_saveexec_b32 s13, vcc_lo
	s_xor_b32 s13, exec_lo, s13
	s_cbranch_execz .LBB6_6613
; %bb.6610:                             ;   in Loop: Header=BB6_5167 Depth=3
	v_bfe_u32 v18, v15, 2, 5
	s_mov_b32 s72, exec_lo
	s_delay_alu instid0(VALU_DEP_1)
	v_cmpx_eq_u32_e32 0, v18
; %bb.6611:                             ;   in Loop: Header=BB6_5167 Depth=3
	v_clz_i32_u32_e32 v18, v22
	s_delay_alu instid0(VALU_DEP_1) | instskip(NEXT) | instid1(VALU_DEP_1)
	v_min_u32_e32 v18, 32, v18
	v_subrev_nc_u32_e32 v22, 29, v18
	v_sub_nc_u32_e32 v18, 30, v18
	s_delay_alu instid0(VALU_DEP_2) | instskip(NEXT) | instid1(VALU_DEP_1)
	v_lshlrev_b64_e32 v[22:23], v22, v[12:13]
	v_and_b32_e32 v22, 3, v22
; %bb.6612:                             ;   in Loop: Header=BB6_5167 Depth=3
	s_or_b32 exec_lo, exec_lo, s72
	v_lshlrev_b32_e32 v13, 24, v15
	s_delay_alu instid0(VALU_DEP_1) | instskip(NEXT) | instid1(VALU_DEP_1)
	v_and_b32_e32 v13, 0x80000000, v13
	v_lshl_add_u32 v13, v18, 23, v13
	s_delay_alu instid0(VALU_DEP_1) | instskip(NEXT) | instid1(VALU_DEP_1)
	v_lshl_or_b32 v13, v22, 21, v13
                                        ; implicit-def: $vgpr22
	v_add_nc_u32_e32 v18, 0x38000000, v13
.LBB6_6613:                             ;   in Loop: Header=BB6_5167 Depth=3
	s_and_not1_saveexec_b32 s72, s13
; %bb.6614:                             ;   in Loop: Header=BB6_5167 Depth=3
	v_bfe_i32 v13, v15, 0, 8
	v_cmp_eq_u32_e32 vcc_lo, 0, v22
	s_delay_alu instid0(VALU_DEP_2) | instskip(SKIP_1) | instid1(VALU_DEP_1)
	v_cmp_lt_i16_e64 s13, -1, v13
	v_mov_b32_e32 v13, 0x7f800000
	v_cndmask_b32_e64 v13, 0xff800000, v13, s13
	s_delay_alu instid0(VALU_DEP_1)
	v_cndmask_b32_e32 v18, 0x7f800001, v13, vcc_lo
; %bb.6615:                             ;   in Loop: Header=BB6_5167 Depth=3
	s_or_b32 exec_lo, exec_lo, s72
.LBB6_6616:                             ;   in Loop: Header=BB6_5167 Depth=3
	s_delay_alu instid0(SALU_CYCLE_1)
	s_or_b32 exec_lo, exec_lo, s43
.LBB6_6617:                             ;   in Loop: Header=BB6_5167 Depth=3
	s_delay_alu instid0(SALU_CYCLE_1) | instskip(SKIP_2) | instid1(VALU_DEP_1)
	s_or_b32 exec_lo, exec_lo, s42
	v_and_b32_e32 v13, 0xff, v5
	s_mov_b32 s42, exec_lo
	v_cmpx_ne_u16_e32 0, v13
	s_cbranch_execz .LBB6_6627
; %bb.6618:                             ;   in Loop: Header=BB6_5167 Depth=3
	v_bfrev_b32_e32 v19, 1
	s_mov_b32 s43, exec_lo
	v_cmpx_ne_u16_e32 0x80, v13
	s_cbranch_execz .LBB6_6626
; %bb.6619:                             ;   in Loop: Header=BB6_5167 Depth=3
	v_and_b32_e32 v19, 0x7c, v5
	v_and_b32_e32 v13, 3, v5
	s_delay_alu instid0(VALU_DEP_2) | instskip(SKIP_1) | instid1(SALU_CYCLE_1)
	v_cmp_ne_u32_e32 vcc_lo, 0x7c, v19
                                        ; implicit-def: $vgpr19
	s_and_saveexec_b32 s13, vcc_lo
	s_xor_b32 s13, exec_lo, s13
	s_cbranch_execz .LBB6_6623
; %bb.6620:                             ;   in Loop: Header=BB6_5167 Depth=3
	v_bfe_u32 v19, v5, 2, 5
	s_mov_b32 s72, exec_lo
	s_delay_alu instid0(VALU_DEP_1)
	v_cmpx_eq_u32_e32 0, v19
; %bb.6621:                             ;   in Loop: Header=BB6_5167 Depth=3
	v_clz_i32_u32_e32 v13, v13
	v_dual_mov_b32 v22, v5 :: v_dual_mov_b32 v23, v21
	s_delay_alu instid0(VALU_DEP_2) | instskip(NEXT) | instid1(VALU_DEP_1)
	v_min_u32_e32 v13, 32, v13
	v_subrev_nc_u32_e32 v19, 29, v13
	s_delay_alu instid0(VALU_DEP_1) | instskip(NEXT) | instid1(VALU_DEP_1)
	v_lshlrev_b64_e32 v[22:23], v19, v[22:23]
	v_dual_sub_nc_u32 v19, 30, v13 :: v_dual_bitop2_b32 v13, 3, v22 bitop3:0x40
; %bb.6622:                             ;   in Loop: Header=BB6_5167 Depth=3
	s_or_b32 exec_lo, exec_lo, s72
	v_lshlrev_b32_e32 v22, 24, v5
	s_delay_alu instid0(VALU_DEP_1) | instskip(NEXT) | instid1(VALU_DEP_1)
	v_and_b32_e32 v22, 0x80000000, v22
	v_lshl_add_u32 v19, v19, 23, v22
	s_delay_alu instid0(VALU_DEP_1) | instskip(NEXT) | instid1(VALU_DEP_1)
	v_lshl_or_b32 v13, v13, 21, v19
	v_add_nc_u32_e32 v19, 0x38000000, v13
                                        ; implicit-def: $vgpr13
.LBB6_6623:                             ;   in Loop: Header=BB6_5167 Depth=3
	s_and_not1_saveexec_b32 s72, s13
; %bb.6624:                             ;   in Loop: Header=BB6_5167 Depth=3
	v_bfe_i32 v19, v5, 0, 8
	v_cmp_eq_u32_e32 vcc_lo, 0, v13
	v_mov_b32_e32 v13, 0x7f800000
	s_delay_alu instid0(VALU_DEP_3) | instskip(NEXT) | instid1(VALU_DEP_1)
	v_cmp_lt_i16_e64 s13, -1, v19
	v_cndmask_b32_e64 v13, 0xff800000, v13, s13
	s_delay_alu instid0(VALU_DEP_1)
	v_cndmask_b32_e32 v19, 0x7f800001, v13, vcc_lo
; %bb.6625:                             ;   in Loop: Header=BB6_5167 Depth=3
	s_or_b32 exec_lo, exec_lo, s72
.LBB6_6626:                             ;   in Loop: Header=BB6_5167 Depth=3
	s_delay_alu instid0(SALU_CYCLE_1)
	s_or_b32 exec_lo, exec_lo, s43
.LBB6_6627:                             ;   in Loop: Header=BB6_5167 Depth=3
	s_delay_alu instid0(SALU_CYCLE_1) | instskip(NEXT) | instid1(VALU_DEP_1)
	s_or_b32 exec_lo, exec_lo, s42
	v_dual_mul_f32 v23, v18, v19 :: v_dual_mov_b32 v87, v21
	v_mov_b32_e32 v19, v21
                                        ; implicit-def: $vgpr22
	s_mov_b32 s13, exec_lo
	s_delay_alu instid0(VALU_DEP_2) | instskip(SKIP_2) | instid1(VALU_DEP_3)
	v_and_b32_e32 v86, 0x7f800000, v23
	v_and_b32_e32 v18, 0x7fffff, v23
	v_lshrrev_b32_e32 v13, 24, v23
	v_cmpx_ne_u64_e32 0x7f800000, v[86:87]
	s_xor_b32 s42, exec_lo, s13
	s_cbranch_execz .LBB6_6641
; %bb.6628:                             ;   in Loop: Header=BB6_5167 Depth=3
	v_and_b32_e32 v86, 0x7fffffff, v23
	v_mov_b32_e32 v87, v21
	v_and_b32_e32 v13, 0x80, v13
                                        ; implicit-def: $vgpr22
	s_mov_b32 s13, exec_lo
	s_delay_alu instid0(VALU_DEP_2)
	v_cmpx_gt_u64_e32 0x47600001, v[86:87]
	s_xor_b32 s43, exec_lo, s13
	s_cbranch_execz .LBB6_6638
; %bb.6629:                             ;   in Loop: Header=BB6_5167 Depth=3
	v_mov_b32_e32 v22, 0
	s_mov_b32 s72, exec_lo
	v_cmpx_ne_u32_e32 0, v23
	s_cbranch_execz .LBB6_6637
; %bb.6630:                             ;   in Loop: Header=BB6_5167 Depth=3
	v_bfe_u32 v85, v23, 23, 8
	v_or_b32_e32 v23, 0x800000, v18
	s_delay_alu instid0(VALU_DEP_2) | instskip(SKIP_2) | instid1(VALU_DEP_2)
	v_cmp_gt_u32_e64 s13, 0x72, v85
	v_sub_nc_u32_e32 v22, 0x71, v85
	v_cmp_eq_u32_e32 vcc_lo, 0, v85
	v_cndmask_b32_e64 v22, 0, v22, s13
	v_cndmask_b32_e32 v18, v23, v18, vcc_lo
	s_delay_alu instid0(VALU_DEP_2) | instskip(NEXT) | instid1(VALU_DEP_1)
	v_cndmask_b32_e64 v86, v22, 0x70, vcc_lo
	v_dual_add_nc_u32 v22, 21, v86 :: v_dual_add_nc_u32 v87, 20, v86
	s_delay_alu instid0(VALU_DEP_1) | instskip(NEXT) | instid1(VALU_DEP_2)
	v_lshlrev_b64_e64 v[22:23], v22, -1
	v_lshlrev_b64_e64 v[96:97], v87, 1
	s_delay_alu instid0(VALU_DEP_2) | instskip(SKIP_1) | instid1(VALU_DEP_4)
	v_bfi_b32 v22, v22, 0, v18
	v_lshrrev_b64 v[18:19], v86, v[18:19]
	v_bfi_b32 v23, v23, 0, 0
	s_delay_alu instid0(VALU_DEP_1) | instskip(NEXT) | instid1(VALU_DEP_3)
	v_cmp_eq_u64_e64 s13, v[22:23], v[96:97]
	v_mov_b64_e32 v[22:23], v[18:19]
	s_and_saveexec_b32 s73, s13
; %bb.6631:                             ;   in Loop: Header=BB6_5167 Depth=3
	v_bfe_u32 v22, v18, 21, 1
	v_mov_b32_e32 v23, v21
	s_delay_alu instid0(VALU_DEP_1) | instskip(NEXT) | instid1(VALU_DEP_1)
	v_add_nc_u64_e32 v[22:23], v[18:19], v[22:23]
	v_add_nc_u64_e32 v[22:23], -1, v[22:23]
; %bb.6632:                             ;   in Loop: Header=BB6_5167 Depth=3
	s_or_b32 exec_lo, exec_lo, s73
	v_add_nc_u32_e32 v19, 0xffffff81, v85
	v_lshrrev_b32_e32 v23, 23, v18
	s_mov_b32 s13, exec_lo
	s_delay_alu instid0(VALU_DEP_2) | instskip(NEXT) | instid1(VALU_DEP_1)
	v_cndmask_b32_e64 v19, v19, 0xffffff82, vcc_lo
	v_add3_u32 v85, v86, v19, v23
	v_and_b32_e32 v19, 0x1fffff, v22
                                        ; implicit-def: $vgpr22
	s_delay_alu instid0(VALU_DEP_1) | instskip(SKIP_1) | instid1(VALU_DEP_2)
	v_dual_add_nc_u32 v23, 14, v85 :: v_dual_add_nc_u32 v18, v19, v18
	v_mov_b32_e32 v19, v21
	v_cmpx_ne_u32_e32 0, v23
	s_xor_b32 s13, exec_lo, s13
; %bb.6633:                             ;   in Loop: Header=BB6_5167 Depth=3
	s_delay_alu instid0(VALU_DEP_2) | instskip(SKIP_1) | instid1(VALU_DEP_1)
	v_cmp_lt_u64_e32 vcc_lo, 0xffffff, v[18:19]
	v_add_nc_u32_e32 v22, 15, v85
	v_cndmask_b32_e32 v22, v23, v22, vcc_lo
	v_cndmask_b32_e64 v23, 0, 1, vcc_lo
	s_delay_alu instid0(VALU_DEP_1)
	v_lshrrev_b64 v[18:19], v23, v[18:19]
; %bb.6634:                             ;   in Loop: Header=BB6_5167 Depth=3
	s_and_not1_saveexec_b32 s13, s13
; %bb.6635:                             ;   in Loop: Header=BB6_5167 Depth=3
	s_delay_alu instid0(VALU_DEP_1)
	v_bfe_u32 v22, v18, 23, 1
; %bb.6636:                             ;   in Loop: Header=BB6_5167 Depth=3
	s_or_b32 exec_lo, exec_lo, s13
	s_delay_alu instid0(VALU_DEP_2) | instskip(NEXT) | instid1(VALU_DEP_2)
	v_lshrrev_b64 v[18:19], 21, v[18:19]
	v_cmp_gt_i32_e32 vcc_lo, 32, v22
	v_min_i32_e32 v23, 31, v22
	v_cmp_eq_u32_e64 s13, 0, v22
	s_delay_alu instid0(VALU_DEP_4) | instskip(NEXT) | instid1(VALU_DEP_3)
	v_cndmask_b32_e32 v19, 0, v19, vcc_lo
	v_dual_cndmask_b32 v18, 3, v18 :: v_dual_lshlrev_b32 v23, 2, v23
	s_delay_alu instid0(VALU_DEP_1) | instskip(NEXT) | instid1(VALU_DEP_2)
	v_and_b32_e32 v23, 0xfc, v23
	v_cmp_eq_u64_e32 vcc_lo, 0, v[18:19]
	s_delay_alu instid0(VALU_DEP_2)
	v_and_or_b32 v18, v18, 3, v23
	s_and_b32 s13, s13, vcc_lo
	s_delay_alu instid0(VALU_DEP_1) | instid1(SALU_CYCLE_1)
	v_cndmask_b32_e64 v18, v18, 0, s13
	s_delay_alu instid0(VALU_DEP_1)
	v_or_b32_e32 v22, v18, v13
.LBB6_6637:                             ;   in Loop: Header=BB6_5167 Depth=3
	s_or_b32 exec_lo, exec_lo, s72
                                        ; implicit-def: $vgpr13
.LBB6_6638:                             ;   in Loop: Header=BB6_5167 Depth=3
	s_and_not1_saveexec_b32 s13, s43
; %bb.6639:                             ;   in Loop: Header=BB6_5167 Depth=3
	v_or_b32_e32 v22, 0x7b, v13
; %bb.6640:                             ;   in Loop: Header=BB6_5167 Depth=3
	s_or_b32 exec_lo, exec_lo, s13
                                        ; implicit-def: $vgpr23
                                        ; implicit-def: $vgpr18_vgpr19
                                        ; implicit-def: $vgpr13
.LBB6_6641:                             ;   in Loop: Header=BB6_5167 Depth=3
	s_and_not1_saveexec_b32 s13, s42
	s_cbranch_execz .LBB6_6647
; %bb.6642:                             ;   in Loop: Header=BB6_5167 Depth=3
	s_mov_b32 s42, exec_lo
                                        ; implicit-def: $vgpr22
	v_cmpx_ne_u64_e32 0, v[18:19]
	s_xor_b32 s42, exec_lo, s42
; %bb.6643:                             ;   in Loop: Header=BB6_5167 Depth=3
	v_or_b32_e32 v22, 0x7f, v13
                                        ; implicit-def: $vgpr23
; %bb.6644:                             ;   in Loop: Header=BB6_5167 Depth=3
	s_and_not1_saveexec_b32 s42, s42
; %bb.6645:                             ;   in Loop: Header=BB6_5167 Depth=3
	v_cmp_lt_i32_e32 vcc_lo, -1, v23
	v_mov_b32_e32 v13, 0x7c
	s_delay_alu instid0(VALU_DEP_1)
	v_cndmask_b32_e32 v22, 0xfc, v13, vcc_lo
; %bb.6646:                             ;   in Loop: Header=BB6_5167 Depth=3
	s_or_b32 exec_lo, exec_lo, s42
.LBB6_6647:                             ;   in Loop: Header=BB6_5167 Depth=3
	s_delay_alu instid0(SALU_CYCLE_1) | instskip(SKIP_3) | instid1(VALU_DEP_2)
	s_or_b32 exec_lo, exec_lo, s13
	v_lshrrev_b16 v18, 8, v12
	v_dual_mov_b32 v23, 0 :: v_dual_mov_b32 v19, 0
	s_mov_b32 s42, exec_lo
	v_cmpx_ne_u16_e32 0, v18
	s_cbranch_execz .LBB6_6657
; %bb.6648:                             ;   in Loop: Header=BB6_5167 Depth=3
	v_bfrev_b32_e32 v19, 1
	s_mov_b32 s43, exec_lo
	v_cmpx_ne_u16_e32 0x80, v18
	s_cbranch_execz .LBB6_6656
; %bb.6649:                             ;   in Loop: Header=BB6_5167 Depth=3
	v_and_b32_e32 v13, 0xffff, v18
	s_delay_alu instid0(VALU_DEP_1) | instskip(SKIP_1) | instid1(VALU_DEP_2)
	v_and_b32_e32 v19, 0x7c, v13
	v_and_b32_e32 v85, 3, v13
	v_cmp_ne_u32_e32 vcc_lo, 0x7c, v19
                                        ; implicit-def: $vgpr19
	s_and_saveexec_b32 s13, vcc_lo
	s_delay_alu instid0(SALU_CYCLE_1)
	s_xor_b32 s13, exec_lo, s13
	s_cbranch_execz .LBB6_6653
; %bb.6650:                             ;   in Loop: Header=BB6_5167 Depth=3
	v_bfe_u32 v13, v13, 2, 5
	s_mov_b32 s72, exec_lo
	s_delay_alu instid0(VALU_DEP_1)
	v_cmpx_eq_u32_e32 0, v13
	s_cbranch_execz .LBB6_6652
; %bb.6651:                             ;   in Loop: Header=BB6_5167 Depth=3
	v_clz_i32_u32_e32 v13, v85
	s_delay_alu instid0(VALU_DEP_1) | instskip(SKIP_1) | instid1(VALU_DEP_2)
	v_min_u32_e32 v13, 32, v13
	v_mov_b32_e32 v19, v21
	v_subrev_nc_u32_e32 v85, 29, v13
	v_sub_nc_u32_e32 v13, 30, v13
	s_delay_alu instid0(VALU_DEP_2) | instskip(NEXT) | instid1(VALU_DEP_1)
	v_lshlrev_b64_e32 v[18:19], v85, v[18:19]
	v_and_b32_e32 v85, 3, v18
.LBB6_6652:                             ;   in Loop: Header=BB6_5167 Depth=3
	s_or_b32 exec_lo, exec_lo, s72
	v_lshlrev_b32_e32 v12, 16, v12
	s_delay_alu instid0(VALU_DEP_1) | instskip(NEXT) | instid1(VALU_DEP_1)
	v_and_b32_e32 v12, 0x80000000, v12
	v_lshl_add_u32 v12, v13, 23, v12
	s_delay_alu instid0(VALU_DEP_1) | instskip(NEXT) | instid1(VALU_DEP_1)
	v_lshl_or_b32 v12, v85, 21, v12
                                        ; implicit-def: $vgpr85
	v_add_nc_u32_e32 v19, 0x38000000, v12
                                        ; implicit-def: $vgpr12_vgpr13
.LBB6_6653:                             ;   in Loop: Header=BB6_5167 Depth=3
	s_and_not1_saveexec_b32 s72, s13
; %bb.6654:                             ;   in Loop: Header=BB6_5167 Depth=3
	v_cmp_lt_i16_e64 s13, -1, v12
	v_mov_b32_e32 v12, 0x7f800000
	v_cmp_eq_u32_e32 vcc_lo, 0, v85
	s_delay_alu instid0(VALU_DEP_2) | instskip(NEXT) | instid1(VALU_DEP_1)
	v_cndmask_b32_e64 v12, 0xff800000, v12, s13
	v_cndmask_b32_e32 v19, 0x7f800001, v12, vcc_lo
; %bb.6655:                             ;   in Loop: Header=BB6_5167 Depth=3
	s_or_b32 exec_lo, exec_lo, s72
.LBB6_6656:                             ;   in Loop: Header=BB6_5167 Depth=3
	s_delay_alu instid0(SALU_CYCLE_1)
	s_or_b32 exec_lo, exec_lo, s43
.LBB6_6657:                             ;   in Loop: Header=BB6_5167 Depth=3
	s_delay_alu instid0(SALU_CYCLE_1) | instskip(SKIP_2) | instid1(VALU_DEP_1)
	s_or_b32 exec_lo, exec_lo, s42
	v_lshrrev_b16 v12, 8, v5
	s_mov_b32 s42, exec_lo
	v_cmpx_ne_u16_e32 0, v12
	s_cbranch_execz .LBB6_6667
; %bb.6658:                             ;   in Loop: Header=BB6_5167 Depth=3
	v_bfrev_b32_e32 v23, 1
	s_mov_b32 s43, exec_lo
	v_cmpx_ne_u16_e32 0x80, v12
	s_cbranch_execz .LBB6_6666
; %bb.6659:                             ;   in Loop: Header=BB6_5167 Depth=3
	v_and_b32_e32 v18, 0xffff, v12
	s_delay_alu instid0(VALU_DEP_1) | instskip(SKIP_1) | instid1(VALU_DEP_2)
	v_and_b32_e32 v23, 0x7c, v18
	v_and_b32_e32 v13, 3, v18
	v_cmp_ne_u32_e32 vcc_lo, 0x7c, v23
                                        ; implicit-def: $vgpr23
	s_and_saveexec_b32 s13, vcc_lo
	s_delay_alu instid0(SALU_CYCLE_1)
	s_xor_b32 s13, exec_lo, s13
	s_cbranch_execz .LBB6_6663
; %bb.6660:                             ;   in Loop: Header=BB6_5167 Depth=3
	v_bfe_u32 v18, v18, 2, 5
	s_mov_b32 s72, exec_lo
	s_delay_alu instid0(VALU_DEP_1)
	v_cmpx_eq_u32_e32 0, v18
	s_cbranch_execz .LBB6_6662
; %bb.6661:                             ;   in Loop: Header=BB6_5167 Depth=3
	v_clz_i32_u32_e32 v13, v13
	s_delay_alu instid0(VALU_DEP_1) | instskip(SKIP_1) | instid1(VALU_DEP_2)
	v_min_u32_e32 v18, 32, v13
	v_mov_b32_e32 v13, v21
	v_subrev_nc_u32_e32 v23, 29, v18
	v_sub_nc_u32_e32 v18, 30, v18
	s_delay_alu instid0(VALU_DEP_2) | instskip(NEXT) | instid1(VALU_DEP_1)
	v_lshlrev_b64_e32 v[12:13], v23, v[12:13]
	v_and_b32_e32 v13, 3, v12
.LBB6_6662:                             ;   in Loop: Header=BB6_5167 Depth=3
	s_or_b32 exec_lo, exec_lo, s72
	v_lshlrev_b32_e32 v12, 16, v5
	s_delay_alu instid0(VALU_DEP_1) | instskip(NEXT) | instid1(VALU_DEP_1)
	v_and_b32_e32 v12, 0x80000000, v12
	v_lshl_add_u32 v12, v18, 23, v12
	s_delay_alu instid0(VALU_DEP_1) | instskip(NEXT) | instid1(VALU_DEP_1)
	v_lshl_or_b32 v12, v13, 21, v12
                                        ; implicit-def: $vgpr13
	v_add_nc_u32_e32 v23, 0x38000000, v12
.LBB6_6663:                             ;   in Loop: Header=BB6_5167 Depth=3
	s_and_not1_saveexec_b32 s72, s13
; %bb.6664:                             ;   in Loop: Header=BB6_5167 Depth=3
	v_cmp_lt_i16_e64 s13, -1, v5
	v_mov_b32_e32 v12, 0x7f800000
	v_cmp_eq_u32_e32 vcc_lo, 0, v13
	s_delay_alu instid0(VALU_DEP_2) | instskip(NEXT) | instid1(VALU_DEP_1)
	v_cndmask_b32_e64 v12, 0xff800000, v12, s13
	v_cndmask_b32_e32 v23, 0x7f800001, v12, vcc_lo
; %bb.6665:                             ;   in Loop: Header=BB6_5167 Depth=3
	s_or_b32 exec_lo, exec_lo, s72
.LBB6_6666:                             ;   in Loop: Header=BB6_5167 Depth=3
	s_delay_alu instid0(SALU_CYCLE_1)
	s_or_b32 exec_lo, exec_lo, s43
.LBB6_6667:                             ;   in Loop: Header=BB6_5167 Depth=3
	s_delay_alu instid0(SALU_CYCLE_1) | instskip(NEXT) | instid1(VALU_DEP_1)
	s_or_b32 exec_lo, exec_lo, s42
	v_dual_mul_f32 v18, v19, v23 :: v_dual_mov_b32 v87, v21
	v_mov_b32_e32 v13, v21
                                        ; implicit-def: $vgpr23
	s_mov_b32 s13, exec_lo
	s_delay_alu instid0(VALU_DEP_2) | instskip(SKIP_2) | instid1(VALU_DEP_3)
	v_and_b32_e32 v86, 0x7f800000, v18
	v_and_b32_e32 v12, 0x7fffff, v18
	v_lshrrev_b32_e32 v19, 24, v18
	v_cmpx_ne_u64_e32 0x7f800000, v[86:87]
	s_xor_b32 s42, exec_lo, s13
	s_cbranch_execz .LBB6_6681
; %bb.6668:                             ;   in Loop: Header=BB6_5167 Depth=3
	v_and_b32_e32 v86, 0x7fffffff, v18
	v_mov_b32_e32 v87, v21
	v_and_b32_e32 v85, 0x80, v19
                                        ; implicit-def: $vgpr23
	s_mov_b32 s13, exec_lo
	s_delay_alu instid0(VALU_DEP_2)
	v_cmpx_gt_u64_e32 0x47600001, v[86:87]
	s_xor_b32 s43, exec_lo, s13
	s_cbranch_execz .LBB6_6678
; %bb.6669:                             ;   in Loop: Header=BB6_5167 Depth=3
	v_mov_b32_e32 v23, 0
	s_mov_b32 s72, exec_lo
	v_cmpx_ne_u32_e32 0, v18
	s_cbranch_execz .LBB6_6677
; %bb.6670:                             ;   in Loop: Header=BB6_5167 Depth=3
	v_bfe_u32 v23, v18, 23, 8
	v_or_b32_e32 v19, 0x800000, v12
	s_delay_alu instid0(VALU_DEP_2) | instskip(SKIP_2) | instid1(VALU_DEP_2)
	v_cmp_gt_u32_e64 s13, 0x72, v23
	v_sub_nc_u32_e32 v18, 0x71, v23
	v_cmp_eq_u32_e32 vcc_lo, 0, v23
	v_dual_cndmask_b32 v18, 0, v18, s13 :: v_dual_cndmask_b32 v12, v19, v12, vcc_lo
	s_delay_alu instid0(VALU_DEP_1) | instskip(NEXT) | instid1(VALU_DEP_1)
	v_cndmask_b32_e64 v86, v18, 0x70, vcc_lo
	v_dual_add_nc_u32 v18, 21, v86 :: v_dual_add_nc_u32 v87, 20, v86
	s_delay_alu instid0(VALU_DEP_1) | instskip(NEXT) | instid1(VALU_DEP_2)
	v_lshlrev_b64_e64 v[18:19], v18, -1
	v_lshlrev_b64_e64 v[96:97], v87, 1
	s_delay_alu instid0(VALU_DEP_2) | instskip(SKIP_1) | instid1(VALU_DEP_4)
	v_bfi_b32 v18, v18, 0, v12
	v_lshrrev_b64 v[12:13], v86, v[12:13]
	v_bfi_b32 v19, v19, 0, 0
	s_delay_alu instid0(VALU_DEP_1) | instskip(NEXT) | instid1(VALU_DEP_3)
	v_cmp_eq_u64_e64 s13, v[18:19], v[96:97]
	v_mov_b64_e32 v[18:19], v[12:13]
	s_and_saveexec_b32 s73, s13
; %bb.6671:                             ;   in Loop: Header=BB6_5167 Depth=3
	v_bfe_u32 v18, v12, 21, 1
	v_mov_b32_e32 v19, v21
	s_delay_alu instid0(VALU_DEP_1) | instskip(NEXT) | instid1(VALU_DEP_1)
	v_add_nc_u64_e32 v[18:19], v[12:13], v[18:19]
	v_add_nc_u64_e32 v[18:19], -1, v[18:19]
; %bb.6672:                             ;   in Loop: Header=BB6_5167 Depth=3
	s_or_b32 exec_lo, exec_lo, s73
	v_add_nc_u32_e32 v13, 0xffffff81, v23
	v_lshrrev_b32_e32 v19, 23, v12
	s_mov_b32 s13, exec_lo
	s_delay_alu instid0(VALU_DEP_2) | instskip(NEXT) | instid1(VALU_DEP_1)
	v_cndmask_b32_e64 v13, v13, 0xffffff82, vcc_lo
	v_add3_u32 v23, v86, v13, v19
	v_and_b32_e32 v13, 0x1fffff, v18
                                        ; implicit-def: $vgpr18
	s_delay_alu instid0(VALU_DEP_1) | instskip(SKIP_1) | instid1(VALU_DEP_2)
	v_dual_add_nc_u32 v19, 14, v23 :: v_dual_add_nc_u32 v12, v13, v12
	v_mov_b32_e32 v13, v21
	v_cmpx_ne_u32_e32 0, v19
	s_xor_b32 s13, exec_lo, s13
; %bb.6673:                             ;   in Loop: Header=BB6_5167 Depth=3
	s_delay_alu instid0(VALU_DEP_2) | instskip(SKIP_1) | instid1(VALU_DEP_1)
	v_cmp_lt_u64_e32 vcc_lo, 0xffffff, v[12:13]
	v_add_nc_u32_e32 v18, 15, v23
	v_cndmask_b32_e32 v18, v19, v18, vcc_lo
	v_cndmask_b32_e64 v19, 0, 1, vcc_lo
	s_delay_alu instid0(VALU_DEP_1)
	v_lshrrev_b64 v[12:13], v19, v[12:13]
; %bb.6674:                             ;   in Loop: Header=BB6_5167 Depth=3
	s_and_not1_saveexec_b32 s13, s13
; %bb.6675:                             ;   in Loop: Header=BB6_5167 Depth=3
	s_delay_alu instid0(VALU_DEP_1)
	v_bfe_u32 v18, v12, 23, 1
; %bb.6676:                             ;   in Loop: Header=BB6_5167 Depth=3
	s_or_b32 exec_lo, exec_lo, s13
	s_delay_alu instid0(VALU_DEP_2) | instskip(NEXT) | instid1(VALU_DEP_2)
	v_lshrrev_b64 v[12:13], 21, v[12:13]
	v_cmp_gt_i32_e32 vcc_lo, 32, v18
	v_min_i32_e32 v19, 31, v18
	v_cmp_eq_u32_e64 s13, 0, v18
	s_delay_alu instid0(VALU_DEP_2) | instskip(SKIP_1) | instid1(VALU_DEP_2)
	v_dual_cndmask_b32 v13, 0, v13, vcc_lo :: v_dual_lshlrev_b32 v19, 2, v19
	v_cndmask_b32_e32 v12, 3, v12, vcc_lo
	v_and_b32_e32 v19, 0xfc, v19
	s_delay_alu instid0(VALU_DEP_2) | instskip(NEXT) | instid1(VALU_DEP_2)
	v_cmp_eq_u64_e32 vcc_lo, 0, v[12:13]
	v_and_or_b32 v12, v12, 3, v19
	s_and_b32 s13, s13, vcc_lo
	s_delay_alu instid0(VALU_DEP_1) | instid1(SALU_CYCLE_1)
	v_cndmask_b32_e64 v12, v12, 0, s13
	s_delay_alu instid0(VALU_DEP_1)
	v_or_b32_e32 v23, v12, v85
.LBB6_6677:                             ;   in Loop: Header=BB6_5167 Depth=3
	s_or_b32 exec_lo, exec_lo, s72
                                        ; implicit-def: $vgpr85
.LBB6_6678:                             ;   in Loop: Header=BB6_5167 Depth=3
	s_and_not1_saveexec_b32 s13, s43
; %bb.6679:                             ;   in Loop: Header=BB6_5167 Depth=3
	v_or_b32_e32 v23, 0x7b, v85
; %bb.6680:                             ;   in Loop: Header=BB6_5167 Depth=3
	s_or_b32 exec_lo, exec_lo, s13
                                        ; implicit-def: $vgpr18
                                        ; implicit-def: $vgpr12_vgpr13
                                        ; implicit-def: $vgpr19
.LBB6_6681:                             ;   in Loop: Header=BB6_5167 Depth=3
	s_and_not1_saveexec_b32 s13, s42
	s_cbranch_execz .LBB6_6687
; %bb.6682:                             ;   in Loop: Header=BB6_5167 Depth=3
	s_mov_b32 s42, exec_lo
                                        ; implicit-def: $vgpr23
	v_cmpx_ne_u64_e32 0, v[12:13]
	s_xor_b32 s42, exec_lo, s42
; %bb.6683:                             ;   in Loop: Header=BB6_5167 Depth=3
	v_or_b32_e32 v23, 0x7f, v19
                                        ; implicit-def: $vgpr18
; %bb.6684:                             ;   in Loop: Header=BB6_5167 Depth=3
	s_and_not1_saveexec_b32 s42, s42
; %bb.6685:                             ;   in Loop: Header=BB6_5167 Depth=3
	v_cmp_lt_i32_e32 vcc_lo, -1, v18
	v_mov_b32_e32 v12, 0x7c
	s_delay_alu instid0(VALU_DEP_1)
	v_cndmask_b32_e32 v23, 0xfc, v12, vcc_lo
; %bb.6686:                             ;   in Loop: Header=BB6_5167 Depth=3
	s_or_b32 exec_lo, exec_lo, s42
.LBB6_6687:                             ;   in Loop: Header=BB6_5167 Depth=3
	s_delay_alu instid0(SALU_CYCLE_1) | instskip(SKIP_3) | instid1(VALU_DEP_2)
	s_or_b32 exec_lo, exec_lo, s13
	v_dual_mov_b32 v13, 0 :: v_dual_lshrrev_b32 v12, 16, v15
	v_mov_b32_e32 v18, 0
	s_mov_b32 s42, exec_lo
	v_and_b32_e32 v19, 0xff, v12
	s_delay_alu instid0(VALU_DEP_1)
	v_cmpx_ne_u16_e32 0, v19
	s_cbranch_execz .LBB6_6697
; %bb.6688:                             ;   in Loop: Header=BB6_5167 Depth=3
	v_bfrev_b32_e32 v18, 1
	s_mov_b32 s43, exec_lo
	v_cmpx_ne_u16_e32 0x80, v19
	s_cbranch_execz .LBB6_6696
; %bb.6689:                             ;   in Loop: Header=BB6_5167 Depth=3
	v_and_b32_e32 v18, 0x7c0000, v15
	v_bfe_u32 v19, v15, 16, 2
	s_delay_alu instid0(VALU_DEP_2) | instskip(SKIP_1) | instid1(SALU_CYCLE_1)
	v_cmp_ne_u32_e32 vcc_lo, 0x7c0000, v18
                                        ; implicit-def: $vgpr18
	s_and_saveexec_b32 s13, vcc_lo
	s_xor_b32 s13, exec_lo, s13
	s_cbranch_execz .LBB6_6693
; %bb.6690:                             ;   in Loop: Header=BB6_5167 Depth=3
	v_bfe_u32 v18, v15, 18, 5
	s_mov_b32 s72, exec_lo
	s_delay_alu instid0(VALU_DEP_1)
	v_cmpx_eq_u32_e32 0, v18
; %bb.6691:                             ;   in Loop: Header=BB6_5167 Depth=3
	v_clz_i32_u32_e32 v18, v19
	s_delay_alu instid0(VALU_DEP_1) | instskip(NEXT) | instid1(VALU_DEP_1)
	v_min_u32_e32 v18, 32, v18
	v_subrev_nc_u32_e32 v19, 29, v18
	v_sub_nc_u32_e32 v18, 30, v18
	s_delay_alu instid0(VALU_DEP_2) | instskip(NEXT) | instid1(VALU_DEP_1)
	v_lshlrev_b64_e32 v[86:87], v19, v[12:13]
	v_and_b32_e32 v19, 3, v86
; %bb.6692:                             ;   in Loop: Header=BB6_5167 Depth=3
	s_or_b32 exec_lo, exec_lo, s72
	v_lshlrev_b32_e32 v12, 24, v12
	s_delay_alu instid0(VALU_DEP_1) | instskip(NEXT) | instid1(VALU_DEP_1)
	v_and_b32_e32 v12, 0x80000000, v12
	v_lshl_add_u32 v12, v18, 23, v12
	s_delay_alu instid0(VALU_DEP_1) | instskip(NEXT) | instid1(VALU_DEP_1)
	v_lshl_or_b32 v12, v19, 21, v12
                                        ; implicit-def: $vgpr19
	v_add_nc_u32_e32 v18, 0x38000000, v12
                                        ; implicit-def: $vgpr12
.LBB6_6693:                             ;   in Loop: Header=BB6_5167 Depth=3
	s_and_not1_saveexec_b32 s72, s13
; %bb.6694:                             ;   in Loop: Header=BB6_5167 Depth=3
	v_bfe_i32 v12, v12, 0, 8
	v_cmp_eq_u32_e32 vcc_lo, 0, v19
	s_delay_alu instid0(VALU_DEP_2) | instskip(SKIP_1) | instid1(VALU_DEP_1)
	v_cmp_lt_i16_e64 s13, -1, v12
	v_mov_b32_e32 v12, 0x7f800000
	v_cndmask_b32_e64 v12, 0xff800000, v12, s13
	s_delay_alu instid0(VALU_DEP_1)
	v_cndmask_b32_e32 v18, 0x7f800001, v12, vcc_lo
; %bb.6695:                             ;   in Loop: Header=BB6_5167 Depth=3
	s_or_b32 exec_lo, exec_lo, s72
.LBB6_6696:                             ;   in Loop: Header=BB6_5167 Depth=3
	s_delay_alu instid0(SALU_CYCLE_1)
	s_or_b32 exec_lo, exec_lo, s43
.LBB6_6697:                             ;   in Loop: Header=BB6_5167 Depth=3
	s_delay_alu instid0(SALU_CYCLE_1) | instskip(SKIP_2) | instid1(VALU_DEP_1)
	s_or_b32 exec_lo, exec_lo, s42
	v_lshrrev_b32_e32 v12, 16, v5
	s_mov_b32 s42, exec_lo
	v_and_b32_e32 v19, 0xff, v12
	s_delay_alu instid0(VALU_DEP_1)
	v_cmpx_ne_u16_e32 0, v19
	s_cbranch_execz .LBB6_6707
; %bb.6698:                             ;   in Loop: Header=BB6_5167 Depth=3
	v_bfrev_b32_e32 v13, 1
	s_mov_b32 s43, exec_lo
	v_cmpx_ne_u16_e32 0x80, v19
	s_cbranch_execz .LBB6_6706
; %bb.6699:                             ;   in Loop: Header=BB6_5167 Depth=3
	v_and_b32_e32 v13, 0x7c0000, v5
	v_bfe_u32 v19, v5, 16, 2
	s_delay_alu instid0(VALU_DEP_2) | instskip(SKIP_1) | instid1(SALU_CYCLE_1)
	v_cmp_ne_u32_e32 vcc_lo, 0x7c0000, v13
                                        ; implicit-def: $vgpr13
	s_and_saveexec_b32 s13, vcc_lo
	s_xor_b32 s13, exec_lo, s13
	s_cbranch_execz .LBB6_6703
; %bb.6700:                             ;   in Loop: Header=BB6_5167 Depth=3
	v_bfe_u32 v13, v5, 18, 5
	s_mov_b32 s72, exec_lo
	s_delay_alu instid0(VALU_DEP_1)
	v_cmpx_eq_u32_e32 0, v13
; %bb.6701:                             ;   in Loop: Header=BB6_5167 Depth=3
	v_clz_i32_u32_e32 v13, v19
	s_delay_alu instid0(VALU_DEP_1) | instskip(NEXT) | instid1(VALU_DEP_1)
	v_min_u32_e32 v13, 32, v13
	v_subrev_nc_u32_e32 v19, 29, v13
	s_delay_alu instid0(VALU_DEP_1) | instskip(NEXT) | instid1(VALU_DEP_1)
	v_lshlrev_b64_e32 v[86:87], v19, v[12:13]
	v_dual_sub_nc_u32 v13, 30, v13 :: v_dual_bitop2_b32 v19, 3, v86 bitop3:0x40
; %bb.6702:                             ;   in Loop: Header=BB6_5167 Depth=3
	s_or_b32 exec_lo, exec_lo, s72
	v_lshlrev_b32_e32 v12, 24, v12
	s_delay_alu instid0(VALU_DEP_1) | instskip(NEXT) | instid1(VALU_DEP_1)
	v_and_b32_e32 v12, 0x80000000, v12
	v_lshl_add_u32 v12, v13, 23, v12
	s_delay_alu instid0(VALU_DEP_1) | instskip(NEXT) | instid1(VALU_DEP_1)
	v_lshl_or_b32 v12, v19, 21, v12
                                        ; implicit-def: $vgpr19
	v_add_nc_u32_e32 v13, 0x38000000, v12
                                        ; implicit-def: $vgpr12
.LBB6_6703:                             ;   in Loop: Header=BB6_5167 Depth=3
	s_and_not1_saveexec_b32 s72, s13
; %bb.6704:                             ;   in Loop: Header=BB6_5167 Depth=3
	v_bfe_i32 v12, v12, 0, 8
	v_cmp_eq_u32_e32 vcc_lo, 0, v19
	s_delay_alu instid0(VALU_DEP_2) | instskip(SKIP_1) | instid1(VALU_DEP_1)
	v_cmp_lt_i16_e64 s13, -1, v12
	v_mov_b32_e32 v12, 0x7f800000
	v_cndmask_b32_e64 v12, 0xff800000, v12, s13
	s_delay_alu instid0(VALU_DEP_1)
	v_cndmask_b32_e32 v13, 0x7f800001, v12, vcc_lo
; %bb.6705:                             ;   in Loop: Header=BB6_5167 Depth=3
	s_or_b32 exec_lo, exec_lo, s72
.LBB6_6706:                             ;   in Loop: Header=BB6_5167 Depth=3
	s_delay_alu instid0(SALU_CYCLE_1)
	s_or_b32 exec_lo, exec_lo, s43
.LBB6_6707:                             ;   in Loop: Header=BB6_5167 Depth=3
	s_delay_alu instid0(SALU_CYCLE_1) | instskip(NEXT) | instid1(VALU_DEP_1)
	s_or_b32 exec_lo, exec_lo, s42
	v_dual_mul_f32 v19, v18, v13 :: v_dual_mov_b32 v87, v21
	v_mov_b32_e32 v13, v21
                                        ; implicit-def: $vgpr18
	s_mov_b32 s13, exec_lo
	s_delay_alu instid0(VALU_DEP_2) | instskip(SKIP_2) | instid1(VALU_DEP_3)
	v_and_b32_e32 v86, 0x7f800000, v19
	v_and_b32_e32 v12, 0x7fffff, v19
	v_lshrrev_b32_e32 v85, 24, v19
	v_cmpx_ne_u64_e32 0x7f800000, v[86:87]
	s_xor_b32 s42, exec_lo, s13
	s_cbranch_execz .LBB6_6721
; %bb.6708:                             ;   in Loop: Header=BB6_5167 Depth=3
	v_and_b32_e32 v86, 0x7fffffff, v19
	v_mov_b32_e32 v87, v21
	v_and_b32_e32 v85, 0x80, v85
                                        ; implicit-def: $vgpr18
	s_mov_b32 s13, exec_lo
	s_delay_alu instid0(VALU_DEP_2)
	v_cmpx_gt_u64_e32 0x47600001, v[86:87]
	s_xor_b32 s43, exec_lo, s13
	s_cbranch_execz .LBB6_6718
; %bb.6709:                             ;   in Loop: Header=BB6_5167 Depth=3
	v_mov_b32_e32 v18, 0
	s_mov_b32 s72, exec_lo
	v_cmpx_ne_u32_e32 0, v19
	s_cbranch_execz .LBB6_6717
; %bb.6710:                             ;   in Loop: Header=BB6_5167 Depth=3
	v_bfe_u32 v86, v19, 23, 8
	v_or_b32_e32 v19, 0x800000, v12
	s_delay_alu instid0(VALU_DEP_2) | instskip(SKIP_2) | instid1(VALU_DEP_2)
	v_cmp_gt_u32_e64 s13, 0x72, v86
	v_sub_nc_u32_e32 v18, 0x71, v86
	v_cmp_eq_u32_e32 vcc_lo, 0, v86
	v_dual_cndmask_b32 v18, 0, v18, s13 :: v_dual_cndmask_b32 v12, v19, v12, vcc_lo
	s_delay_alu instid0(VALU_DEP_1) | instskip(NEXT) | instid1(VALU_DEP_1)
	v_cndmask_b32_e64 v87, v18, 0x70, vcc_lo
	v_dual_add_nc_u32 v18, 21, v87 :: v_dual_add_nc_u32 v96, 20, v87
	s_delay_alu instid0(VALU_DEP_1) | instskip(NEXT) | instid1(VALU_DEP_2)
	v_lshlrev_b64_e64 v[18:19], v18, -1
	v_lshlrev_b64_e64 v[96:97], v96, 1
	s_delay_alu instid0(VALU_DEP_2) | instskip(SKIP_1) | instid1(VALU_DEP_4)
	v_bfi_b32 v18, v18, 0, v12
	v_lshrrev_b64 v[12:13], v87, v[12:13]
	v_bfi_b32 v19, v19, 0, 0
	s_delay_alu instid0(VALU_DEP_1) | instskip(NEXT) | instid1(VALU_DEP_3)
	v_cmp_eq_u64_e64 s13, v[18:19], v[96:97]
	v_mov_b64_e32 v[18:19], v[12:13]
	s_and_saveexec_b32 s73, s13
; %bb.6711:                             ;   in Loop: Header=BB6_5167 Depth=3
	v_bfe_u32 v18, v12, 21, 1
	v_mov_b32_e32 v19, v21
	s_delay_alu instid0(VALU_DEP_1) | instskip(NEXT) | instid1(VALU_DEP_1)
	v_add_nc_u64_e32 v[18:19], v[12:13], v[18:19]
	v_add_nc_u64_e32 v[18:19], -1, v[18:19]
; %bb.6712:                             ;   in Loop: Header=BB6_5167 Depth=3
	s_or_b32 exec_lo, exec_lo, s73
	v_add_nc_u32_e32 v13, 0xffffff81, v86
	v_lshrrev_b32_e32 v19, 23, v12
	s_mov_b32 s13, exec_lo
	s_delay_alu instid0(VALU_DEP_2) | instskip(NEXT) | instid1(VALU_DEP_1)
	v_cndmask_b32_e64 v13, v13, 0xffffff82, vcc_lo
	v_add3_u32 v86, v87, v13, v19
	v_and_b32_e32 v13, 0x1fffff, v18
                                        ; implicit-def: $vgpr18
	s_delay_alu instid0(VALU_DEP_1) | instskip(SKIP_1) | instid1(VALU_DEP_2)
	v_dual_add_nc_u32 v19, 14, v86 :: v_dual_add_nc_u32 v12, v13, v12
	v_mov_b32_e32 v13, v21
	v_cmpx_ne_u32_e32 0, v19
	s_xor_b32 s13, exec_lo, s13
; %bb.6713:                             ;   in Loop: Header=BB6_5167 Depth=3
	s_delay_alu instid0(VALU_DEP_2) | instskip(SKIP_1) | instid1(VALU_DEP_1)
	v_cmp_lt_u64_e32 vcc_lo, 0xffffff, v[12:13]
	v_add_nc_u32_e32 v18, 15, v86
	v_cndmask_b32_e32 v18, v19, v18, vcc_lo
	v_cndmask_b32_e64 v19, 0, 1, vcc_lo
	s_delay_alu instid0(VALU_DEP_1)
	v_lshrrev_b64 v[12:13], v19, v[12:13]
; %bb.6714:                             ;   in Loop: Header=BB6_5167 Depth=3
	s_and_not1_saveexec_b32 s13, s13
; %bb.6715:                             ;   in Loop: Header=BB6_5167 Depth=3
	s_delay_alu instid0(VALU_DEP_1)
	v_bfe_u32 v18, v12, 23, 1
; %bb.6716:                             ;   in Loop: Header=BB6_5167 Depth=3
	s_or_b32 exec_lo, exec_lo, s13
	s_delay_alu instid0(VALU_DEP_2) | instskip(NEXT) | instid1(VALU_DEP_2)
	v_lshrrev_b64 v[12:13], 21, v[12:13]
	v_cmp_gt_i32_e32 vcc_lo, 32, v18
	v_min_i32_e32 v19, 31, v18
	v_cmp_eq_u32_e64 s13, 0, v18
	s_delay_alu instid0(VALU_DEP_2) | instskip(SKIP_1) | instid1(VALU_DEP_2)
	v_dual_cndmask_b32 v13, 0, v13, vcc_lo :: v_dual_lshlrev_b32 v19, 2, v19
	v_cndmask_b32_e32 v12, 3, v12, vcc_lo
	v_and_b32_e32 v19, 0xfc, v19
	s_delay_alu instid0(VALU_DEP_2) | instskip(NEXT) | instid1(VALU_DEP_2)
	v_cmp_eq_u64_e32 vcc_lo, 0, v[12:13]
	v_and_or_b32 v12, v12, 3, v19
	s_and_b32 s13, s13, vcc_lo
	s_delay_alu instid0(VALU_DEP_1) | instid1(SALU_CYCLE_1)
	v_cndmask_b32_e64 v12, v12, 0, s13
	s_delay_alu instid0(VALU_DEP_1)
	v_or_b32_e32 v18, v12, v85
.LBB6_6717:                             ;   in Loop: Header=BB6_5167 Depth=3
	s_or_b32 exec_lo, exec_lo, s72
                                        ; implicit-def: $vgpr85
.LBB6_6718:                             ;   in Loop: Header=BB6_5167 Depth=3
	s_and_not1_saveexec_b32 s13, s43
; %bb.6719:                             ;   in Loop: Header=BB6_5167 Depth=3
	v_or_b32_e32 v18, 0x7b, v85
; %bb.6720:                             ;   in Loop: Header=BB6_5167 Depth=3
	s_or_b32 exec_lo, exec_lo, s13
                                        ; implicit-def: $vgpr19
                                        ; implicit-def: $vgpr12_vgpr13
                                        ; implicit-def: $vgpr85
.LBB6_6721:                             ;   in Loop: Header=BB6_5167 Depth=3
	s_and_not1_saveexec_b32 s13, s42
	s_cbranch_execz .LBB6_6727
; %bb.6722:                             ;   in Loop: Header=BB6_5167 Depth=3
	s_mov_b32 s42, exec_lo
                                        ; implicit-def: $vgpr18
	v_cmpx_ne_u64_e32 0, v[12:13]
	s_xor_b32 s42, exec_lo, s42
; %bb.6723:                             ;   in Loop: Header=BB6_5167 Depth=3
	v_or_b32_e32 v18, 0x7f, v85
                                        ; implicit-def: $vgpr19
; %bb.6724:                             ;   in Loop: Header=BB6_5167 Depth=3
	s_and_not1_saveexec_b32 s42, s42
; %bb.6725:                             ;   in Loop: Header=BB6_5167 Depth=3
	v_cmp_lt_i32_e32 vcc_lo, -1, v19
	v_mov_b32_e32 v12, 0x7c
	s_delay_alu instid0(VALU_DEP_1)
	v_cndmask_b32_e32 v18, 0xfc, v12, vcc_lo
; %bb.6726:                             ;   in Loop: Header=BB6_5167 Depth=3
	s_or_b32 exec_lo, exec_lo, s42
.LBB6_6727:                             ;   in Loop: Header=BB6_5167 Depth=3
	s_delay_alu instid0(SALU_CYCLE_1)
	s_or_b32 exec_lo, exec_lo, s13
	v_dual_mov_b32 v13, 0 :: v_dual_mov_b32 v19, 0
	s_mov_b32 s42, exec_lo
	v_cmpx_lt_u64_e64 s[22:23], v[14:15]
	s_cbranch_execz .LBB6_6737
; %bb.6728:                             ;   in Loop: Header=BB6_5167 Depth=3
	v_lshrrev_b32_e32 v12, 24, v15
	v_bfrev_b32_e32 v19, 1
	s_mov_b32 s43, exec_lo
	s_delay_alu instid0(VALU_DEP_2)
	v_cmpx_ne_u32_e32 0x80, v12
	s_cbranch_execz .LBB6_6736
; %bb.6729:                             ;   in Loop: Header=BB6_5167 Depth=3
	v_and_b32_e32 v19, 0x7c000000, v15
	v_bfe_u32 v85, v15, 24, 2
	s_delay_alu instid0(VALU_DEP_2) | instskip(SKIP_1) | instid1(SALU_CYCLE_1)
	v_cmp_ne_u32_e32 vcc_lo, 0x7c000000, v19
                                        ; implicit-def: $vgpr19
	s_and_saveexec_b32 s13, vcc_lo
	s_xor_b32 s13, exec_lo, s13
	s_cbranch_execz .LBB6_6733
; %bb.6730:                             ;   in Loop: Header=BB6_5167 Depth=3
	v_bfe_u32 v19, v15, 26, 5
	s_mov_b32 s72, exec_lo
	s_delay_alu instid0(VALU_DEP_1)
	v_cmpx_eq_u32_e32 0, v19
; %bb.6731:                             ;   in Loop: Header=BB6_5167 Depth=3
	v_clz_i32_u32_e32 v19, v85
	s_delay_alu instid0(VALU_DEP_1) | instskip(NEXT) | instid1(VALU_DEP_1)
	v_min_u32_e32 v19, 32, v19
	v_subrev_nc_u32_e32 v85, 29, v19
	s_delay_alu instid0(VALU_DEP_1) | instskip(NEXT) | instid1(VALU_DEP_1)
	v_lshlrev_b64_e32 v[86:87], v85, v[12:13]
	v_dual_sub_nc_u32 v19, 30, v19 :: v_dual_bitop2_b32 v85, 3, v86 bitop3:0x40
; %bb.6732:                             ;   in Loop: Header=BB6_5167 Depth=3
	s_or_b32 exec_lo, exec_lo, s72
	v_and_b32_e32 v12, 0x80000000, v15
	s_delay_alu instid0(VALU_DEP_1) | instskip(NEXT) | instid1(VALU_DEP_1)
	v_lshl_add_u32 v12, v19, 23, v12
	v_lshl_or_b32 v12, v85, 21, v12
                                        ; implicit-def: $vgpr85
	s_delay_alu instid0(VALU_DEP_1)
	v_add_nc_u32_e32 v19, 0x38000000, v12
.LBB6_6733:                             ;   in Loop: Header=BB6_5167 Depth=3
	s_and_not1_saveexec_b32 s72, s13
; %bb.6734:                             ;   in Loop: Header=BB6_5167 Depth=3
	v_cmp_lt_i64_e64 s13, -1, v[14:15]
	v_mov_b32_e32 v12, 0x7f800000
	v_cmp_eq_u32_e32 vcc_lo, 0, v85
	s_delay_alu instid0(VALU_DEP_2) | instskip(NEXT) | instid1(VALU_DEP_1)
	v_cndmask_b32_e64 v12, 0xff800000, v12, s13
	v_cndmask_b32_e32 v19, 0x7f800001, v12, vcc_lo
; %bb.6735:                             ;   in Loop: Header=BB6_5167 Depth=3
	s_or_b32 exec_lo, exec_lo, s72
.LBB6_6736:                             ;   in Loop: Header=BB6_5167 Depth=3
	s_delay_alu instid0(SALU_CYCLE_1)
	s_or_b32 exec_lo, exec_lo, s43
.LBB6_6737:                             ;   in Loop: Header=BB6_5167 Depth=3
	s_delay_alu instid0(SALU_CYCLE_1) | instskip(NEXT) | instid1(SALU_CYCLE_1)
	s_or_b32 exec_lo, exec_lo, s42
	s_mov_b32 s42, exec_lo
	v_cmpx_lt_u64_e64 s[22:23], v[4:5]
	s_cbranch_execz .LBB6_6747
; %bb.6738:                             ;   in Loop: Header=BB6_5167 Depth=3
	v_lshrrev_b32_e32 v12, 24, v5
	v_bfrev_b32_e32 v13, 1
	s_mov_b32 s43, exec_lo
	s_delay_alu instid0(VALU_DEP_2)
	v_cmpx_ne_u32_e32 0x80, v12
	s_cbranch_execz .LBB6_6746
; %bb.6739:                             ;   in Loop: Header=BB6_5167 Depth=3
	v_and_b32_e32 v13, 0x7c000000, v5
	v_bfe_u32 v14, v5, 24, 2
	s_delay_alu instid0(VALU_DEP_2) | instskip(SKIP_1) | instid1(SALU_CYCLE_1)
	v_cmp_ne_u32_e32 vcc_lo, 0x7c000000, v13
                                        ; implicit-def: $vgpr13
	s_and_saveexec_b32 s13, vcc_lo
	s_xor_b32 s13, exec_lo, s13
	s_cbranch_execz .LBB6_6743
; %bb.6740:                             ;   in Loop: Header=BB6_5167 Depth=3
	v_bfe_u32 v13, v5, 26, 5
	s_mov_b32 s72, exec_lo
	s_delay_alu instid0(VALU_DEP_1)
	v_cmpx_eq_u32_e32 0, v13
; %bb.6741:                             ;   in Loop: Header=BB6_5167 Depth=3
	v_clz_i32_u32_e32 v13, v14
	s_delay_alu instid0(VALU_DEP_1) | instskip(NEXT) | instid1(VALU_DEP_1)
	v_min_u32_e32 v14, 32, v13
	v_subrev_nc_u32_e32 v13, 29, v14
	s_delay_alu instid0(VALU_DEP_1) | instskip(NEXT) | instid1(VALU_DEP_1)
	v_lshlrev_b64_e32 v[12:13], v13, v[12:13]
	v_dual_sub_nc_u32 v13, 30, v14 :: v_dual_bitop2_b32 v14, 3, v12 bitop3:0x40
; %bb.6742:                             ;   in Loop: Header=BB6_5167 Depth=3
	s_or_b32 exec_lo, exec_lo, s72
	v_and_b32_e32 v12, 0x80000000, v5
	s_delay_alu instid0(VALU_DEP_1) | instskip(NEXT) | instid1(VALU_DEP_1)
	v_lshl_add_u32 v12, v13, 23, v12
	v_lshl_or_b32 v12, v14, 21, v12
                                        ; implicit-def: $vgpr14
	s_delay_alu instid0(VALU_DEP_1)
	v_add_nc_u32_e32 v13, 0x38000000, v12
.LBB6_6743:                             ;   in Loop: Header=BB6_5167 Depth=3
	s_and_not1_saveexec_b32 s72, s13
; %bb.6744:                             ;   in Loop: Header=BB6_5167 Depth=3
	v_cmp_lt_i64_e64 s13, -1, v[4:5]
	v_mov_b32_e32 v4, 0x7f800000
	v_cmp_eq_u32_e32 vcc_lo, 0, v14
	s_delay_alu instid0(VALU_DEP_2) | instskip(NEXT) | instid1(VALU_DEP_1)
	v_cndmask_b32_e64 v4, 0xff800000, v4, s13
	v_cndmask_b32_e32 v13, 0x7f800001, v4, vcc_lo
; %bb.6745:                             ;   in Loop: Header=BB6_5167 Depth=3
	s_or_b32 exec_lo, exec_lo, s72
.LBB6_6746:                             ;   in Loop: Header=BB6_5167 Depth=3
	s_delay_alu instid0(SALU_CYCLE_1)
	s_or_b32 exec_lo, exec_lo, s43
.LBB6_6747:                             ;   in Loop: Header=BB6_5167 Depth=3
	s_delay_alu instid0(SALU_CYCLE_1) | instskip(NEXT) | instid1(VALU_DEP_1)
	s_or_b32 exec_lo, exec_lo, s42
	v_dual_mul_f32 v12, v19, v13 :: v_dual_mov_b32 v15, v21
	v_mov_b32_e32 v5, v21
                                        ; implicit-def: $vgpr19
	s_mov_b32 s13, exec_lo
	s_delay_alu instid0(VALU_DEP_2) | instskip(SKIP_2) | instid1(VALU_DEP_3)
	v_and_b32_e32 v14, 0x7f800000, v12
	v_and_b32_e32 v4, 0x7fffff, v12
	v_lshrrev_b32_e32 v13, 24, v12
	v_cmpx_ne_u64_e32 0x7f800000, v[14:15]
	s_xor_b32 s42, exec_lo, s13
	s_cbranch_execz .LBB6_6761
; %bb.6748:                             ;   in Loop: Header=BB6_5167 Depth=3
	v_and_b32_e32 v14, 0x7fffffff, v12
	v_mov_b32_e32 v15, v21
                                        ; implicit-def: $vgpr19
	s_delay_alu instid0(VALU_DEP_1) | instskip(SKIP_2) | instid1(SALU_CYCLE_1)
	v_cmp_gt_u64_e32 vcc_lo, 0x47600001, v[14:15]
	v_and_b32_e32 v14, 0x80, v13
	s_and_saveexec_b32 s13, vcc_lo
	s_xor_b32 s43, exec_lo, s13
	s_cbranch_execz .LBB6_6758
; %bb.6749:                             ;   in Loop: Header=BB6_5167 Depth=3
	v_mov_b32_e32 v19, 0
	s_mov_b32 s72, exec_lo
	v_cmpx_ne_u32_e32 0, v12
	s_cbranch_execz .LBB6_6757
; %bb.6750:                             ;   in Loop: Header=BB6_5167 Depth=3
	v_bfe_u32 v15, v12, 23, 8
	v_or_b32_e32 v13, 0x800000, v4
	s_delay_alu instid0(VALU_DEP_2) | instskip(SKIP_2) | instid1(VALU_DEP_2)
	v_cmp_gt_u32_e64 s13, 0x72, v15
	v_sub_nc_u32_e32 v12, 0x71, v15
	v_cmp_eq_u32_e32 vcc_lo, 0, v15
	v_cndmask_b32_e64 v12, 0, v12, s13
	s_delay_alu instid0(VALU_DEP_1) | instskip(NEXT) | instid1(VALU_DEP_1)
	v_cndmask_b32_e64 v19, v12, 0x70, vcc_lo
	v_dual_cndmask_b32 v4, v13, v4, vcc_lo :: v_dual_add_nc_u32 v12, 21, v19
	v_add_nc_u32_e32 v85, 20, v19
	s_delay_alu instid0(VALU_DEP_2) | instskip(NEXT) | instid1(VALU_DEP_2)
	v_lshlrev_b64_e64 v[12:13], v12, -1
	v_lshlrev_b64_e64 v[86:87], v85, 1
	s_delay_alu instid0(VALU_DEP_2) | instskip(SKIP_1) | instid1(VALU_DEP_4)
	v_bfi_b32 v12, v12, 0, v4
	v_lshrrev_b64 v[4:5], v19, v[4:5]
	v_bfi_b32 v13, v13, 0, 0
	s_delay_alu instid0(VALU_DEP_1) | instskip(NEXT) | instid1(VALU_DEP_3)
	v_cmp_eq_u64_e64 s13, v[12:13], v[86:87]
	v_mov_b64_e32 v[12:13], v[4:5]
	s_and_saveexec_b32 s73, s13
; %bb.6751:                             ;   in Loop: Header=BB6_5167 Depth=3
	v_bfe_u32 v12, v4, 21, 1
	v_mov_b32_e32 v13, v21
	s_delay_alu instid0(VALU_DEP_1) | instskip(NEXT) | instid1(VALU_DEP_1)
	v_add_nc_u64_e32 v[12:13], v[4:5], v[12:13]
	v_add_nc_u64_e32 v[12:13], -1, v[12:13]
; %bb.6752:                             ;   in Loop: Header=BB6_5167 Depth=3
	s_or_b32 exec_lo, exec_lo, s73
	v_add_nc_u32_e32 v5, 0xffffff81, v15
	v_lshrrev_b32_e32 v13, 23, v4
	s_mov_b32 s13, exec_lo
	s_delay_alu instid0(VALU_DEP_2) | instskip(NEXT) | instid1(VALU_DEP_1)
	v_cndmask_b32_e64 v5, v5, 0xffffff82, vcc_lo
	v_add3_u32 v15, v19, v5, v13
	v_and_b32_e32 v5, 0x1fffff, v12
                                        ; implicit-def: $vgpr12
	s_delay_alu instid0(VALU_DEP_1) | instskip(SKIP_1) | instid1(VALU_DEP_2)
	v_dual_add_nc_u32 v13, 14, v15 :: v_dual_add_nc_u32 v4, v5, v4
	v_mov_b32_e32 v5, v21
	v_cmpx_ne_u32_e32 0, v13
	s_xor_b32 s13, exec_lo, s13
; %bb.6753:                             ;   in Loop: Header=BB6_5167 Depth=3
	s_delay_alu instid0(VALU_DEP_2) | instskip(SKIP_1) | instid1(VALU_DEP_1)
	v_cmp_lt_u64_e32 vcc_lo, 0xffffff, v[4:5]
	v_add_nc_u32_e32 v12, 15, v15
	v_cndmask_b32_e32 v12, v13, v12, vcc_lo
	v_cndmask_b32_e64 v13, 0, 1, vcc_lo
	s_delay_alu instid0(VALU_DEP_1)
	v_lshrrev_b64 v[4:5], v13, v[4:5]
; %bb.6754:                             ;   in Loop: Header=BB6_5167 Depth=3
	s_and_not1_saveexec_b32 s13, s13
; %bb.6755:                             ;   in Loop: Header=BB6_5167 Depth=3
	s_delay_alu instid0(VALU_DEP_1)
	v_bfe_u32 v12, v4, 23, 1
; %bb.6756:                             ;   in Loop: Header=BB6_5167 Depth=3
	s_or_b32 exec_lo, exec_lo, s13
	s_delay_alu instid0(VALU_DEP_2) | instskip(NEXT) | instid1(VALU_DEP_2)
	v_lshrrev_b64 v[4:5], 21, v[4:5]
	v_cmp_gt_i32_e32 vcc_lo, 32, v12
	v_min_i32_e32 v13, 31, v12
	v_cmp_eq_u32_e64 s13, 0, v12
	s_delay_alu instid0(VALU_DEP_4) | instskip(NEXT) | instid1(VALU_DEP_3)
	v_cndmask_b32_e32 v5, 0, v5, vcc_lo
	v_dual_cndmask_b32 v4, 3, v4 :: v_dual_lshlrev_b32 v13, 2, v13
	s_delay_alu instid0(VALU_DEP_1) | instskip(NEXT) | instid1(VALU_DEP_2)
	v_and_b32_e32 v13, 0xfc, v13
	v_cmp_eq_u64_e32 vcc_lo, 0, v[4:5]
	s_delay_alu instid0(VALU_DEP_2)
	v_and_or_b32 v4, v4, 3, v13
	s_and_b32 s13, s13, vcc_lo
	s_delay_alu instid0(VALU_DEP_1) | instid1(SALU_CYCLE_1)
	v_cndmask_b32_e64 v4, v4, 0, s13
	s_delay_alu instid0(VALU_DEP_1)
	v_or_b32_e32 v19, v4, v14
.LBB6_6757:                             ;   in Loop: Header=BB6_5167 Depth=3
	s_or_b32 exec_lo, exec_lo, s72
                                        ; implicit-def: $vgpr14
.LBB6_6758:                             ;   in Loop: Header=BB6_5167 Depth=3
	s_and_not1_saveexec_b32 s13, s43
; %bb.6759:                             ;   in Loop: Header=BB6_5167 Depth=3
	v_or_b32_e32 v19, 0x7b, v14
; %bb.6760:                             ;   in Loop: Header=BB6_5167 Depth=3
	s_or_b32 exec_lo, exec_lo, s13
                                        ; implicit-def: $vgpr12
                                        ; implicit-def: $vgpr4_vgpr5
                                        ; implicit-def: $vgpr13
.LBB6_6761:                             ;   in Loop: Header=BB6_5167 Depth=3
	s_and_not1_saveexec_b32 s13, s42
	s_cbranch_execz .LBB6_6767
; %bb.6762:                             ;   in Loop: Header=BB6_5167 Depth=3
	s_mov_b32 s42, exec_lo
                                        ; implicit-def: $vgpr19
	v_cmpx_ne_u64_e32 0, v[4:5]
	s_xor_b32 s42, exec_lo, s42
; %bb.6763:                             ;   in Loop: Header=BB6_5167 Depth=3
	v_or_b32_e32 v19, 0x7f, v13
                                        ; implicit-def: $vgpr12
; %bb.6764:                             ;   in Loop: Header=BB6_5167 Depth=3
	s_and_not1_saveexec_b32 s42, s42
; %bb.6765:                             ;   in Loop: Header=BB6_5167 Depth=3
	v_cmp_lt_i32_e32 vcc_lo, -1, v12
	v_mov_b32_e32 v4, 0x7c
	s_delay_alu instid0(VALU_DEP_1)
	v_cndmask_b32_e32 v19, 0xfc, v4, vcc_lo
; %bb.6766:                             ;   in Loop: Header=BB6_5167 Depth=3
	s_or_b32 exec_lo, exec_lo, s42
.LBB6_6767:                             ;   in Loop: Header=BB6_5167 Depth=3
	s_delay_alu instid0(SALU_CYCLE_1) | instskip(SKIP_2) | instid1(VALU_DEP_2)
	s_or_b32 exec_lo, exec_lo, s13
	v_and_b32_e32 v5, 0xff, v16
	v_mov_b32_e32 v4, 0
	v_cmp_ne_u16_e32 vcc_lo, 0, v5
	v_mov_b32_e32 v5, 0
	s_and_saveexec_b32 s42, vcc_lo
	s_cbranch_execz .LBB6_6777
; %bb.6768:                             ;   in Loop: Header=BB6_5167 Depth=3
	v_bfe_i32 v13, v16, 0, 8
	v_bfrev_b32_e32 v5, 1
	s_mov_b32 s43, exec_lo
	s_delay_alu instid0(VALU_DEP_2)
	v_cmpx_ne_u16_e32 0xff80, v13
	s_cbranch_execz .LBB6_6776
; %bb.6769:                             ;   in Loop: Header=BB6_5167 Depth=3
	v_and_b32_e32 v5, 0x7c, v16
	v_and_b32_e32 v12, 3, v16
	s_delay_alu instid0(VALU_DEP_2) | instskip(SKIP_1) | instid1(SALU_CYCLE_1)
	v_cmp_ne_u32_e32 vcc_lo, 0x7c, v5
                                        ; implicit-def: $vgpr5
	s_and_saveexec_b32 s13, vcc_lo
	s_xor_b32 s13, exec_lo, s13
	s_cbranch_execz .LBB6_6773
; %bb.6770:                             ;   in Loop: Header=BB6_5167 Depth=3
	v_bfe_u32 v5, v16, 2, 5
	s_mov_b32 s72, exec_lo
	s_delay_alu instid0(VALU_DEP_1)
	v_cmpx_eq_u32_e32 0, v5
; %bb.6771:                             ;   in Loop: Header=BB6_5167 Depth=3
	v_clz_i32_u32_e32 v5, v12
	s_delay_alu instid0(VALU_DEP_1) | instskip(NEXT) | instid1(VALU_DEP_1)
	v_min_u32_e32 v5, 32, v5
	v_subrev_nc_u32_e32 v12, 29, v5
	s_delay_alu instid0(VALU_DEP_1) | instskip(NEXT) | instid1(VALU_DEP_1)
	v_lshlrev_b64_e32 v[12:13], v12, v[16:17]
	v_dual_sub_nc_u32 v5, 30, v5 :: v_dual_bitop2_b32 v12, 3, v12 bitop3:0x40
; %bb.6772:                             ;   in Loop: Header=BB6_5167 Depth=3
	s_or_b32 exec_lo, exec_lo, s72
	v_lshlrev_b32_e32 v13, 24, v16
	s_delay_alu instid0(VALU_DEP_1) | instskip(NEXT) | instid1(VALU_DEP_1)
	v_and_b32_e32 v13, 0x80000000, v13
	v_lshl_add_u32 v5, v5, 23, v13
                                        ; implicit-def: $vgpr13
	s_delay_alu instid0(VALU_DEP_1) | instskip(NEXT) | instid1(VALU_DEP_1)
	v_lshl_or_b32 v5, v12, 21, v5
                                        ; implicit-def: $vgpr12
	v_add_nc_u32_e32 v5, 0x38000000, v5
.LBB6_6773:                             ;   in Loop: Header=BB6_5167 Depth=3
	s_and_not1_saveexec_b32 s72, s13
; %bb.6774:                             ;   in Loop: Header=BB6_5167 Depth=3
	v_cmp_lt_i16_e64 s13, -1, v13
	v_mov_b32_e32 v5, 0x7f800000
	v_cmp_eq_u32_e32 vcc_lo, 0, v12
	s_delay_alu instid0(VALU_DEP_2) | instskip(NEXT) | instid1(VALU_DEP_1)
	v_cndmask_b32_e64 v5, 0xff800000, v5, s13
	v_cndmask_b32_e32 v5, 0x7f800001, v5, vcc_lo
; %bb.6775:                             ;   in Loop: Header=BB6_5167 Depth=3
	s_or_b32 exec_lo, exec_lo, s72
.LBB6_6776:                             ;   in Loop: Header=BB6_5167 Depth=3
	s_delay_alu instid0(SALU_CYCLE_1)
	s_or_b32 exec_lo, exec_lo, s43
.LBB6_6777:                             ;   in Loop: Header=BB6_5167 Depth=3
	s_delay_alu instid0(SALU_CYCLE_1) | instskip(SKIP_2) | instid1(VALU_DEP_1)
	s_or_b32 exec_lo, exec_lo, s42
	v_and_b32_e32 v12, 0xff, v6
	s_mov_b32 s42, exec_lo
	v_cmpx_ne_u16_e32 0, v12
	s_cbranch_execz .LBB6_6787
; %bb.6778:                             ;   in Loop: Header=BB6_5167 Depth=3
	v_bfe_i32 v13, v6, 0, 8
	v_bfrev_b32_e32 v4, 1
	s_mov_b32 s43, exec_lo
	s_delay_alu instid0(VALU_DEP_2)
	v_cmpx_ne_u16_e32 0xff80, v13
	s_cbranch_execz .LBB6_6786
; %bb.6779:                             ;   in Loop: Header=BB6_5167 Depth=3
	v_and_b32_e32 v4, 0x7c, v6
	v_and_b32_e32 v12, 3, v6
	s_delay_alu instid0(VALU_DEP_2) | instskip(SKIP_1) | instid1(SALU_CYCLE_1)
	v_cmp_ne_u32_e32 vcc_lo, 0x7c, v4
                                        ; implicit-def: $vgpr4
	s_and_saveexec_b32 s13, vcc_lo
	s_xor_b32 s13, exec_lo, s13
	s_cbranch_execz .LBB6_6783
; %bb.6780:                             ;   in Loop: Header=BB6_5167 Depth=3
	v_bfe_u32 v4, v6, 2, 5
	s_mov_b32 s72, exec_lo
	s_delay_alu instid0(VALU_DEP_1)
	v_cmpx_eq_u32_e32 0, v4
; %bb.6781:                             ;   in Loop: Header=BB6_5167 Depth=3
	v_clz_i32_u32_e32 v4, v12
	s_delay_alu instid0(VALU_DEP_1) | instskip(NEXT) | instid1(VALU_DEP_1)
	v_min_u32_e32 v4, 32, v4
	v_subrev_nc_u32_e32 v12, 29, v4
	v_sub_nc_u32_e32 v4, 30, v4
	s_delay_alu instid0(VALU_DEP_2) | instskip(NEXT) | instid1(VALU_DEP_1)
	v_lshlrev_b64_e32 v[12:13], v12, v[6:7]
	v_and_b32_e32 v12, 3, v12
; %bb.6782:                             ;   in Loop: Header=BB6_5167 Depth=3
	s_or_b32 exec_lo, exec_lo, s72
	v_lshlrev_b32_e32 v13, 24, v6
	s_delay_alu instid0(VALU_DEP_1) | instskip(NEXT) | instid1(VALU_DEP_1)
	v_and_b32_e32 v13, 0x80000000, v13
	v_lshl_add_u32 v4, v4, 23, v13
                                        ; implicit-def: $vgpr13
	s_delay_alu instid0(VALU_DEP_1) | instskip(NEXT) | instid1(VALU_DEP_1)
	v_lshl_or_b32 v4, v12, 21, v4
                                        ; implicit-def: $vgpr12
	v_add_nc_u32_e32 v4, 0x38000000, v4
.LBB6_6783:                             ;   in Loop: Header=BB6_5167 Depth=3
	s_and_not1_saveexec_b32 s72, s13
; %bb.6784:                             ;   in Loop: Header=BB6_5167 Depth=3
	v_cmp_lt_i16_e64 s13, -1, v13
	v_mov_b32_e32 v4, 0x7f800000
	v_cmp_eq_u32_e32 vcc_lo, 0, v12
	s_delay_alu instid0(VALU_DEP_2) | instskip(NEXT) | instid1(VALU_DEP_1)
	v_cndmask_b32_e64 v4, 0xff800000, v4, s13
	v_cndmask_b32_e32 v4, 0x7f800001, v4, vcc_lo
; %bb.6785:                             ;   in Loop: Header=BB6_5167 Depth=3
	s_or_b32 exec_lo, exec_lo, s72
.LBB6_6786:                             ;   in Loop: Header=BB6_5167 Depth=3
	s_delay_alu instid0(SALU_CYCLE_1)
	s_or_b32 exec_lo, exec_lo, s43
.LBB6_6787:                             ;   in Loop: Header=BB6_5167 Depth=3
	s_delay_alu instid0(SALU_CYCLE_1) | instskip(NEXT) | instid1(VALU_DEP_1)
	s_or_b32 exec_lo, exec_lo, s42
	v_mul_f32_e32 v12, v5, v4
	v_dual_mov_b32 v15, v21 :: v_dual_mov_b32 v5, v21
                                        ; implicit-def: $vgpr85
	s_mov_b32 s13, exec_lo
	s_delay_alu instid0(VALU_DEP_2) | instskip(SKIP_2) | instid1(VALU_DEP_3)
	v_and_b32_e32 v14, 0x7f800000, v12
	v_and_b32_e32 v4, 0x7fffff, v12
	v_lshrrev_b32_e32 v13, 24, v12
	v_cmpx_ne_u64_e32 0x7f800000, v[14:15]
	s_xor_b32 s42, exec_lo, s13
	s_cbranch_execz .LBB6_6801
; %bb.6788:                             ;   in Loop: Header=BB6_5167 Depth=3
	v_and_b32_e32 v14, 0x7fffffff, v12
	v_mov_b32_e32 v15, v21
                                        ; implicit-def: $vgpr85
	s_delay_alu instid0(VALU_DEP_1) | instskip(SKIP_2) | instid1(SALU_CYCLE_1)
	v_cmp_gt_u64_e32 vcc_lo, 0x47600001, v[14:15]
	v_and_b32_e32 v14, 0x80, v13
	s_and_saveexec_b32 s13, vcc_lo
	s_xor_b32 s43, exec_lo, s13
	s_cbranch_execz .LBB6_6798
; %bb.6789:                             ;   in Loop: Header=BB6_5167 Depth=3
	v_mov_b32_e32 v85, 0
	s_mov_b32 s72, exec_lo
	v_cmpx_ne_u32_e32 0, v12
	s_cbranch_execz .LBB6_6797
; %bb.6790:                             ;   in Loop: Header=BB6_5167 Depth=3
	v_bfe_u32 v15, v12, 23, 8
	v_or_b32_e32 v13, 0x800000, v4
	s_delay_alu instid0(VALU_DEP_2) | instskip(SKIP_2) | instid1(VALU_DEP_2)
	v_cmp_gt_u32_e64 s13, 0x72, v15
	v_sub_nc_u32_e32 v12, 0x71, v15
	v_cmp_eq_u32_e32 vcc_lo, 0, v15
	v_cndmask_b32_e64 v12, 0, v12, s13
	s_delay_alu instid0(VALU_DEP_1) | instskip(NEXT) | instid1(VALU_DEP_1)
	v_cndmask_b32_e64 v85, v12, 0x70, vcc_lo
	v_dual_cndmask_b32 v4, v13, v4, vcc_lo :: v_dual_add_nc_u32 v12, 21, v85
	v_add_nc_u32_e32 v86, 20, v85
	s_delay_alu instid0(VALU_DEP_2) | instskip(NEXT) | instid1(VALU_DEP_2)
	v_lshlrev_b64_e64 v[12:13], v12, -1
	v_lshlrev_b64_e64 v[86:87], v86, 1
	s_delay_alu instid0(VALU_DEP_2) | instskip(SKIP_1) | instid1(VALU_DEP_4)
	v_bfi_b32 v12, v12, 0, v4
	v_lshrrev_b64 v[4:5], v85, v[4:5]
	v_bfi_b32 v13, v13, 0, 0
	s_delay_alu instid0(VALU_DEP_1) | instskip(NEXT) | instid1(VALU_DEP_3)
	v_cmp_eq_u64_e64 s13, v[12:13], v[86:87]
	v_mov_b64_e32 v[12:13], v[4:5]
	s_and_saveexec_b32 s73, s13
; %bb.6791:                             ;   in Loop: Header=BB6_5167 Depth=3
	v_bfe_u32 v12, v4, 21, 1
	v_mov_b32_e32 v13, v21
	s_delay_alu instid0(VALU_DEP_1) | instskip(NEXT) | instid1(VALU_DEP_1)
	v_add_nc_u64_e32 v[12:13], v[4:5], v[12:13]
	v_add_nc_u64_e32 v[12:13], -1, v[12:13]
; %bb.6792:                             ;   in Loop: Header=BB6_5167 Depth=3
	s_or_b32 exec_lo, exec_lo, s73
	v_add_nc_u32_e32 v5, 0xffffff81, v15
	v_lshrrev_b32_e32 v13, 23, v4
	s_mov_b32 s13, exec_lo
	s_delay_alu instid0(VALU_DEP_2) | instskip(NEXT) | instid1(VALU_DEP_1)
	v_cndmask_b32_e64 v5, v5, 0xffffff82, vcc_lo
	v_add3_u32 v15, v85, v5, v13
	v_and_b32_e32 v5, 0x1fffff, v12
                                        ; implicit-def: $vgpr12
	s_delay_alu instid0(VALU_DEP_1) | instskip(SKIP_1) | instid1(VALU_DEP_2)
	v_dual_add_nc_u32 v13, 14, v15 :: v_dual_add_nc_u32 v4, v5, v4
	v_mov_b32_e32 v5, v21
	v_cmpx_ne_u32_e32 0, v13
	s_xor_b32 s13, exec_lo, s13
; %bb.6793:                             ;   in Loop: Header=BB6_5167 Depth=3
	s_delay_alu instid0(VALU_DEP_2) | instskip(SKIP_1) | instid1(VALU_DEP_1)
	v_cmp_lt_u64_e32 vcc_lo, 0xffffff, v[4:5]
	v_add_nc_u32_e32 v12, 15, v15
	v_cndmask_b32_e32 v12, v13, v12, vcc_lo
	v_cndmask_b32_e64 v13, 0, 1, vcc_lo
	s_delay_alu instid0(VALU_DEP_1)
	v_lshrrev_b64 v[4:5], v13, v[4:5]
; %bb.6794:                             ;   in Loop: Header=BB6_5167 Depth=3
	s_and_not1_saveexec_b32 s13, s13
; %bb.6795:                             ;   in Loop: Header=BB6_5167 Depth=3
	s_delay_alu instid0(VALU_DEP_1)
	v_bfe_u32 v12, v4, 23, 1
; %bb.6796:                             ;   in Loop: Header=BB6_5167 Depth=3
	s_or_b32 exec_lo, exec_lo, s13
	s_delay_alu instid0(VALU_DEP_2) | instskip(NEXT) | instid1(VALU_DEP_2)
	v_lshrrev_b64 v[4:5], 21, v[4:5]
	v_cmp_gt_i32_e32 vcc_lo, 32, v12
	v_min_i32_e32 v13, 31, v12
	v_cmp_eq_u32_e64 s13, 0, v12
	s_delay_alu instid0(VALU_DEP_4) | instskip(NEXT) | instid1(VALU_DEP_3)
	v_cndmask_b32_e32 v5, 0, v5, vcc_lo
	v_dual_cndmask_b32 v4, 3, v4 :: v_dual_lshlrev_b32 v13, 2, v13
	s_delay_alu instid0(VALU_DEP_1) | instskip(NEXT) | instid1(VALU_DEP_2)
	v_and_b32_e32 v13, 0xfc, v13
	v_cmp_eq_u64_e32 vcc_lo, 0, v[4:5]
	s_delay_alu instid0(VALU_DEP_2)
	v_and_or_b32 v4, v4, 3, v13
	s_and_b32 s13, s13, vcc_lo
	s_delay_alu instid0(VALU_DEP_1) | instid1(SALU_CYCLE_1)
	v_cndmask_b32_e64 v4, v4, 0, s13
	s_delay_alu instid0(VALU_DEP_1)
	v_or_b32_e32 v85, v4, v14
.LBB6_6797:                             ;   in Loop: Header=BB6_5167 Depth=3
	s_or_b32 exec_lo, exec_lo, s72
                                        ; implicit-def: $vgpr14
.LBB6_6798:                             ;   in Loop: Header=BB6_5167 Depth=3
	s_and_not1_saveexec_b32 s13, s43
; %bb.6799:                             ;   in Loop: Header=BB6_5167 Depth=3
	v_or_b32_e32 v85, 0x7b, v14
; %bb.6800:                             ;   in Loop: Header=BB6_5167 Depth=3
	s_or_b32 exec_lo, exec_lo, s13
                                        ; implicit-def: $vgpr12
                                        ; implicit-def: $vgpr4_vgpr5
                                        ; implicit-def: $vgpr13
.LBB6_6801:                             ;   in Loop: Header=BB6_5167 Depth=3
	s_and_not1_saveexec_b32 s13, s42
	s_cbranch_execz .LBB6_6807
; %bb.6802:                             ;   in Loop: Header=BB6_5167 Depth=3
	s_mov_b32 s42, exec_lo
                                        ; implicit-def: $vgpr85
	v_cmpx_ne_u64_e32 0, v[4:5]
	s_xor_b32 s42, exec_lo, s42
; %bb.6803:                             ;   in Loop: Header=BB6_5167 Depth=3
	v_or_b32_e32 v85, 0x7f, v13
                                        ; implicit-def: $vgpr12
; %bb.6804:                             ;   in Loop: Header=BB6_5167 Depth=3
	s_and_not1_saveexec_b32 s42, s42
; %bb.6805:                             ;   in Loop: Header=BB6_5167 Depth=3
	v_cmp_lt_i32_e32 vcc_lo, -1, v12
	v_mov_b32_e32 v4, 0x7c
	s_delay_alu instid0(VALU_DEP_1)
	v_cndmask_b32_e32 v85, 0xfc, v4, vcc_lo
; %bb.6806:                             ;   in Loop: Header=BB6_5167 Depth=3
	s_or_b32 exec_lo, exec_lo, s42
.LBB6_6807:                             ;   in Loop: Header=BB6_5167 Depth=3
	s_delay_alu instid0(SALU_CYCLE_1) | instskip(SKIP_3) | instid1(VALU_DEP_2)
	s_or_b32 exec_lo, exec_lo, s13
	v_lshrrev_b16 v4, 8, v16
	v_dual_mov_b32 v12, 0 :: v_dual_mov_b32 v13, 0
	s_mov_b32 s42, exec_lo
	v_cmpx_ne_u16_e32 0, v4
	s_cbranch_execz .LBB6_6817
; %bb.6808:                             ;   in Loop: Header=BB6_5167 Depth=3
	v_bfrev_b32_e32 v13, 1
	s_mov_b32 s43, exec_lo
	v_cmpx_ne_u16_e32 0x80, v4
	s_cbranch_execz .LBB6_6816
; %bb.6809:                             ;   in Loop: Header=BB6_5167 Depth=3
	v_and_b32_e32 v14, 0xffff, v4
	s_delay_alu instid0(VALU_DEP_1) | instskip(SKIP_1) | instid1(VALU_DEP_2)
	v_and_b32_e32 v13, 0x7c, v14
	v_and_b32_e32 v5, 3, v14
	v_cmp_ne_u32_e32 vcc_lo, 0x7c, v13
                                        ; implicit-def: $vgpr13
	s_and_saveexec_b32 s13, vcc_lo
	s_delay_alu instid0(SALU_CYCLE_1)
	s_xor_b32 s13, exec_lo, s13
	s_cbranch_execz .LBB6_6813
; %bb.6810:                             ;   in Loop: Header=BB6_5167 Depth=3
	v_bfe_u32 v13, v14, 2, 5
	s_mov_b32 s72, exec_lo
	s_delay_alu instid0(VALU_DEP_1)
	v_cmpx_eq_u32_e32 0, v13
	s_cbranch_execz .LBB6_6812
; %bb.6811:                             ;   in Loop: Header=BB6_5167 Depth=3
	v_clz_i32_u32_e32 v5, v5
	s_delay_alu instid0(VALU_DEP_1) | instskip(SKIP_1) | instid1(VALU_DEP_2)
	v_min_u32_e32 v13, 32, v5
	v_mov_b32_e32 v5, v21
	v_subrev_nc_u32_e32 v14, 29, v13
	v_sub_nc_u32_e32 v13, 30, v13
	s_delay_alu instid0(VALU_DEP_2) | instskip(NEXT) | instid1(VALU_DEP_1)
	v_lshlrev_b64_e32 v[4:5], v14, v[4:5]
	v_and_b32_e32 v5, 3, v4
.LBB6_6812:                             ;   in Loop: Header=BB6_5167 Depth=3
	s_or_b32 exec_lo, exec_lo, s72
	v_lshlrev_b32_e32 v4, 16, v16
	s_delay_alu instid0(VALU_DEP_1) | instskip(NEXT) | instid1(VALU_DEP_1)
	v_and_b32_e32 v4, 0x80000000, v4
	v_lshl_add_u32 v4, v13, 23, v4
	s_delay_alu instid0(VALU_DEP_1) | instskip(NEXT) | instid1(VALU_DEP_1)
	v_lshl_or_b32 v4, v5, 21, v4
                                        ; implicit-def: $vgpr5
	v_add_nc_u32_e32 v13, 0x38000000, v4
.LBB6_6813:                             ;   in Loop: Header=BB6_5167 Depth=3
	s_and_not1_saveexec_b32 s72, s13
; %bb.6814:                             ;   in Loop: Header=BB6_5167 Depth=3
	v_cmp_lt_i16_e64 s13, -1, v16
	v_mov_b32_e32 v4, 0x7f800000
	v_cmp_eq_u32_e32 vcc_lo, 0, v5
	s_delay_alu instid0(VALU_DEP_2) | instskip(NEXT) | instid1(VALU_DEP_1)
	v_cndmask_b32_e64 v4, 0xff800000, v4, s13
	v_cndmask_b32_e32 v13, 0x7f800001, v4, vcc_lo
; %bb.6815:                             ;   in Loop: Header=BB6_5167 Depth=3
	s_or_b32 exec_lo, exec_lo, s72
.LBB6_6816:                             ;   in Loop: Header=BB6_5167 Depth=3
	s_delay_alu instid0(SALU_CYCLE_1)
	s_or_b32 exec_lo, exec_lo, s43
.LBB6_6817:                             ;   in Loop: Header=BB6_5167 Depth=3
	s_delay_alu instid0(SALU_CYCLE_1) | instskip(SKIP_2) | instid1(VALU_DEP_1)
	s_or_b32 exec_lo, exec_lo, s42
	v_lshrrev_b16 v4, 8, v6
	s_mov_b32 s42, exec_lo
	v_cmpx_ne_u16_e32 0, v4
	s_cbranch_execz .LBB6_6827
; %bb.6818:                             ;   in Loop: Header=BB6_5167 Depth=3
	v_bfrev_b32_e32 v12, 1
	s_mov_b32 s43, exec_lo
	v_cmpx_ne_u16_e32 0x80, v4
	s_cbranch_execz .LBB6_6826
; %bb.6819:                             ;   in Loop: Header=BB6_5167 Depth=3
	v_and_b32_e32 v14, 0xffff, v4
	s_delay_alu instid0(VALU_DEP_1) | instskip(SKIP_1) | instid1(VALU_DEP_2)
	v_and_b32_e32 v12, 0x7c, v14
	v_and_b32_e32 v5, 3, v14
	v_cmp_ne_u32_e32 vcc_lo, 0x7c, v12
                                        ; implicit-def: $vgpr12
	s_and_saveexec_b32 s13, vcc_lo
	s_delay_alu instid0(SALU_CYCLE_1)
	s_xor_b32 s13, exec_lo, s13
	s_cbranch_execz .LBB6_6823
; %bb.6820:                             ;   in Loop: Header=BB6_5167 Depth=3
	v_bfe_u32 v12, v14, 2, 5
	s_mov_b32 s72, exec_lo
	s_delay_alu instid0(VALU_DEP_1)
	v_cmpx_eq_u32_e32 0, v12
	s_cbranch_execz .LBB6_6822
; %bb.6821:                             ;   in Loop: Header=BB6_5167 Depth=3
	v_clz_i32_u32_e32 v5, v5
	s_delay_alu instid0(VALU_DEP_1) | instskip(SKIP_1) | instid1(VALU_DEP_2)
	v_min_u32_e32 v12, 32, v5
	v_mov_b32_e32 v5, v21
	v_subrev_nc_u32_e32 v14, 29, v12
	v_sub_nc_u32_e32 v12, 30, v12
	s_delay_alu instid0(VALU_DEP_2) | instskip(NEXT) | instid1(VALU_DEP_1)
	v_lshlrev_b64_e32 v[4:5], v14, v[4:5]
	v_and_b32_e32 v5, 3, v4
.LBB6_6822:                             ;   in Loop: Header=BB6_5167 Depth=3
	s_or_b32 exec_lo, exec_lo, s72
	v_lshlrev_b32_e32 v4, 16, v6
	s_delay_alu instid0(VALU_DEP_1) | instskip(NEXT) | instid1(VALU_DEP_1)
	v_and_b32_e32 v4, 0x80000000, v4
	v_lshl_add_u32 v4, v12, 23, v4
	s_delay_alu instid0(VALU_DEP_1) | instskip(NEXT) | instid1(VALU_DEP_1)
	v_lshl_or_b32 v4, v5, 21, v4
                                        ; implicit-def: $vgpr5
	v_add_nc_u32_e32 v12, 0x38000000, v4
.LBB6_6823:                             ;   in Loop: Header=BB6_5167 Depth=3
	s_and_not1_saveexec_b32 s72, s13
; %bb.6824:                             ;   in Loop: Header=BB6_5167 Depth=3
	v_cmp_lt_i16_e64 s13, -1, v6
	v_mov_b32_e32 v4, 0x7f800000
	v_cmp_eq_u32_e32 vcc_lo, 0, v5
	s_delay_alu instid0(VALU_DEP_2) | instskip(NEXT) | instid1(VALU_DEP_1)
	v_cndmask_b32_e64 v4, 0xff800000, v4, s13
	v_cndmask_b32_e32 v12, 0x7f800001, v4, vcc_lo
; %bb.6825:                             ;   in Loop: Header=BB6_5167 Depth=3
	s_or_b32 exec_lo, exec_lo, s72
.LBB6_6826:                             ;   in Loop: Header=BB6_5167 Depth=3
	s_delay_alu instid0(SALU_CYCLE_1)
	s_or_b32 exec_lo, exec_lo, s43
.LBB6_6827:                             ;   in Loop: Header=BB6_5167 Depth=3
	s_delay_alu instid0(SALU_CYCLE_1) | instskip(NEXT) | instid1(VALU_DEP_1)
	s_or_b32 exec_lo, exec_lo, s42
	v_mul_f32_e32 v12, v13, v12
	v_dual_mov_b32 v15, v21 :: v_dual_mov_b32 v5, v21
                                        ; implicit-def: $vgpr86
	s_mov_b32 s13, exec_lo
	s_delay_alu instid0(VALU_DEP_2) | instskip(SKIP_2) | instid1(VALU_DEP_3)
	v_and_b32_e32 v14, 0x7f800000, v12
	v_and_b32_e32 v4, 0x7fffff, v12
	v_lshrrev_b32_e32 v13, 24, v12
	v_cmpx_ne_u64_e32 0x7f800000, v[14:15]
	s_xor_b32 s42, exec_lo, s13
	s_cbranch_execz .LBB6_6841
; %bb.6828:                             ;   in Loop: Header=BB6_5167 Depth=3
	v_and_b32_e32 v14, 0x7fffffff, v12
	v_mov_b32_e32 v15, v21
                                        ; implicit-def: $vgpr86
	s_delay_alu instid0(VALU_DEP_1) | instskip(SKIP_2) | instid1(SALU_CYCLE_1)
	v_cmp_gt_u64_e32 vcc_lo, 0x47600001, v[14:15]
	v_and_b32_e32 v14, 0x80, v13
	s_and_saveexec_b32 s13, vcc_lo
	s_xor_b32 s43, exec_lo, s13
	s_cbranch_execz .LBB6_6838
; %bb.6829:                             ;   in Loop: Header=BB6_5167 Depth=3
	v_mov_b32_e32 v86, 0
	s_mov_b32 s72, exec_lo
	v_cmpx_ne_u32_e32 0, v12
	s_cbranch_execz .LBB6_6837
; %bb.6830:                             ;   in Loop: Header=BB6_5167 Depth=3
	v_bfe_u32 v15, v12, 23, 8
	v_or_b32_e32 v13, 0x800000, v4
	s_delay_alu instid0(VALU_DEP_2) | instskip(SKIP_2) | instid1(VALU_DEP_2)
	v_cmp_gt_u32_e64 s13, 0x72, v15
	v_sub_nc_u32_e32 v12, 0x71, v15
	v_cmp_eq_u32_e32 vcc_lo, 0, v15
	v_cndmask_b32_e64 v12, 0, v12, s13
	s_delay_alu instid0(VALU_DEP_1) | instskip(NEXT) | instid1(VALU_DEP_1)
	v_cndmask_b32_e64 v86, v12, 0x70, vcc_lo
	v_dual_cndmask_b32 v4, v13, v4, vcc_lo :: v_dual_add_nc_u32 v12, 21, v86
	v_add_nc_u32_e32 v87, 20, v86
	s_delay_alu instid0(VALU_DEP_2) | instskip(NEXT) | instid1(VALU_DEP_2)
	v_lshlrev_b64_e64 v[12:13], v12, -1
	v_lshlrev_b64_e64 v[96:97], v87, 1
	s_delay_alu instid0(VALU_DEP_2) | instskip(SKIP_1) | instid1(VALU_DEP_4)
	v_bfi_b32 v12, v12, 0, v4
	v_lshrrev_b64 v[4:5], v86, v[4:5]
	v_bfi_b32 v13, v13, 0, 0
	s_delay_alu instid0(VALU_DEP_1) | instskip(NEXT) | instid1(VALU_DEP_3)
	v_cmp_eq_u64_e64 s13, v[12:13], v[96:97]
	v_mov_b64_e32 v[12:13], v[4:5]
	s_and_saveexec_b32 s73, s13
; %bb.6831:                             ;   in Loop: Header=BB6_5167 Depth=3
	v_bfe_u32 v12, v4, 21, 1
	v_mov_b32_e32 v13, v21
	s_delay_alu instid0(VALU_DEP_1) | instskip(NEXT) | instid1(VALU_DEP_1)
	v_add_nc_u64_e32 v[12:13], v[4:5], v[12:13]
	v_add_nc_u64_e32 v[12:13], -1, v[12:13]
; %bb.6832:                             ;   in Loop: Header=BB6_5167 Depth=3
	s_or_b32 exec_lo, exec_lo, s73
	v_add_nc_u32_e32 v5, 0xffffff81, v15
	v_lshrrev_b32_e32 v13, 23, v4
	s_mov_b32 s13, exec_lo
	s_delay_alu instid0(VALU_DEP_2) | instskip(NEXT) | instid1(VALU_DEP_1)
	v_cndmask_b32_e64 v5, v5, 0xffffff82, vcc_lo
	v_add3_u32 v15, v86, v5, v13
	v_and_b32_e32 v5, 0x1fffff, v12
                                        ; implicit-def: $vgpr12
	s_delay_alu instid0(VALU_DEP_1) | instskip(SKIP_1) | instid1(VALU_DEP_2)
	v_dual_add_nc_u32 v13, 14, v15 :: v_dual_add_nc_u32 v4, v5, v4
	v_mov_b32_e32 v5, v21
	v_cmpx_ne_u32_e32 0, v13
	s_xor_b32 s13, exec_lo, s13
; %bb.6833:                             ;   in Loop: Header=BB6_5167 Depth=3
	s_delay_alu instid0(VALU_DEP_2) | instskip(SKIP_1) | instid1(VALU_DEP_1)
	v_cmp_lt_u64_e32 vcc_lo, 0xffffff, v[4:5]
	v_add_nc_u32_e32 v12, 15, v15
	v_cndmask_b32_e32 v12, v13, v12, vcc_lo
	v_cndmask_b32_e64 v13, 0, 1, vcc_lo
	s_delay_alu instid0(VALU_DEP_1)
	v_lshrrev_b64 v[4:5], v13, v[4:5]
; %bb.6834:                             ;   in Loop: Header=BB6_5167 Depth=3
	s_and_not1_saveexec_b32 s13, s13
; %bb.6835:                             ;   in Loop: Header=BB6_5167 Depth=3
	s_delay_alu instid0(VALU_DEP_1)
	v_bfe_u32 v12, v4, 23, 1
; %bb.6836:                             ;   in Loop: Header=BB6_5167 Depth=3
	s_or_b32 exec_lo, exec_lo, s13
	s_delay_alu instid0(VALU_DEP_2) | instskip(NEXT) | instid1(VALU_DEP_2)
	v_lshrrev_b64 v[4:5], 21, v[4:5]
	v_cmp_gt_i32_e32 vcc_lo, 32, v12
	v_min_i32_e32 v13, 31, v12
	v_cmp_eq_u32_e64 s13, 0, v12
	s_delay_alu instid0(VALU_DEP_4) | instskip(NEXT) | instid1(VALU_DEP_3)
	v_cndmask_b32_e32 v5, 0, v5, vcc_lo
	v_dual_cndmask_b32 v4, 3, v4 :: v_dual_lshlrev_b32 v13, 2, v13
	s_delay_alu instid0(VALU_DEP_1) | instskip(NEXT) | instid1(VALU_DEP_2)
	v_and_b32_e32 v13, 0xfc, v13
	v_cmp_eq_u64_e32 vcc_lo, 0, v[4:5]
	s_delay_alu instid0(VALU_DEP_2)
	v_and_or_b32 v4, v4, 3, v13
	s_and_b32 s13, s13, vcc_lo
	s_delay_alu instid0(VALU_DEP_1) | instid1(SALU_CYCLE_1)
	v_cndmask_b32_e64 v4, v4, 0, s13
	s_delay_alu instid0(VALU_DEP_1)
	v_or_b32_e32 v86, v4, v14
.LBB6_6837:                             ;   in Loop: Header=BB6_5167 Depth=3
	s_or_b32 exec_lo, exec_lo, s72
                                        ; implicit-def: $vgpr14
.LBB6_6838:                             ;   in Loop: Header=BB6_5167 Depth=3
	s_and_not1_saveexec_b32 s13, s43
; %bb.6839:                             ;   in Loop: Header=BB6_5167 Depth=3
	v_or_b32_e32 v86, 0x7b, v14
; %bb.6840:                             ;   in Loop: Header=BB6_5167 Depth=3
	s_or_b32 exec_lo, exec_lo, s13
                                        ; implicit-def: $vgpr12
                                        ; implicit-def: $vgpr4_vgpr5
                                        ; implicit-def: $vgpr13
.LBB6_6841:                             ;   in Loop: Header=BB6_5167 Depth=3
	s_and_not1_saveexec_b32 s13, s42
	s_cbranch_execz .LBB6_6847
; %bb.6842:                             ;   in Loop: Header=BB6_5167 Depth=3
	s_mov_b32 s42, exec_lo
                                        ; implicit-def: $vgpr86
	v_cmpx_ne_u64_e32 0, v[4:5]
	s_xor_b32 s42, exec_lo, s42
; %bb.6843:                             ;   in Loop: Header=BB6_5167 Depth=3
	v_or_b32_e32 v86, 0x7f, v13
                                        ; implicit-def: $vgpr12
; %bb.6844:                             ;   in Loop: Header=BB6_5167 Depth=3
	s_and_not1_saveexec_b32 s42, s42
; %bb.6845:                             ;   in Loop: Header=BB6_5167 Depth=3
	v_cmp_lt_i32_e32 vcc_lo, -1, v12
	v_mov_b32_e32 v4, 0x7c
	s_delay_alu instid0(VALU_DEP_1)
	v_cndmask_b32_e32 v86, 0xfc, v4, vcc_lo
; %bb.6846:                             ;   in Loop: Header=BB6_5167 Depth=3
	s_or_b32 exec_lo, exec_lo, s42
.LBB6_6847:                             ;   in Loop: Header=BB6_5167 Depth=3
	s_delay_alu instid0(SALU_CYCLE_1) | instskip(SKIP_3) | instid1(VALU_DEP_2)
	s_or_b32 exec_lo, exec_lo, s13
	v_dual_mov_b32 v5, 0 :: v_dual_lshrrev_b32 v4, 16, v16
	v_mov_b32_e32 v12, 0
	s_mov_b32 s42, exec_lo
	v_and_b32_e32 v13, 0xff, v4
	s_delay_alu instid0(VALU_DEP_1)
	v_cmpx_ne_u16_e32 0, v13
	s_cbranch_execz .LBB6_6857
; %bb.6848:                             ;   in Loop: Header=BB6_5167 Depth=3
	v_bfrev_b32_e32 v12, 1
	s_mov_b32 s43, exec_lo
	v_cmpx_ne_u16_e32 0x80, v13
	s_cbranch_execz .LBB6_6856
; %bb.6849:                             ;   in Loop: Header=BB6_5167 Depth=3
	v_and_b32_e32 v12, 0x7c0000, v16
	v_bfe_u32 v13, v16, 16, 2
	s_delay_alu instid0(VALU_DEP_2) | instskip(SKIP_1) | instid1(SALU_CYCLE_1)
	v_cmp_ne_u32_e32 vcc_lo, 0x7c0000, v12
                                        ; implicit-def: $vgpr12
	s_and_saveexec_b32 s13, vcc_lo
	s_xor_b32 s13, exec_lo, s13
	s_cbranch_execz .LBB6_6853
; %bb.6850:                             ;   in Loop: Header=BB6_5167 Depth=3
	v_bfe_u32 v12, v16, 18, 5
	s_mov_b32 s72, exec_lo
	s_delay_alu instid0(VALU_DEP_1)
	v_cmpx_eq_u32_e32 0, v12
; %bb.6851:                             ;   in Loop: Header=BB6_5167 Depth=3
	v_clz_i32_u32_e32 v12, v13
	s_delay_alu instid0(VALU_DEP_1) | instskip(NEXT) | instid1(VALU_DEP_1)
	v_min_u32_e32 v12, 32, v12
	v_subrev_nc_u32_e32 v13, 29, v12
	s_delay_alu instid0(VALU_DEP_1) | instskip(NEXT) | instid1(VALU_DEP_1)
	v_lshlrev_b64_e32 v[14:15], v13, v[4:5]
	v_dual_sub_nc_u32 v12, 30, v12 :: v_dual_bitop2_b32 v13, 3, v14 bitop3:0x40
; %bb.6852:                             ;   in Loop: Header=BB6_5167 Depth=3
	s_or_b32 exec_lo, exec_lo, s72
	v_lshlrev_b32_e32 v4, 24, v4
	s_delay_alu instid0(VALU_DEP_1) | instskip(NEXT) | instid1(VALU_DEP_1)
	v_and_b32_e32 v4, 0x80000000, v4
	v_lshl_add_u32 v4, v12, 23, v4
	s_delay_alu instid0(VALU_DEP_1) | instskip(NEXT) | instid1(VALU_DEP_1)
	v_lshl_or_b32 v4, v13, 21, v4
                                        ; implicit-def: $vgpr13
	v_add_nc_u32_e32 v12, 0x38000000, v4
                                        ; implicit-def: $vgpr4
.LBB6_6853:                             ;   in Loop: Header=BB6_5167 Depth=3
	s_and_not1_saveexec_b32 s72, s13
; %bb.6854:                             ;   in Loop: Header=BB6_5167 Depth=3
	v_bfe_i32 v4, v4, 0, 8
	v_cmp_eq_u32_e32 vcc_lo, 0, v13
	s_delay_alu instid0(VALU_DEP_2) | instskip(SKIP_1) | instid1(VALU_DEP_1)
	v_cmp_lt_i16_e64 s13, -1, v4
	v_mov_b32_e32 v4, 0x7f800000
	v_cndmask_b32_e64 v4, 0xff800000, v4, s13
	s_delay_alu instid0(VALU_DEP_1)
	v_cndmask_b32_e32 v12, 0x7f800001, v4, vcc_lo
; %bb.6855:                             ;   in Loop: Header=BB6_5167 Depth=3
	s_or_b32 exec_lo, exec_lo, s72
.LBB6_6856:                             ;   in Loop: Header=BB6_5167 Depth=3
	s_delay_alu instid0(SALU_CYCLE_1)
	s_or_b32 exec_lo, exec_lo, s43
.LBB6_6857:                             ;   in Loop: Header=BB6_5167 Depth=3
	s_delay_alu instid0(SALU_CYCLE_1) | instskip(SKIP_2) | instid1(VALU_DEP_1)
	s_or_b32 exec_lo, exec_lo, s42
	v_lshrrev_b32_e32 v4, 16, v6
	s_mov_b32 s42, exec_lo
	v_and_b32_e32 v13, 0xff, v4
	s_delay_alu instid0(VALU_DEP_1)
	v_cmpx_ne_u16_e32 0, v13
	s_cbranch_execz .LBB6_6867
; %bb.6858:                             ;   in Loop: Header=BB6_5167 Depth=3
	v_bfrev_b32_e32 v5, 1
	s_mov_b32 s43, exec_lo
	v_cmpx_ne_u16_e32 0x80, v13
	s_cbranch_execz .LBB6_6866
; %bb.6859:                             ;   in Loop: Header=BB6_5167 Depth=3
	v_and_b32_e32 v5, 0x7c0000, v6
	v_bfe_u32 v13, v6, 16, 2
	s_delay_alu instid0(VALU_DEP_2) | instskip(SKIP_1) | instid1(SALU_CYCLE_1)
	v_cmp_ne_u32_e32 vcc_lo, 0x7c0000, v5
                                        ; implicit-def: $vgpr5
	s_and_saveexec_b32 s13, vcc_lo
	s_xor_b32 s13, exec_lo, s13
	s_cbranch_execz .LBB6_6863
; %bb.6860:                             ;   in Loop: Header=BB6_5167 Depth=3
	v_bfe_u32 v5, v6, 18, 5
	s_mov_b32 s72, exec_lo
	s_delay_alu instid0(VALU_DEP_1)
	v_cmpx_eq_u32_e32 0, v5
; %bb.6861:                             ;   in Loop: Header=BB6_5167 Depth=3
	v_clz_i32_u32_e32 v5, v13
	s_delay_alu instid0(VALU_DEP_1) | instskip(NEXT) | instid1(VALU_DEP_1)
	v_min_u32_e32 v5, 32, v5
	v_subrev_nc_u32_e32 v13, 29, v5
	s_delay_alu instid0(VALU_DEP_1) | instskip(NEXT) | instid1(VALU_DEP_1)
	v_lshlrev_b64_e32 v[14:15], v13, v[4:5]
	v_dual_sub_nc_u32 v5, 30, v5 :: v_dual_bitop2_b32 v13, 3, v14 bitop3:0x40
; %bb.6862:                             ;   in Loop: Header=BB6_5167 Depth=3
	s_or_b32 exec_lo, exec_lo, s72
	v_lshlrev_b32_e32 v4, 24, v4
	s_delay_alu instid0(VALU_DEP_1) | instskip(NEXT) | instid1(VALU_DEP_1)
	v_and_b32_e32 v4, 0x80000000, v4
	v_lshl_add_u32 v4, v5, 23, v4
	s_delay_alu instid0(VALU_DEP_1) | instskip(NEXT) | instid1(VALU_DEP_1)
	v_lshl_or_b32 v4, v13, 21, v4
                                        ; implicit-def: $vgpr13
	v_add_nc_u32_e32 v5, 0x38000000, v4
                                        ; implicit-def: $vgpr4
.LBB6_6863:                             ;   in Loop: Header=BB6_5167 Depth=3
	s_and_not1_saveexec_b32 s72, s13
; %bb.6864:                             ;   in Loop: Header=BB6_5167 Depth=3
	v_bfe_i32 v4, v4, 0, 8
	v_cmp_eq_u32_e32 vcc_lo, 0, v13
	s_delay_alu instid0(VALU_DEP_2) | instskip(SKIP_1) | instid1(VALU_DEP_1)
	v_cmp_lt_i16_e64 s13, -1, v4
	v_mov_b32_e32 v4, 0x7f800000
	v_cndmask_b32_e64 v4, 0xff800000, v4, s13
	s_delay_alu instid0(VALU_DEP_1)
	v_cndmask_b32_e32 v5, 0x7f800001, v4, vcc_lo
; %bb.6865:                             ;   in Loop: Header=BB6_5167 Depth=3
	s_or_b32 exec_lo, exec_lo, s72
.LBB6_6866:                             ;   in Loop: Header=BB6_5167 Depth=3
	s_delay_alu instid0(SALU_CYCLE_1)
	s_or_b32 exec_lo, exec_lo, s43
.LBB6_6867:                             ;   in Loop: Header=BB6_5167 Depth=3
	s_delay_alu instid0(SALU_CYCLE_1) | instskip(NEXT) | instid1(VALU_DEP_1)
	s_or_b32 exec_lo, exec_lo, s42
	v_dual_mul_f32 v12, v12, v5 :: v_dual_mov_b32 v15, v21
	v_mov_b32_e32 v5, v21
                                        ; implicit-def: $vgpr87
	s_mov_b32 s13, exec_lo
	s_delay_alu instid0(VALU_DEP_2) | instskip(SKIP_2) | instid1(VALU_DEP_3)
	v_and_b32_e32 v14, 0x7f800000, v12
	v_and_b32_e32 v4, 0x7fffff, v12
	v_lshrrev_b32_e32 v13, 24, v12
	v_cmpx_ne_u64_e32 0x7f800000, v[14:15]
	s_xor_b32 s42, exec_lo, s13
	s_cbranch_execz .LBB6_6881
; %bb.6868:                             ;   in Loop: Header=BB6_5167 Depth=3
	v_and_b32_e32 v14, 0x7fffffff, v12
	v_mov_b32_e32 v15, v21
                                        ; implicit-def: $vgpr87
	s_delay_alu instid0(VALU_DEP_1) | instskip(SKIP_2) | instid1(SALU_CYCLE_1)
	v_cmp_gt_u64_e32 vcc_lo, 0x47600001, v[14:15]
	v_and_b32_e32 v14, 0x80, v13
	s_and_saveexec_b32 s13, vcc_lo
	s_xor_b32 s43, exec_lo, s13
	s_cbranch_execz .LBB6_6878
; %bb.6869:                             ;   in Loop: Header=BB6_5167 Depth=3
	v_mov_b32_e32 v87, 0
	s_mov_b32 s72, exec_lo
	v_cmpx_ne_u32_e32 0, v12
	s_cbranch_execz .LBB6_6877
; %bb.6870:                             ;   in Loop: Header=BB6_5167 Depth=3
	v_bfe_u32 v15, v12, 23, 8
	v_or_b32_e32 v13, 0x800000, v4
	s_delay_alu instid0(VALU_DEP_2) | instskip(SKIP_2) | instid1(VALU_DEP_2)
	v_cmp_gt_u32_e64 s13, 0x72, v15
	v_sub_nc_u32_e32 v12, 0x71, v15
	v_cmp_eq_u32_e32 vcc_lo, 0, v15
	v_cndmask_b32_e64 v12, 0, v12, s13
	s_delay_alu instid0(VALU_DEP_1) | instskip(NEXT) | instid1(VALU_DEP_1)
	v_cndmask_b32_e64 v87, v12, 0x70, vcc_lo
	v_dual_cndmask_b32 v4, v13, v4, vcc_lo :: v_dual_add_nc_u32 v12, 21, v87
	v_add_nc_u32_e32 v96, 20, v87
	s_delay_alu instid0(VALU_DEP_2) | instskip(NEXT) | instid1(VALU_DEP_2)
	v_lshlrev_b64_e64 v[12:13], v12, -1
	v_lshlrev_b64_e64 v[96:97], v96, 1
	s_delay_alu instid0(VALU_DEP_2) | instskip(SKIP_1) | instid1(VALU_DEP_4)
	v_bfi_b32 v12, v12, 0, v4
	v_lshrrev_b64 v[4:5], v87, v[4:5]
	v_bfi_b32 v13, v13, 0, 0
	s_delay_alu instid0(VALU_DEP_1) | instskip(NEXT) | instid1(VALU_DEP_3)
	v_cmp_eq_u64_e64 s13, v[12:13], v[96:97]
	v_mov_b64_e32 v[12:13], v[4:5]
	s_and_saveexec_b32 s73, s13
; %bb.6871:                             ;   in Loop: Header=BB6_5167 Depth=3
	v_bfe_u32 v12, v4, 21, 1
	v_mov_b32_e32 v13, v21
	s_delay_alu instid0(VALU_DEP_1) | instskip(NEXT) | instid1(VALU_DEP_1)
	v_add_nc_u64_e32 v[12:13], v[4:5], v[12:13]
	v_add_nc_u64_e32 v[12:13], -1, v[12:13]
; %bb.6872:                             ;   in Loop: Header=BB6_5167 Depth=3
	s_or_b32 exec_lo, exec_lo, s73
	v_add_nc_u32_e32 v5, 0xffffff81, v15
	v_lshrrev_b32_e32 v13, 23, v4
	s_mov_b32 s13, exec_lo
	s_delay_alu instid0(VALU_DEP_2) | instskip(NEXT) | instid1(VALU_DEP_1)
	v_cndmask_b32_e64 v5, v5, 0xffffff82, vcc_lo
	v_add3_u32 v15, v87, v5, v13
	v_and_b32_e32 v5, 0x1fffff, v12
                                        ; implicit-def: $vgpr12
	s_delay_alu instid0(VALU_DEP_1) | instskip(SKIP_1) | instid1(VALU_DEP_2)
	v_dual_add_nc_u32 v13, 14, v15 :: v_dual_add_nc_u32 v4, v5, v4
	v_mov_b32_e32 v5, v21
	v_cmpx_ne_u32_e32 0, v13
	s_xor_b32 s13, exec_lo, s13
; %bb.6873:                             ;   in Loop: Header=BB6_5167 Depth=3
	s_delay_alu instid0(VALU_DEP_2) | instskip(SKIP_1) | instid1(VALU_DEP_1)
	v_cmp_lt_u64_e32 vcc_lo, 0xffffff, v[4:5]
	v_add_nc_u32_e32 v12, 15, v15
	v_cndmask_b32_e32 v12, v13, v12, vcc_lo
	v_cndmask_b32_e64 v13, 0, 1, vcc_lo
	s_delay_alu instid0(VALU_DEP_1)
	v_lshrrev_b64 v[4:5], v13, v[4:5]
; %bb.6874:                             ;   in Loop: Header=BB6_5167 Depth=3
	s_and_not1_saveexec_b32 s13, s13
; %bb.6875:                             ;   in Loop: Header=BB6_5167 Depth=3
	s_delay_alu instid0(VALU_DEP_1)
	v_bfe_u32 v12, v4, 23, 1
; %bb.6876:                             ;   in Loop: Header=BB6_5167 Depth=3
	s_or_b32 exec_lo, exec_lo, s13
	s_delay_alu instid0(VALU_DEP_2) | instskip(NEXT) | instid1(VALU_DEP_2)
	v_lshrrev_b64 v[4:5], 21, v[4:5]
	v_cmp_gt_i32_e32 vcc_lo, 32, v12
	v_min_i32_e32 v13, 31, v12
	v_cmp_eq_u32_e64 s13, 0, v12
	s_delay_alu instid0(VALU_DEP_4) | instskip(NEXT) | instid1(VALU_DEP_3)
	v_cndmask_b32_e32 v5, 0, v5, vcc_lo
	v_dual_cndmask_b32 v4, 3, v4 :: v_dual_lshlrev_b32 v13, 2, v13
	s_delay_alu instid0(VALU_DEP_1) | instskip(NEXT) | instid1(VALU_DEP_2)
	v_and_b32_e32 v13, 0xfc, v13
	v_cmp_eq_u64_e32 vcc_lo, 0, v[4:5]
	s_delay_alu instid0(VALU_DEP_2)
	v_and_or_b32 v4, v4, 3, v13
	s_and_b32 s13, s13, vcc_lo
	s_delay_alu instid0(VALU_DEP_1) | instid1(SALU_CYCLE_1)
	v_cndmask_b32_e64 v4, v4, 0, s13
	s_delay_alu instid0(VALU_DEP_1)
	v_or_b32_e32 v87, v4, v14
.LBB6_6877:                             ;   in Loop: Header=BB6_5167 Depth=3
	s_or_b32 exec_lo, exec_lo, s72
                                        ; implicit-def: $vgpr14
.LBB6_6878:                             ;   in Loop: Header=BB6_5167 Depth=3
	s_and_not1_saveexec_b32 s13, s43
; %bb.6879:                             ;   in Loop: Header=BB6_5167 Depth=3
	v_or_b32_e32 v87, 0x7b, v14
; %bb.6880:                             ;   in Loop: Header=BB6_5167 Depth=3
	s_or_b32 exec_lo, exec_lo, s13
                                        ; implicit-def: $vgpr12
                                        ; implicit-def: $vgpr4_vgpr5
                                        ; implicit-def: $vgpr13
.LBB6_6881:                             ;   in Loop: Header=BB6_5167 Depth=3
	s_and_not1_saveexec_b32 s13, s42
	s_cbranch_execz .LBB6_6887
; %bb.6882:                             ;   in Loop: Header=BB6_5167 Depth=3
	s_mov_b32 s42, exec_lo
                                        ; implicit-def: $vgpr87
	v_cmpx_ne_u64_e32 0, v[4:5]
	s_xor_b32 s42, exec_lo, s42
; %bb.6883:                             ;   in Loop: Header=BB6_5167 Depth=3
	v_or_b32_e32 v87, 0x7f, v13
                                        ; implicit-def: $vgpr12
; %bb.6884:                             ;   in Loop: Header=BB6_5167 Depth=3
	s_and_not1_saveexec_b32 s42, s42
; %bb.6885:                             ;   in Loop: Header=BB6_5167 Depth=3
	v_cmp_lt_i32_e32 vcc_lo, -1, v12
	v_mov_b32_e32 v4, 0x7c
	s_delay_alu instid0(VALU_DEP_1)
	v_cndmask_b32_e32 v87, 0xfc, v4, vcc_lo
; %bb.6886:                             ;   in Loop: Header=BB6_5167 Depth=3
	s_or_b32 exec_lo, exec_lo, s42
.LBB6_6887:                             ;   in Loop: Header=BB6_5167 Depth=3
	s_delay_alu instid0(SALU_CYCLE_1)
	s_or_b32 exec_lo, exec_lo, s13
	v_dual_mov_b32 v5, 0 :: v_dual_mov_b32 v12, 0
	s_mov_b32 s42, exec_lo
	v_cmpx_lt_u32_e32 0xffffff, v16
	s_cbranch_execz .LBB6_6897
; %bb.6888:                             ;   in Loop: Header=BB6_5167 Depth=3
	v_lshrrev_b32_e32 v4, 24, v16
	v_bfrev_b32_e32 v12, 1
	s_mov_b32 s43, exec_lo
	s_delay_alu instid0(VALU_DEP_2)
	v_cmpx_ne_u32_e32 0x80, v4
	s_cbranch_execz .LBB6_6896
; %bb.6889:                             ;   in Loop: Header=BB6_5167 Depth=3
	v_and_b32_e32 v12, 0x7c000000, v16
	v_bfe_u32 v13, v16, 24, 2
	s_delay_alu instid0(VALU_DEP_2) | instskip(SKIP_1) | instid1(SALU_CYCLE_1)
	v_cmp_ne_u32_e32 vcc_lo, 0x7c000000, v12
                                        ; implicit-def: $vgpr12
	s_and_saveexec_b32 s13, vcc_lo
	s_xor_b32 s13, exec_lo, s13
	s_cbranch_execz .LBB6_6893
; %bb.6890:                             ;   in Loop: Header=BB6_5167 Depth=3
	v_bfe_u32 v12, v16, 26, 5
	s_mov_b32 s72, exec_lo
	s_delay_alu instid0(VALU_DEP_1)
	v_cmpx_eq_u32_e32 0, v12
; %bb.6891:                             ;   in Loop: Header=BB6_5167 Depth=3
	v_clz_i32_u32_e32 v12, v13
	s_delay_alu instid0(VALU_DEP_1) | instskip(NEXT) | instid1(VALU_DEP_1)
	v_min_u32_e32 v12, 32, v12
	v_subrev_nc_u32_e32 v13, 29, v12
	s_delay_alu instid0(VALU_DEP_1) | instskip(NEXT) | instid1(VALU_DEP_1)
	v_lshlrev_b64_e32 v[14:15], v13, v[4:5]
	v_dual_sub_nc_u32 v12, 30, v12 :: v_dual_bitop2_b32 v13, 3, v14 bitop3:0x40
; %bb.6892:                             ;   in Loop: Header=BB6_5167 Depth=3
	s_or_b32 exec_lo, exec_lo, s72
	v_and_b32_e32 v4, 0x80000000, v16
	s_delay_alu instid0(VALU_DEP_1) | instskip(NEXT) | instid1(VALU_DEP_1)
	v_lshl_add_u32 v4, v12, 23, v4
	v_lshl_or_b32 v4, v13, 21, v4
                                        ; implicit-def: $vgpr13
	s_delay_alu instid0(VALU_DEP_1)
	v_add_nc_u32_e32 v12, 0x38000000, v4
.LBB6_6893:                             ;   in Loop: Header=BB6_5167 Depth=3
	s_and_not1_saveexec_b32 s72, s13
; %bb.6894:                             ;   in Loop: Header=BB6_5167 Depth=3
	v_cmp_lt_i32_e64 s13, -1, v16
	v_mov_b32_e32 v4, 0x7f800000
	v_cmp_eq_u32_e32 vcc_lo, 0, v13
	s_delay_alu instid0(VALU_DEP_2) | instskip(NEXT) | instid1(VALU_DEP_1)
	v_cndmask_b32_e64 v4, 0xff800000, v4, s13
	v_cndmask_b32_e32 v12, 0x7f800001, v4, vcc_lo
; %bb.6895:                             ;   in Loop: Header=BB6_5167 Depth=3
	s_or_b32 exec_lo, exec_lo, s72
.LBB6_6896:                             ;   in Loop: Header=BB6_5167 Depth=3
	s_delay_alu instid0(SALU_CYCLE_1)
	s_or_b32 exec_lo, exec_lo, s43
.LBB6_6897:                             ;   in Loop: Header=BB6_5167 Depth=3
	s_delay_alu instid0(SALU_CYCLE_1) | instskip(NEXT) | instid1(SALU_CYCLE_1)
	s_or_b32 exec_lo, exec_lo, s42
	s_mov_b32 s42, exec_lo
	v_cmpx_lt_u32_e32 0xffffff, v6
	s_cbranch_execz .LBB6_6907
; %bb.6898:                             ;   in Loop: Header=BB6_5167 Depth=3
	v_lshrrev_b32_e32 v4, 24, v6
	v_bfrev_b32_e32 v5, 1
	s_mov_b32 s43, exec_lo
	s_delay_alu instid0(VALU_DEP_2)
	v_cmpx_ne_u32_e32 0x80, v4
	s_cbranch_execz .LBB6_6906
; %bb.6899:                             ;   in Loop: Header=BB6_5167 Depth=3
	v_and_b32_e32 v5, 0x7c000000, v6
	v_bfe_u32 v13, v6, 24, 2
	s_delay_alu instid0(VALU_DEP_2) | instskip(SKIP_1) | instid1(SALU_CYCLE_1)
	v_cmp_ne_u32_e32 vcc_lo, 0x7c000000, v5
                                        ; implicit-def: $vgpr5
	s_and_saveexec_b32 s13, vcc_lo
	s_xor_b32 s13, exec_lo, s13
	s_cbranch_execz .LBB6_6903
; %bb.6900:                             ;   in Loop: Header=BB6_5167 Depth=3
	v_bfe_u32 v5, v6, 26, 5
	s_mov_b32 s72, exec_lo
	s_delay_alu instid0(VALU_DEP_1)
	v_cmpx_eq_u32_e32 0, v5
; %bb.6901:                             ;   in Loop: Header=BB6_5167 Depth=3
	v_clz_i32_u32_e32 v5, v13
	s_delay_alu instid0(VALU_DEP_1) | instskip(NEXT) | instid1(VALU_DEP_1)
	v_min_u32_e32 v13, 32, v5
	v_subrev_nc_u32_e32 v5, 29, v13
	s_delay_alu instid0(VALU_DEP_1) | instskip(NEXT) | instid1(VALU_DEP_1)
	v_lshlrev_b64_e32 v[4:5], v5, v[4:5]
	v_dual_sub_nc_u32 v5, 30, v13 :: v_dual_bitop2_b32 v13, 3, v4 bitop3:0x40
; %bb.6902:                             ;   in Loop: Header=BB6_5167 Depth=3
	s_or_b32 exec_lo, exec_lo, s72
	v_and_b32_e32 v4, 0x80000000, v6
	s_delay_alu instid0(VALU_DEP_1) | instskip(NEXT) | instid1(VALU_DEP_1)
	v_lshl_add_u32 v4, v5, 23, v4
	v_lshl_or_b32 v4, v13, 21, v4
                                        ; implicit-def: $vgpr13
	s_delay_alu instid0(VALU_DEP_1)
	v_add_nc_u32_e32 v5, 0x38000000, v4
.LBB6_6903:                             ;   in Loop: Header=BB6_5167 Depth=3
	s_and_not1_saveexec_b32 s72, s13
; %bb.6904:                             ;   in Loop: Header=BB6_5167 Depth=3
	v_cmp_lt_i32_e64 s13, -1, v6
	v_mov_b32_e32 v4, 0x7f800000
	v_cmp_eq_u32_e32 vcc_lo, 0, v13
	s_delay_alu instid0(VALU_DEP_2) | instskip(NEXT) | instid1(VALU_DEP_1)
	v_cndmask_b32_e64 v4, 0xff800000, v4, s13
	v_cndmask_b32_e32 v5, 0x7f800001, v4, vcc_lo
; %bb.6905:                             ;   in Loop: Header=BB6_5167 Depth=3
	s_or_b32 exec_lo, exec_lo, s72
.LBB6_6906:                             ;   in Loop: Header=BB6_5167 Depth=3
	s_delay_alu instid0(SALU_CYCLE_1)
	s_or_b32 exec_lo, exec_lo, s43
.LBB6_6907:                             ;   in Loop: Header=BB6_5167 Depth=3
	s_delay_alu instid0(SALU_CYCLE_1) | instskip(NEXT) | instid1(VALU_DEP_1)
	s_or_b32 exec_lo, exec_lo, s42
	v_dual_mul_f32 v12, v12, v5 :: v_dual_mov_b32 v15, v21
	v_mov_b32_e32 v5, v21
                                        ; implicit-def: $vgpr96
	s_mov_b32 s13, exec_lo
	s_delay_alu instid0(VALU_DEP_2) | instskip(SKIP_2) | instid1(VALU_DEP_3)
	v_and_b32_e32 v14, 0x7f800000, v12
	v_and_b32_e32 v4, 0x7fffff, v12
	v_lshrrev_b32_e32 v13, 24, v12
	v_cmpx_ne_u64_e32 0x7f800000, v[14:15]
	s_xor_b32 s42, exec_lo, s13
	s_cbranch_execz .LBB6_6921
; %bb.6908:                             ;   in Loop: Header=BB6_5167 Depth=3
	v_and_b32_e32 v14, 0x7fffffff, v12
	v_mov_b32_e32 v15, v21
                                        ; implicit-def: $vgpr96
	s_delay_alu instid0(VALU_DEP_1) | instskip(SKIP_2) | instid1(SALU_CYCLE_1)
	v_cmp_gt_u64_e32 vcc_lo, 0x47600001, v[14:15]
	v_and_b32_e32 v14, 0x80, v13
	s_and_saveexec_b32 s13, vcc_lo
	s_xor_b32 s43, exec_lo, s13
	s_cbranch_execz .LBB6_6918
; %bb.6909:                             ;   in Loop: Header=BB6_5167 Depth=3
	v_mov_b32_e32 v96, 0
	s_mov_b32 s72, exec_lo
	v_cmpx_ne_u32_e32 0, v12
	s_cbranch_execz .LBB6_6917
; %bb.6910:                             ;   in Loop: Header=BB6_5167 Depth=3
	v_bfe_u32 v15, v12, 23, 8
	v_or_b32_e32 v13, 0x800000, v4
	s_delay_alu instid0(VALU_DEP_2) | instskip(SKIP_2) | instid1(VALU_DEP_2)
	v_cmp_gt_u32_e64 s13, 0x72, v15
	v_sub_nc_u32_e32 v12, 0x71, v15
	v_cmp_eq_u32_e32 vcc_lo, 0, v15
	v_cndmask_b32_e64 v12, 0, v12, s13
	v_cndmask_b32_e32 v4, v13, v4, vcc_lo
	s_delay_alu instid0(VALU_DEP_2) | instskip(NEXT) | instid1(VALU_DEP_1)
	v_cndmask_b32_e64 v96, v12, 0x70, vcc_lo
	v_dual_add_nc_u32 v12, 21, v96 :: v_dual_add_nc_u32 v97, 20, v96
	s_delay_alu instid0(VALU_DEP_1) | instskip(NEXT) | instid1(VALU_DEP_2)
	v_lshlrev_b64_e64 v[12:13], v12, -1
	v_lshlrev_b64_e64 v[98:99], v97, 1
	s_delay_alu instid0(VALU_DEP_2) | instskip(SKIP_1) | instid1(VALU_DEP_4)
	v_bfi_b32 v12, v12, 0, v4
	v_lshrrev_b64 v[4:5], v96, v[4:5]
	v_bfi_b32 v13, v13, 0, 0
	s_delay_alu instid0(VALU_DEP_1) | instskip(NEXT) | instid1(VALU_DEP_3)
	v_cmp_eq_u64_e64 s13, v[12:13], v[98:99]
	v_mov_b64_e32 v[12:13], v[4:5]
	s_and_saveexec_b32 s73, s13
; %bb.6911:                             ;   in Loop: Header=BB6_5167 Depth=3
	v_bfe_u32 v12, v4, 21, 1
	v_mov_b32_e32 v13, v21
	s_delay_alu instid0(VALU_DEP_1) | instskip(NEXT) | instid1(VALU_DEP_1)
	v_add_nc_u64_e32 v[12:13], v[4:5], v[12:13]
	v_add_nc_u64_e32 v[12:13], -1, v[12:13]
; %bb.6912:                             ;   in Loop: Header=BB6_5167 Depth=3
	s_or_b32 exec_lo, exec_lo, s73
	v_add_nc_u32_e32 v5, 0xffffff81, v15
	v_lshrrev_b32_e32 v13, 23, v4
	s_mov_b32 s13, exec_lo
	s_delay_alu instid0(VALU_DEP_2) | instskip(NEXT) | instid1(VALU_DEP_1)
	v_cndmask_b32_e64 v5, v5, 0xffffff82, vcc_lo
	v_add3_u32 v15, v96, v5, v13
	v_and_b32_e32 v5, 0x1fffff, v12
                                        ; implicit-def: $vgpr12
	s_delay_alu instid0(VALU_DEP_1) | instskip(SKIP_1) | instid1(VALU_DEP_2)
	v_dual_add_nc_u32 v13, 14, v15 :: v_dual_add_nc_u32 v4, v5, v4
	v_mov_b32_e32 v5, v21
	v_cmpx_ne_u32_e32 0, v13
	s_xor_b32 s13, exec_lo, s13
; %bb.6913:                             ;   in Loop: Header=BB6_5167 Depth=3
	s_delay_alu instid0(VALU_DEP_2) | instskip(SKIP_1) | instid1(VALU_DEP_1)
	v_cmp_lt_u64_e32 vcc_lo, 0xffffff, v[4:5]
	v_add_nc_u32_e32 v12, 15, v15
	v_cndmask_b32_e32 v12, v13, v12, vcc_lo
	v_cndmask_b32_e64 v13, 0, 1, vcc_lo
	s_delay_alu instid0(VALU_DEP_1)
	v_lshrrev_b64 v[4:5], v13, v[4:5]
; %bb.6914:                             ;   in Loop: Header=BB6_5167 Depth=3
	s_and_not1_saveexec_b32 s13, s13
; %bb.6915:                             ;   in Loop: Header=BB6_5167 Depth=3
	s_delay_alu instid0(VALU_DEP_1)
	v_bfe_u32 v12, v4, 23, 1
; %bb.6916:                             ;   in Loop: Header=BB6_5167 Depth=3
	s_or_b32 exec_lo, exec_lo, s13
	s_delay_alu instid0(VALU_DEP_2) | instskip(NEXT) | instid1(VALU_DEP_2)
	v_lshrrev_b64 v[4:5], 21, v[4:5]
	v_cmp_gt_i32_e32 vcc_lo, 32, v12
	v_min_i32_e32 v13, 31, v12
	v_cmp_eq_u32_e64 s13, 0, v12
	s_delay_alu instid0(VALU_DEP_4) | instskip(NEXT) | instid1(VALU_DEP_3)
	v_cndmask_b32_e32 v5, 0, v5, vcc_lo
	v_dual_cndmask_b32 v4, 3, v4 :: v_dual_lshlrev_b32 v13, 2, v13
	s_delay_alu instid0(VALU_DEP_1) | instskip(NEXT) | instid1(VALU_DEP_2)
	v_and_b32_e32 v13, 0xfc, v13
	v_cmp_eq_u64_e32 vcc_lo, 0, v[4:5]
	s_delay_alu instid0(VALU_DEP_2)
	v_and_or_b32 v4, v4, 3, v13
	s_and_b32 s13, s13, vcc_lo
	s_delay_alu instid0(VALU_DEP_1) | instid1(SALU_CYCLE_1)
	v_cndmask_b32_e64 v4, v4, 0, s13
	s_delay_alu instid0(VALU_DEP_1)
	v_or_b32_e32 v96, v4, v14
.LBB6_6917:                             ;   in Loop: Header=BB6_5167 Depth=3
	s_or_b32 exec_lo, exec_lo, s72
                                        ; implicit-def: $vgpr14
.LBB6_6918:                             ;   in Loop: Header=BB6_5167 Depth=3
	s_and_not1_saveexec_b32 s13, s43
; %bb.6919:                             ;   in Loop: Header=BB6_5167 Depth=3
	v_or_b32_e32 v96, 0x7b, v14
; %bb.6920:                             ;   in Loop: Header=BB6_5167 Depth=3
	s_or_b32 exec_lo, exec_lo, s13
                                        ; implicit-def: $vgpr12
                                        ; implicit-def: $vgpr4_vgpr5
                                        ; implicit-def: $vgpr13
.LBB6_6921:                             ;   in Loop: Header=BB6_5167 Depth=3
	s_and_not1_saveexec_b32 s13, s42
	s_cbranch_execz .LBB6_6927
; %bb.6922:                             ;   in Loop: Header=BB6_5167 Depth=3
	s_mov_b32 s42, exec_lo
                                        ; implicit-def: $vgpr96
	v_cmpx_ne_u64_e32 0, v[4:5]
	s_xor_b32 s42, exec_lo, s42
; %bb.6923:                             ;   in Loop: Header=BB6_5167 Depth=3
	v_or_b32_e32 v96, 0x7f, v13
                                        ; implicit-def: $vgpr12
; %bb.6924:                             ;   in Loop: Header=BB6_5167 Depth=3
	s_and_not1_saveexec_b32 s42, s42
; %bb.6925:                             ;   in Loop: Header=BB6_5167 Depth=3
	v_cmp_lt_i32_e32 vcc_lo, -1, v12
	v_mov_b32_e32 v4, 0x7c
	s_delay_alu instid0(VALU_DEP_1)
	v_cndmask_b32_e32 v96, 0xfc, v4, vcc_lo
; %bb.6926:                             ;   in Loop: Header=BB6_5167 Depth=3
	s_or_b32 exec_lo, exec_lo, s42
.LBB6_6927:                             ;   in Loop: Header=BB6_5167 Depth=3
	s_delay_alu instid0(SALU_CYCLE_1) | instskip(SKIP_4) | instid1(VALU_DEP_3)
	s_or_b32 exec_lo, exec_lo, s13
	v_and_b32_e32 v14, 0xff, v17
	v_dual_mov_b32 v4, v17 :: v_dual_mov_b32 v5, v21
	v_dual_mov_b32 v13, 0 :: v_dual_mov_b32 v12, 0
	s_mov_b32 s42, exec_lo
	v_cmpx_ne_u16_e32 0, v14
	s_cbranch_execz .LBB6_6937
; %bb.6928:                             ;   in Loop: Header=BB6_5167 Depth=3
	v_bfrev_b32_e32 v12, 1
	s_mov_b32 s43, exec_lo
	v_cmpx_ne_u16_e32 0x80, v14
	s_cbranch_execz .LBB6_6936
; %bb.6929:                             ;   in Loop: Header=BB6_5167 Depth=3
	v_and_b32_e32 v12, 0x7c, v17
	v_and_b32_e32 v14, 3, v17
	s_delay_alu instid0(VALU_DEP_2) | instskip(SKIP_1) | instid1(SALU_CYCLE_1)
	v_cmp_ne_u32_e32 vcc_lo, 0x7c, v12
                                        ; implicit-def: $vgpr12
	s_and_saveexec_b32 s13, vcc_lo
	s_xor_b32 s13, exec_lo, s13
	s_cbranch_execz .LBB6_6933
; %bb.6930:                             ;   in Loop: Header=BB6_5167 Depth=3
	v_bfe_u32 v12, v17, 2, 5
	s_mov_b32 s72, exec_lo
	s_delay_alu instid0(VALU_DEP_1)
	v_cmpx_eq_u32_e32 0, v12
; %bb.6931:                             ;   in Loop: Header=BB6_5167 Depth=3
	v_clz_i32_u32_e32 v12, v14
	s_delay_alu instid0(VALU_DEP_1) | instskip(NEXT) | instid1(VALU_DEP_1)
	v_min_u32_e32 v12, 32, v12
	v_subrev_nc_u32_e32 v14, 29, v12
	s_delay_alu instid0(VALU_DEP_1) | instskip(NEXT) | instid1(VALU_DEP_1)
	v_lshlrev_b64_e32 v[14:15], v14, v[4:5]
	v_dual_sub_nc_u32 v12, 30, v12 :: v_dual_bitop2_b32 v14, 3, v14 bitop3:0x40
; %bb.6932:                             ;   in Loop: Header=BB6_5167 Depth=3
	s_or_b32 exec_lo, exec_lo, s72
	v_lshlrev_b32_e32 v5, 24, v17
	s_delay_alu instid0(VALU_DEP_1) | instskip(NEXT) | instid1(VALU_DEP_1)
	v_and_b32_e32 v5, 0x80000000, v5
	v_lshl_add_u32 v5, v12, 23, v5
	s_delay_alu instid0(VALU_DEP_1) | instskip(NEXT) | instid1(VALU_DEP_1)
	v_lshl_or_b32 v5, v14, 21, v5
                                        ; implicit-def: $vgpr14
	v_add_nc_u32_e32 v12, 0x38000000, v5
.LBB6_6933:                             ;   in Loop: Header=BB6_5167 Depth=3
	s_and_not1_saveexec_b32 s72, s13
; %bb.6934:                             ;   in Loop: Header=BB6_5167 Depth=3
	v_bfe_i32 v5, v17, 0, 8
	v_cmp_eq_u32_e32 vcc_lo, 0, v14
	s_delay_alu instid0(VALU_DEP_2) | instskip(SKIP_1) | instid1(VALU_DEP_1)
	v_cmp_lt_i16_e64 s13, -1, v5
	v_mov_b32_e32 v5, 0x7f800000
	v_cndmask_b32_e64 v5, 0xff800000, v5, s13
	s_delay_alu instid0(VALU_DEP_1)
	v_cndmask_b32_e32 v12, 0x7f800001, v5, vcc_lo
; %bb.6935:                             ;   in Loop: Header=BB6_5167 Depth=3
	s_or_b32 exec_lo, exec_lo, s72
.LBB6_6936:                             ;   in Loop: Header=BB6_5167 Depth=3
	s_delay_alu instid0(SALU_CYCLE_1)
	s_or_b32 exec_lo, exec_lo, s43
.LBB6_6937:                             ;   in Loop: Header=BB6_5167 Depth=3
	s_delay_alu instid0(SALU_CYCLE_1) | instskip(SKIP_2) | instid1(VALU_DEP_1)
	s_or_b32 exec_lo, exec_lo, s42
	v_and_b32_e32 v5, 0xff, v7
	s_mov_b32 s42, exec_lo
	v_cmpx_ne_u16_e32 0, v5
	s_cbranch_execz .LBB6_6947
; %bb.6938:                             ;   in Loop: Header=BB6_5167 Depth=3
	v_bfrev_b32_e32 v13, 1
	s_mov_b32 s43, exec_lo
	v_cmpx_ne_u16_e32 0x80, v5
	s_cbranch_execz .LBB6_6946
; %bb.6939:                             ;   in Loop: Header=BB6_5167 Depth=3
	v_and_b32_e32 v13, 0x7c, v7
	v_and_b32_e32 v5, 3, v7
	s_delay_alu instid0(VALU_DEP_2) | instskip(SKIP_1) | instid1(SALU_CYCLE_1)
	v_cmp_ne_u32_e32 vcc_lo, 0x7c, v13
                                        ; implicit-def: $vgpr13
	s_and_saveexec_b32 s13, vcc_lo
	s_xor_b32 s13, exec_lo, s13
	s_cbranch_execz .LBB6_6943
; %bb.6940:                             ;   in Loop: Header=BB6_5167 Depth=3
	v_bfe_u32 v13, v7, 2, 5
	s_mov_b32 s72, exec_lo
	s_delay_alu instid0(VALU_DEP_1)
	v_cmpx_eq_u32_e32 0, v13
; %bb.6941:                             ;   in Loop: Header=BB6_5167 Depth=3
	v_clz_i32_u32_e32 v5, v5
	v_dual_mov_b32 v14, v7 :: v_dual_mov_b32 v15, v21
	s_delay_alu instid0(VALU_DEP_2) | instskip(NEXT) | instid1(VALU_DEP_1)
	v_min_u32_e32 v5, 32, v5
	v_subrev_nc_u32_e32 v13, 29, v5
	s_delay_alu instid0(VALU_DEP_1) | instskip(NEXT) | instid1(VALU_DEP_1)
	v_lshlrev_b64_e32 v[14:15], v13, v[14:15]
	v_dual_sub_nc_u32 v13, 30, v5 :: v_dual_bitop2_b32 v5, 3, v14 bitop3:0x40
; %bb.6942:                             ;   in Loop: Header=BB6_5167 Depth=3
	s_or_b32 exec_lo, exec_lo, s72
	v_lshlrev_b32_e32 v14, 24, v7
	s_delay_alu instid0(VALU_DEP_1) | instskip(NEXT) | instid1(VALU_DEP_1)
	v_and_b32_e32 v14, 0x80000000, v14
	v_lshl_add_u32 v13, v13, 23, v14
	s_delay_alu instid0(VALU_DEP_1) | instskip(NEXT) | instid1(VALU_DEP_1)
	v_lshl_or_b32 v5, v5, 21, v13
	v_add_nc_u32_e32 v13, 0x38000000, v5
                                        ; implicit-def: $vgpr5
.LBB6_6943:                             ;   in Loop: Header=BB6_5167 Depth=3
	s_and_not1_saveexec_b32 s72, s13
; %bb.6944:                             ;   in Loop: Header=BB6_5167 Depth=3
	v_bfe_i32 v13, v7, 0, 8
	v_cmp_eq_u32_e32 vcc_lo, 0, v5
	v_mov_b32_e32 v5, 0x7f800000
	s_delay_alu instid0(VALU_DEP_3) | instskip(NEXT) | instid1(VALU_DEP_1)
	v_cmp_lt_i16_e64 s13, -1, v13
	v_cndmask_b32_e64 v5, 0xff800000, v5, s13
	s_delay_alu instid0(VALU_DEP_1)
	v_cndmask_b32_e32 v13, 0x7f800001, v5, vcc_lo
; %bb.6945:                             ;   in Loop: Header=BB6_5167 Depth=3
	s_or_b32 exec_lo, exec_lo, s72
.LBB6_6946:                             ;   in Loop: Header=BB6_5167 Depth=3
	s_delay_alu instid0(SALU_CYCLE_1)
	s_or_b32 exec_lo, exec_lo, s43
.LBB6_6947:                             ;   in Loop: Header=BB6_5167 Depth=3
	s_delay_alu instid0(SALU_CYCLE_1) | instskip(NEXT) | instid1(VALU_DEP_1)
	s_or_b32 exec_lo, exec_lo, s42
	v_dual_mul_f32 v15, v12, v13 :: v_dual_mov_b32 v99, v21
	v_mov_b32_e32 v13, v21
                                        ; implicit-def: $vgpr14
	s_mov_b32 s13, exec_lo
	s_delay_alu instid0(VALU_DEP_2) | instskip(SKIP_2) | instid1(VALU_DEP_3)
	v_and_b32_e32 v98, 0x7f800000, v15
	v_and_b32_e32 v12, 0x7fffff, v15
	v_lshrrev_b32_e32 v5, 24, v15
	v_cmpx_ne_u64_e32 0x7f800000, v[98:99]
	s_xor_b32 s42, exec_lo, s13
	s_cbranch_execz .LBB6_6961
; %bb.6948:                             ;   in Loop: Header=BB6_5167 Depth=3
	v_and_b32_e32 v98, 0x7fffffff, v15
	v_mov_b32_e32 v99, v21
	v_and_b32_e32 v5, 0x80, v5
                                        ; implicit-def: $vgpr14
	s_mov_b32 s13, exec_lo
	s_delay_alu instid0(VALU_DEP_2)
	v_cmpx_gt_u64_e32 0x47600001, v[98:99]
	s_xor_b32 s43, exec_lo, s13
	s_cbranch_execz .LBB6_6958
; %bb.6949:                             ;   in Loop: Header=BB6_5167 Depth=3
	v_mov_b32_e32 v14, 0
	s_mov_b32 s72, exec_lo
	v_cmpx_ne_u32_e32 0, v15
	s_cbranch_execz .LBB6_6957
; %bb.6950:                             ;   in Loop: Header=BB6_5167 Depth=3
	v_bfe_u32 v97, v15, 23, 8
	v_or_b32_e32 v15, 0x800000, v12
	s_delay_alu instid0(VALU_DEP_2) | instskip(SKIP_2) | instid1(VALU_DEP_2)
	v_cmp_gt_u32_e64 s13, 0x72, v97
	v_sub_nc_u32_e32 v14, 0x71, v97
	v_cmp_eq_u32_e32 vcc_lo, 0, v97
	v_dual_cndmask_b32 v14, 0, v14, s13 :: v_dual_cndmask_b32 v12, v15, v12, vcc_lo
	s_delay_alu instid0(VALU_DEP_1) | instskip(NEXT) | instid1(VALU_DEP_1)
	v_cndmask_b32_e64 v98, v14, 0x70, vcc_lo
	v_dual_add_nc_u32 v14, 21, v98 :: v_dual_add_nc_u32 v99, 20, v98
	s_delay_alu instid0(VALU_DEP_1) | instskip(NEXT) | instid1(VALU_DEP_2)
	v_lshlrev_b64_e64 v[14:15], v14, -1
	v_lshlrev_b64_e64 v[100:101], v99, 1
	s_delay_alu instid0(VALU_DEP_2) | instskip(SKIP_1) | instid1(VALU_DEP_4)
	v_bfi_b32 v14, v14, 0, v12
	v_lshrrev_b64 v[12:13], v98, v[12:13]
	v_bfi_b32 v15, v15, 0, 0
	s_delay_alu instid0(VALU_DEP_1) | instskip(NEXT) | instid1(VALU_DEP_3)
	v_cmp_eq_u64_e64 s13, v[14:15], v[100:101]
	v_mov_b64_e32 v[14:15], v[12:13]
	s_and_saveexec_b32 s73, s13
; %bb.6951:                             ;   in Loop: Header=BB6_5167 Depth=3
	v_bfe_u32 v14, v12, 21, 1
	v_mov_b32_e32 v15, v21
	s_delay_alu instid0(VALU_DEP_1) | instskip(NEXT) | instid1(VALU_DEP_1)
	v_add_nc_u64_e32 v[14:15], v[12:13], v[14:15]
	v_add_nc_u64_e32 v[14:15], -1, v[14:15]
; %bb.6952:                             ;   in Loop: Header=BB6_5167 Depth=3
	s_or_b32 exec_lo, exec_lo, s73
	v_add_nc_u32_e32 v13, 0xffffff81, v97
	v_lshrrev_b32_e32 v15, 23, v12
	s_mov_b32 s13, exec_lo
	s_delay_alu instid0(VALU_DEP_2) | instskip(NEXT) | instid1(VALU_DEP_1)
	v_cndmask_b32_e64 v13, v13, 0xffffff82, vcc_lo
	v_add3_u32 v97, v98, v13, v15
	v_and_b32_e32 v13, 0x1fffff, v14
                                        ; implicit-def: $vgpr14
	s_delay_alu instid0(VALU_DEP_1) | instskip(SKIP_1) | instid1(VALU_DEP_2)
	v_dual_add_nc_u32 v15, 14, v97 :: v_dual_add_nc_u32 v12, v13, v12
	v_mov_b32_e32 v13, v21
	v_cmpx_ne_u32_e32 0, v15
	s_xor_b32 s13, exec_lo, s13
; %bb.6953:                             ;   in Loop: Header=BB6_5167 Depth=3
	s_delay_alu instid0(VALU_DEP_2) | instskip(SKIP_1) | instid1(VALU_DEP_1)
	v_cmp_lt_u64_e32 vcc_lo, 0xffffff, v[12:13]
	v_add_nc_u32_e32 v14, 15, v97
	v_cndmask_b32_e32 v14, v15, v14, vcc_lo
	v_cndmask_b32_e64 v15, 0, 1, vcc_lo
	s_delay_alu instid0(VALU_DEP_1)
	v_lshrrev_b64 v[12:13], v15, v[12:13]
; %bb.6954:                             ;   in Loop: Header=BB6_5167 Depth=3
	s_and_not1_saveexec_b32 s13, s13
; %bb.6955:                             ;   in Loop: Header=BB6_5167 Depth=3
	s_delay_alu instid0(VALU_DEP_1)
	v_bfe_u32 v14, v12, 23, 1
; %bb.6956:                             ;   in Loop: Header=BB6_5167 Depth=3
	s_or_b32 exec_lo, exec_lo, s13
	s_delay_alu instid0(VALU_DEP_2) | instskip(NEXT) | instid1(VALU_DEP_2)
	v_lshrrev_b64 v[12:13], 21, v[12:13]
	v_cmp_gt_i32_e32 vcc_lo, 32, v14
	v_min_i32_e32 v15, 31, v14
	v_cmp_eq_u32_e64 s13, 0, v14
	s_delay_alu instid0(VALU_DEP_2) | instskip(SKIP_1) | instid1(VALU_DEP_2)
	v_dual_cndmask_b32 v13, 0, v13, vcc_lo :: v_dual_lshlrev_b32 v15, 2, v15
	v_cndmask_b32_e32 v12, 3, v12, vcc_lo
	v_and_b32_e32 v15, 0xfc, v15
	s_delay_alu instid0(VALU_DEP_2) | instskip(NEXT) | instid1(VALU_DEP_2)
	v_cmp_eq_u64_e32 vcc_lo, 0, v[12:13]
	v_and_or_b32 v12, v12, 3, v15
	s_and_b32 s13, s13, vcc_lo
	s_delay_alu instid0(VALU_DEP_1) | instid1(SALU_CYCLE_1)
	v_cndmask_b32_e64 v12, v12, 0, s13
	s_delay_alu instid0(VALU_DEP_1)
	v_or_b32_e32 v14, v12, v5
.LBB6_6957:                             ;   in Loop: Header=BB6_5167 Depth=3
	s_or_b32 exec_lo, exec_lo, s72
                                        ; implicit-def: $vgpr5
.LBB6_6958:                             ;   in Loop: Header=BB6_5167 Depth=3
	s_and_not1_saveexec_b32 s13, s43
; %bb.6959:                             ;   in Loop: Header=BB6_5167 Depth=3
	v_or_b32_e32 v14, 0x7b, v5
; %bb.6960:                             ;   in Loop: Header=BB6_5167 Depth=3
	s_or_b32 exec_lo, exec_lo, s13
                                        ; implicit-def: $vgpr15
                                        ; implicit-def: $vgpr12_vgpr13
                                        ; implicit-def: $vgpr5
.LBB6_6961:                             ;   in Loop: Header=BB6_5167 Depth=3
	s_and_not1_saveexec_b32 s13, s42
	s_cbranch_execz .LBB6_6967
; %bb.6962:                             ;   in Loop: Header=BB6_5167 Depth=3
	s_mov_b32 s42, exec_lo
                                        ; implicit-def: $vgpr14
	v_cmpx_ne_u64_e32 0, v[12:13]
	s_xor_b32 s42, exec_lo, s42
; %bb.6963:                             ;   in Loop: Header=BB6_5167 Depth=3
	v_or_b32_e32 v14, 0x7f, v5
                                        ; implicit-def: $vgpr15
; %bb.6964:                             ;   in Loop: Header=BB6_5167 Depth=3
	s_and_not1_saveexec_b32 s42, s42
; %bb.6965:                             ;   in Loop: Header=BB6_5167 Depth=3
	v_cmp_lt_i32_e32 vcc_lo, -1, v15
	v_mov_b32_e32 v5, 0x7c
	s_delay_alu instid0(VALU_DEP_1)
	v_cndmask_b32_e32 v14, 0xfc, v5, vcc_lo
; %bb.6966:                             ;   in Loop: Header=BB6_5167 Depth=3
	s_or_b32 exec_lo, exec_lo, s42
.LBB6_6967:                             ;   in Loop: Header=BB6_5167 Depth=3
	s_delay_alu instid0(SALU_CYCLE_1) | instskip(SKIP_3) | instid1(VALU_DEP_2)
	s_or_b32 exec_lo, exec_lo, s13
	v_lshrrev_b16 v12, 8, v4
	v_dual_mov_b32 v15, 0 :: v_dual_mov_b32 v13, 0
	s_mov_b32 s42, exec_lo
	v_cmpx_ne_u16_e32 0, v12
	s_cbranch_execz .LBB6_6977
; %bb.6968:                             ;   in Loop: Header=BB6_5167 Depth=3
	v_bfrev_b32_e32 v13, 1
	s_mov_b32 s43, exec_lo
	v_cmpx_ne_u16_e32 0x80, v12
	s_cbranch_execz .LBB6_6976
; %bb.6969:                             ;   in Loop: Header=BB6_5167 Depth=3
	v_and_b32_e32 v5, 0xffff, v12
	s_delay_alu instid0(VALU_DEP_1) | instskip(SKIP_1) | instid1(VALU_DEP_2)
	v_and_b32_e32 v13, 0x7c, v5
	v_and_b32_e32 v97, 3, v5
	v_cmp_ne_u32_e32 vcc_lo, 0x7c, v13
                                        ; implicit-def: $vgpr13
	s_and_saveexec_b32 s13, vcc_lo
	s_delay_alu instid0(SALU_CYCLE_1)
	s_xor_b32 s13, exec_lo, s13
	s_cbranch_execz .LBB6_6973
; %bb.6970:                             ;   in Loop: Header=BB6_5167 Depth=3
	v_bfe_u32 v5, v5, 2, 5
	s_mov_b32 s72, exec_lo
	s_delay_alu instid0(VALU_DEP_1)
	v_cmpx_eq_u32_e32 0, v5
	s_cbranch_execz .LBB6_6972
; %bb.6971:                             ;   in Loop: Header=BB6_5167 Depth=3
	v_clz_i32_u32_e32 v5, v97
	s_delay_alu instid0(VALU_DEP_1) | instskip(SKIP_1) | instid1(VALU_DEP_2)
	v_min_u32_e32 v5, 32, v5
	v_mov_b32_e32 v13, v21
	v_subrev_nc_u32_e32 v97, 29, v5
	v_sub_nc_u32_e32 v5, 30, v5
	s_delay_alu instid0(VALU_DEP_2) | instskip(NEXT) | instid1(VALU_DEP_1)
	v_lshlrev_b64_e32 v[12:13], v97, v[12:13]
	v_and_b32_e32 v97, 3, v12
.LBB6_6972:                             ;   in Loop: Header=BB6_5167 Depth=3
	s_or_b32 exec_lo, exec_lo, s72
	v_lshlrev_b32_e32 v4, 16, v4
	s_delay_alu instid0(VALU_DEP_1) | instskip(NEXT) | instid1(VALU_DEP_1)
	v_and_b32_e32 v4, 0x80000000, v4
	v_lshl_add_u32 v4, v5, 23, v4
	s_delay_alu instid0(VALU_DEP_1) | instskip(NEXT) | instid1(VALU_DEP_1)
	v_lshl_or_b32 v4, v97, 21, v4
                                        ; implicit-def: $vgpr97
	v_add_nc_u32_e32 v13, 0x38000000, v4
                                        ; implicit-def: $vgpr4_vgpr5
.LBB6_6973:                             ;   in Loop: Header=BB6_5167 Depth=3
	s_and_not1_saveexec_b32 s72, s13
; %bb.6974:                             ;   in Loop: Header=BB6_5167 Depth=3
	v_cmp_lt_i16_e64 s13, -1, v4
	v_mov_b32_e32 v4, 0x7f800000
	v_cmp_eq_u32_e32 vcc_lo, 0, v97
	s_delay_alu instid0(VALU_DEP_2) | instskip(NEXT) | instid1(VALU_DEP_1)
	v_cndmask_b32_e64 v4, 0xff800000, v4, s13
	v_cndmask_b32_e32 v13, 0x7f800001, v4, vcc_lo
; %bb.6975:                             ;   in Loop: Header=BB6_5167 Depth=3
	s_or_b32 exec_lo, exec_lo, s72
.LBB6_6976:                             ;   in Loop: Header=BB6_5167 Depth=3
	s_delay_alu instid0(SALU_CYCLE_1)
	s_or_b32 exec_lo, exec_lo, s43
.LBB6_6977:                             ;   in Loop: Header=BB6_5167 Depth=3
	s_delay_alu instid0(SALU_CYCLE_1) | instskip(SKIP_2) | instid1(VALU_DEP_1)
	s_or_b32 exec_lo, exec_lo, s42
	v_lshrrev_b16 v4, 8, v7
	s_mov_b32 s42, exec_lo
	v_cmpx_ne_u16_e32 0, v4
	s_cbranch_execz .LBB6_6987
; %bb.6978:                             ;   in Loop: Header=BB6_5167 Depth=3
	v_bfrev_b32_e32 v15, 1
	s_mov_b32 s43, exec_lo
	v_cmpx_ne_u16_e32 0x80, v4
	s_cbranch_execz .LBB6_6986
; %bb.6979:                             ;   in Loop: Header=BB6_5167 Depth=3
	v_and_b32_e32 v12, 0xffff, v4
	s_delay_alu instid0(VALU_DEP_1) | instskip(SKIP_1) | instid1(VALU_DEP_2)
	v_and_b32_e32 v15, 0x7c, v12
	v_and_b32_e32 v5, 3, v12
	v_cmp_ne_u32_e32 vcc_lo, 0x7c, v15
                                        ; implicit-def: $vgpr15
	s_and_saveexec_b32 s13, vcc_lo
	s_delay_alu instid0(SALU_CYCLE_1)
	s_xor_b32 s13, exec_lo, s13
	s_cbranch_execz .LBB6_6983
; %bb.6980:                             ;   in Loop: Header=BB6_5167 Depth=3
	v_bfe_u32 v12, v12, 2, 5
	s_mov_b32 s72, exec_lo
	s_delay_alu instid0(VALU_DEP_1)
	v_cmpx_eq_u32_e32 0, v12
	s_cbranch_execz .LBB6_6982
; %bb.6981:                             ;   in Loop: Header=BB6_5167 Depth=3
	v_clz_i32_u32_e32 v5, v5
	s_delay_alu instid0(VALU_DEP_1) | instskip(SKIP_1) | instid1(VALU_DEP_2)
	v_min_u32_e32 v12, 32, v5
	v_mov_b32_e32 v5, v21
	v_subrev_nc_u32_e32 v15, 29, v12
	v_sub_nc_u32_e32 v12, 30, v12
	s_delay_alu instid0(VALU_DEP_2) | instskip(NEXT) | instid1(VALU_DEP_1)
	v_lshlrev_b64_e32 v[4:5], v15, v[4:5]
	v_and_b32_e32 v5, 3, v4
.LBB6_6982:                             ;   in Loop: Header=BB6_5167 Depth=3
	s_or_b32 exec_lo, exec_lo, s72
	v_lshlrev_b32_e32 v4, 16, v7
	s_delay_alu instid0(VALU_DEP_1) | instskip(NEXT) | instid1(VALU_DEP_1)
	v_and_b32_e32 v4, 0x80000000, v4
	v_lshl_add_u32 v4, v12, 23, v4
	s_delay_alu instid0(VALU_DEP_1) | instskip(NEXT) | instid1(VALU_DEP_1)
	v_lshl_or_b32 v4, v5, 21, v4
                                        ; implicit-def: $vgpr5
	v_add_nc_u32_e32 v15, 0x38000000, v4
.LBB6_6983:                             ;   in Loop: Header=BB6_5167 Depth=3
	s_and_not1_saveexec_b32 s72, s13
; %bb.6984:                             ;   in Loop: Header=BB6_5167 Depth=3
	v_cmp_lt_i16_e64 s13, -1, v7
	v_mov_b32_e32 v4, 0x7f800000
	v_cmp_eq_u32_e32 vcc_lo, 0, v5
	s_delay_alu instid0(VALU_DEP_2) | instskip(NEXT) | instid1(VALU_DEP_1)
	v_cndmask_b32_e64 v4, 0xff800000, v4, s13
	v_cndmask_b32_e32 v15, 0x7f800001, v4, vcc_lo
; %bb.6985:                             ;   in Loop: Header=BB6_5167 Depth=3
	s_or_b32 exec_lo, exec_lo, s72
.LBB6_6986:                             ;   in Loop: Header=BB6_5167 Depth=3
	s_delay_alu instid0(SALU_CYCLE_1)
	s_or_b32 exec_lo, exec_lo, s43
.LBB6_6987:                             ;   in Loop: Header=BB6_5167 Depth=3
	s_delay_alu instid0(SALU_CYCLE_1) | instskip(NEXT) | instid1(VALU_DEP_1)
	s_or_b32 exec_lo, exec_lo, s42
	v_mul_f32_e32 v12, v13, v15
	v_dual_mov_b32 v99, v21 :: v_dual_mov_b32 v5, v21
                                        ; implicit-def: $vgpr15
	s_mov_b32 s13, exec_lo
	s_delay_alu instid0(VALU_DEP_2) | instskip(SKIP_2) | instid1(VALU_DEP_3)
	v_and_b32_e32 v98, 0x7f800000, v12
	v_and_b32_e32 v4, 0x7fffff, v12
	v_lshrrev_b32_e32 v13, 24, v12
	v_cmpx_ne_u64_e32 0x7f800000, v[98:99]
	s_xor_b32 s42, exec_lo, s13
	s_cbranch_execz .LBB6_7001
; %bb.6988:                             ;   in Loop: Header=BB6_5167 Depth=3
	v_and_b32_e32 v98, 0x7fffffff, v12
	v_mov_b32_e32 v99, v21
	v_and_b32_e32 v97, 0x80, v13
                                        ; implicit-def: $vgpr15
	s_mov_b32 s13, exec_lo
	s_delay_alu instid0(VALU_DEP_2)
	v_cmpx_gt_u64_e32 0x47600001, v[98:99]
	s_xor_b32 s43, exec_lo, s13
	s_cbranch_execz .LBB6_6998
; %bb.6989:                             ;   in Loop: Header=BB6_5167 Depth=3
	v_mov_b32_e32 v15, 0
	s_mov_b32 s72, exec_lo
	v_cmpx_ne_u32_e32 0, v12
	s_cbranch_execz .LBB6_6997
; %bb.6990:                             ;   in Loop: Header=BB6_5167 Depth=3
	v_bfe_u32 v15, v12, 23, 8
	v_or_b32_e32 v13, 0x800000, v4
	s_delay_alu instid0(VALU_DEP_2) | instskip(SKIP_2) | instid1(VALU_DEP_2)
	v_cmp_gt_u32_e64 s13, 0x72, v15
	v_sub_nc_u32_e32 v12, 0x71, v15
	v_cmp_eq_u32_e32 vcc_lo, 0, v15
	v_cndmask_b32_e64 v12, 0, v12, s13
	s_delay_alu instid0(VALU_DEP_1) | instskip(NEXT) | instid1(VALU_DEP_1)
	v_cndmask_b32_e64 v98, v12, 0x70, vcc_lo
	v_dual_cndmask_b32 v4, v13, v4, vcc_lo :: v_dual_add_nc_u32 v12, 21, v98
	v_add_nc_u32_e32 v99, 20, v98
	s_delay_alu instid0(VALU_DEP_2) | instskip(NEXT) | instid1(VALU_DEP_2)
	v_lshlrev_b64_e64 v[12:13], v12, -1
	v_lshlrev_b64_e64 v[100:101], v99, 1
	s_delay_alu instid0(VALU_DEP_2) | instskip(SKIP_1) | instid1(VALU_DEP_4)
	v_bfi_b32 v12, v12, 0, v4
	v_lshrrev_b64 v[4:5], v98, v[4:5]
	v_bfi_b32 v13, v13, 0, 0
	s_delay_alu instid0(VALU_DEP_1) | instskip(NEXT) | instid1(VALU_DEP_3)
	v_cmp_eq_u64_e64 s13, v[12:13], v[100:101]
	v_mov_b64_e32 v[12:13], v[4:5]
	s_and_saveexec_b32 s73, s13
; %bb.6991:                             ;   in Loop: Header=BB6_5167 Depth=3
	v_bfe_u32 v12, v4, 21, 1
	v_mov_b32_e32 v13, v21
	s_delay_alu instid0(VALU_DEP_1) | instskip(NEXT) | instid1(VALU_DEP_1)
	v_add_nc_u64_e32 v[12:13], v[4:5], v[12:13]
	v_add_nc_u64_e32 v[12:13], -1, v[12:13]
; %bb.6992:                             ;   in Loop: Header=BB6_5167 Depth=3
	s_or_b32 exec_lo, exec_lo, s73
	v_add_nc_u32_e32 v5, 0xffffff81, v15
	v_lshrrev_b32_e32 v13, 23, v4
	s_mov_b32 s13, exec_lo
	s_delay_alu instid0(VALU_DEP_2) | instskip(NEXT) | instid1(VALU_DEP_1)
	v_cndmask_b32_e64 v5, v5, 0xffffff82, vcc_lo
	v_add3_u32 v15, v98, v5, v13
	v_and_b32_e32 v5, 0x1fffff, v12
                                        ; implicit-def: $vgpr12
	s_delay_alu instid0(VALU_DEP_1) | instskip(SKIP_1) | instid1(VALU_DEP_2)
	v_dual_add_nc_u32 v13, 14, v15 :: v_dual_add_nc_u32 v4, v5, v4
	v_mov_b32_e32 v5, v21
	v_cmpx_ne_u32_e32 0, v13
	s_xor_b32 s13, exec_lo, s13
; %bb.6993:                             ;   in Loop: Header=BB6_5167 Depth=3
	s_delay_alu instid0(VALU_DEP_2) | instskip(SKIP_1) | instid1(VALU_DEP_1)
	v_cmp_lt_u64_e32 vcc_lo, 0xffffff, v[4:5]
	v_add_nc_u32_e32 v12, 15, v15
	v_cndmask_b32_e32 v12, v13, v12, vcc_lo
	v_cndmask_b32_e64 v13, 0, 1, vcc_lo
	s_delay_alu instid0(VALU_DEP_1)
	v_lshrrev_b64 v[4:5], v13, v[4:5]
; %bb.6994:                             ;   in Loop: Header=BB6_5167 Depth=3
	s_and_not1_saveexec_b32 s13, s13
; %bb.6995:                             ;   in Loop: Header=BB6_5167 Depth=3
	s_delay_alu instid0(VALU_DEP_1)
	v_bfe_u32 v12, v4, 23, 1
; %bb.6996:                             ;   in Loop: Header=BB6_5167 Depth=3
	s_or_b32 exec_lo, exec_lo, s13
	s_delay_alu instid0(VALU_DEP_2) | instskip(NEXT) | instid1(VALU_DEP_2)
	v_lshrrev_b64 v[4:5], 21, v[4:5]
	v_cmp_gt_i32_e32 vcc_lo, 32, v12
	v_min_i32_e32 v13, 31, v12
	v_cmp_eq_u32_e64 s13, 0, v12
	s_delay_alu instid0(VALU_DEP_4) | instskip(NEXT) | instid1(VALU_DEP_3)
	v_cndmask_b32_e32 v5, 0, v5, vcc_lo
	v_dual_cndmask_b32 v4, 3, v4 :: v_dual_lshlrev_b32 v13, 2, v13
	s_delay_alu instid0(VALU_DEP_1) | instskip(NEXT) | instid1(VALU_DEP_2)
	v_and_b32_e32 v13, 0xfc, v13
	v_cmp_eq_u64_e32 vcc_lo, 0, v[4:5]
	s_delay_alu instid0(VALU_DEP_2)
	v_and_or_b32 v4, v4, 3, v13
	s_and_b32 s13, s13, vcc_lo
	s_delay_alu instid0(VALU_DEP_1) | instid1(SALU_CYCLE_1)
	v_cndmask_b32_e64 v4, v4, 0, s13
	s_delay_alu instid0(VALU_DEP_1)
	v_or_b32_e32 v15, v4, v97
.LBB6_6997:                             ;   in Loop: Header=BB6_5167 Depth=3
	s_or_b32 exec_lo, exec_lo, s72
                                        ; implicit-def: $vgpr97
.LBB6_6998:                             ;   in Loop: Header=BB6_5167 Depth=3
	s_and_not1_saveexec_b32 s13, s43
; %bb.6999:                             ;   in Loop: Header=BB6_5167 Depth=3
	v_or_b32_e32 v15, 0x7b, v97
; %bb.7000:                             ;   in Loop: Header=BB6_5167 Depth=3
	s_or_b32 exec_lo, exec_lo, s13
                                        ; implicit-def: $vgpr12
                                        ; implicit-def: $vgpr4_vgpr5
                                        ; implicit-def: $vgpr13
.LBB6_7001:                             ;   in Loop: Header=BB6_5167 Depth=3
	s_and_not1_saveexec_b32 s13, s42
	s_cbranch_execz .LBB6_7007
; %bb.7002:                             ;   in Loop: Header=BB6_5167 Depth=3
	s_mov_b32 s42, exec_lo
                                        ; implicit-def: $vgpr15
	v_cmpx_ne_u64_e32 0, v[4:5]
	s_xor_b32 s42, exec_lo, s42
; %bb.7003:                             ;   in Loop: Header=BB6_5167 Depth=3
	v_or_b32_e32 v15, 0x7f, v13
                                        ; implicit-def: $vgpr12
; %bb.7004:                             ;   in Loop: Header=BB6_5167 Depth=3
	s_and_not1_saveexec_b32 s42, s42
; %bb.7005:                             ;   in Loop: Header=BB6_5167 Depth=3
	v_cmp_lt_i32_e32 vcc_lo, -1, v12
	v_mov_b32_e32 v4, 0x7c
	s_delay_alu instid0(VALU_DEP_1)
	v_cndmask_b32_e32 v15, 0xfc, v4, vcc_lo
; %bb.7006:                             ;   in Loop: Header=BB6_5167 Depth=3
	s_or_b32 exec_lo, exec_lo, s42
.LBB6_7007:                             ;   in Loop: Header=BB6_5167 Depth=3
	s_delay_alu instid0(SALU_CYCLE_1) | instskip(SKIP_3) | instid1(VALU_DEP_2)
	s_or_b32 exec_lo, exec_lo, s13
	v_dual_mov_b32 v5, 0 :: v_dual_lshrrev_b32 v4, 16, v17
	v_mov_b32_e32 v12, 0
	s_mov_b32 s42, exec_lo
	v_and_b32_e32 v13, 0xff, v4
	s_delay_alu instid0(VALU_DEP_1)
	v_cmpx_ne_u16_e32 0, v13
	s_cbranch_execz .LBB6_7017
; %bb.7008:                             ;   in Loop: Header=BB6_5167 Depth=3
	v_bfrev_b32_e32 v12, 1
	s_mov_b32 s43, exec_lo
	v_cmpx_ne_u16_e32 0x80, v13
	s_cbranch_execz .LBB6_7016
; %bb.7009:                             ;   in Loop: Header=BB6_5167 Depth=3
	v_and_b32_e32 v12, 0x7c0000, v17
	v_bfe_u32 v13, v17, 16, 2
	s_delay_alu instid0(VALU_DEP_2) | instskip(SKIP_1) | instid1(SALU_CYCLE_1)
	v_cmp_ne_u32_e32 vcc_lo, 0x7c0000, v12
                                        ; implicit-def: $vgpr12
	s_and_saveexec_b32 s13, vcc_lo
	s_xor_b32 s13, exec_lo, s13
	s_cbranch_execz .LBB6_7013
; %bb.7010:                             ;   in Loop: Header=BB6_5167 Depth=3
	v_bfe_u32 v12, v17, 18, 5
	s_mov_b32 s72, exec_lo
	s_delay_alu instid0(VALU_DEP_1)
	v_cmpx_eq_u32_e32 0, v12
; %bb.7011:                             ;   in Loop: Header=BB6_5167 Depth=3
	v_clz_i32_u32_e32 v12, v13
	s_delay_alu instid0(VALU_DEP_1) | instskip(NEXT) | instid1(VALU_DEP_1)
	v_min_u32_e32 v12, 32, v12
	v_subrev_nc_u32_e32 v13, 29, v12
	s_delay_alu instid0(VALU_DEP_1) | instskip(NEXT) | instid1(VALU_DEP_1)
	v_lshlrev_b64_e32 v[98:99], v13, v[4:5]
	v_dual_sub_nc_u32 v12, 30, v12 :: v_dual_bitop2_b32 v13, 3, v98 bitop3:0x40
; %bb.7012:                             ;   in Loop: Header=BB6_5167 Depth=3
	s_or_b32 exec_lo, exec_lo, s72
	v_lshlrev_b32_e32 v4, 24, v4
	s_delay_alu instid0(VALU_DEP_1) | instskip(NEXT) | instid1(VALU_DEP_1)
	v_and_b32_e32 v4, 0x80000000, v4
	v_lshl_add_u32 v4, v12, 23, v4
	s_delay_alu instid0(VALU_DEP_1) | instskip(NEXT) | instid1(VALU_DEP_1)
	v_lshl_or_b32 v4, v13, 21, v4
                                        ; implicit-def: $vgpr13
	v_add_nc_u32_e32 v12, 0x38000000, v4
                                        ; implicit-def: $vgpr4
.LBB6_7013:                             ;   in Loop: Header=BB6_5167 Depth=3
	s_and_not1_saveexec_b32 s72, s13
; %bb.7014:                             ;   in Loop: Header=BB6_5167 Depth=3
	v_bfe_i32 v4, v4, 0, 8
	v_cmp_eq_u32_e32 vcc_lo, 0, v13
	s_delay_alu instid0(VALU_DEP_2) | instskip(SKIP_1) | instid1(VALU_DEP_1)
	v_cmp_lt_i16_e64 s13, -1, v4
	v_mov_b32_e32 v4, 0x7f800000
	v_cndmask_b32_e64 v4, 0xff800000, v4, s13
	s_delay_alu instid0(VALU_DEP_1)
	v_cndmask_b32_e32 v12, 0x7f800001, v4, vcc_lo
; %bb.7015:                             ;   in Loop: Header=BB6_5167 Depth=3
	s_or_b32 exec_lo, exec_lo, s72
.LBB6_7016:                             ;   in Loop: Header=BB6_5167 Depth=3
	s_delay_alu instid0(SALU_CYCLE_1)
	s_or_b32 exec_lo, exec_lo, s43
.LBB6_7017:                             ;   in Loop: Header=BB6_5167 Depth=3
	s_delay_alu instid0(SALU_CYCLE_1) | instskip(SKIP_2) | instid1(VALU_DEP_1)
	s_or_b32 exec_lo, exec_lo, s42
	v_lshrrev_b32_e32 v4, 16, v7
	s_mov_b32 s42, exec_lo
	v_and_b32_e32 v13, 0xff, v4
	s_delay_alu instid0(VALU_DEP_1)
	v_cmpx_ne_u16_e32 0, v13
	s_cbranch_execz .LBB6_7027
; %bb.7018:                             ;   in Loop: Header=BB6_5167 Depth=3
	v_bfrev_b32_e32 v5, 1
	s_mov_b32 s43, exec_lo
	v_cmpx_ne_u16_e32 0x80, v13
	s_cbranch_execz .LBB6_7026
; %bb.7019:                             ;   in Loop: Header=BB6_5167 Depth=3
	v_and_b32_e32 v5, 0x7c0000, v7
	v_bfe_u32 v13, v7, 16, 2
	s_delay_alu instid0(VALU_DEP_2) | instskip(SKIP_1) | instid1(SALU_CYCLE_1)
	v_cmp_ne_u32_e32 vcc_lo, 0x7c0000, v5
                                        ; implicit-def: $vgpr5
	s_and_saveexec_b32 s13, vcc_lo
	s_xor_b32 s13, exec_lo, s13
	s_cbranch_execz .LBB6_7023
; %bb.7020:                             ;   in Loop: Header=BB6_5167 Depth=3
	v_bfe_u32 v5, v7, 18, 5
	s_mov_b32 s72, exec_lo
	s_delay_alu instid0(VALU_DEP_1)
	v_cmpx_eq_u32_e32 0, v5
; %bb.7021:                             ;   in Loop: Header=BB6_5167 Depth=3
	v_clz_i32_u32_e32 v5, v13
	s_delay_alu instid0(VALU_DEP_1) | instskip(NEXT) | instid1(VALU_DEP_1)
	v_min_u32_e32 v5, 32, v5
	v_subrev_nc_u32_e32 v13, 29, v5
	s_delay_alu instid0(VALU_DEP_1) | instskip(NEXT) | instid1(VALU_DEP_1)
	v_lshlrev_b64_e32 v[98:99], v13, v[4:5]
	v_dual_sub_nc_u32 v5, 30, v5 :: v_dual_bitop2_b32 v13, 3, v98 bitop3:0x40
; %bb.7022:                             ;   in Loop: Header=BB6_5167 Depth=3
	s_or_b32 exec_lo, exec_lo, s72
	v_lshlrev_b32_e32 v4, 24, v4
	s_delay_alu instid0(VALU_DEP_1) | instskip(NEXT) | instid1(VALU_DEP_1)
	v_and_b32_e32 v4, 0x80000000, v4
	v_lshl_add_u32 v4, v5, 23, v4
	s_delay_alu instid0(VALU_DEP_1) | instskip(NEXT) | instid1(VALU_DEP_1)
	v_lshl_or_b32 v4, v13, 21, v4
                                        ; implicit-def: $vgpr13
	v_add_nc_u32_e32 v5, 0x38000000, v4
                                        ; implicit-def: $vgpr4
.LBB6_7023:                             ;   in Loop: Header=BB6_5167 Depth=3
	s_and_not1_saveexec_b32 s72, s13
; %bb.7024:                             ;   in Loop: Header=BB6_5167 Depth=3
	v_bfe_i32 v4, v4, 0, 8
	v_cmp_eq_u32_e32 vcc_lo, 0, v13
	s_delay_alu instid0(VALU_DEP_2) | instskip(SKIP_1) | instid1(VALU_DEP_1)
	v_cmp_lt_i16_e64 s13, -1, v4
	v_mov_b32_e32 v4, 0x7f800000
	v_cndmask_b32_e64 v4, 0xff800000, v4, s13
	s_delay_alu instid0(VALU_DEP_1)
	v_cndmask_b32_e32 v5, 0x7f800001, v4, vcc_lo
; %bb.7025:                             ;   in Loop: Header=BB6_5167 Depth=3
	s_or_b32 exec_lo, exec_lo, s72
.LBB6_7026:                             ;   in Loop: Header=BB6_5167 Depth=3
	s_delay_alu instid0(SALU_CYCLE_1)
	s_or_b32 exec_lo, exec_lo, s43
.LBB6_7027:                             ;   in Loop: Header=BB6_5167 Depth=3
	s_delay_alu instid0(SALU_CYCLE_1) | instskip(NEXT) | instid1(VALU_DEP_1)
	s_or_b32 exec_lo, exec_lo, s42
	v_dual_mul_f32 v12, v12, v5 :: v_dual_mov_b32 v99, v21
	v_mov_b32_e32 v5, v21
                                        ; implicit-def: $vgpr97
	s_mov_b32 s13, exec_lo
	s_delay_alu instid0(VALU_DEP_2) | instskip(SKIP_2) | instid1(VALU_DEP_3)
	v_and_b32_e32 v98, 0x7f800000, v12
	v_and_b32_e32 v4, 0x7fffff, v12
	v_lshrrev_b32_e32 v13, 24, v12
	v_cmpx_ne_u64_e32 0x7f800000, v[98:99]
	s_xor_b32 s42, exec_lo, s13
	s_cbranch_execz .LBB6_7041
; %bb.7028:                             ;   in Loop: Header=BB6_5167 Depth=3
	v_and_b32_e32 v98, 0x7fffffff, v12
	v_mov_b32_e32 v99, v21
                                        ; implicit-def: $vgpr97
	s_delay_alu instid0(VALU_DEP_1) | instskip(SKIP_2) | instid1(SALU_CYCLE_1)
	v_cmp_gt_u64_e32 vcc_lo, 0x47600001, v[98:99]
	v_and_b32_e32 v98, 0x80, v13
	s_and_saveexec_b32 s13, vcc_lo
	s_xor_b32 s43, exec_lo, s13
	s_cbranch_execz .LBB6_7038
; %bb.7029:                             ;   in Loop: Header=BB6_5167 Depth=3
	v_mov_b32_e32 v97, 0
	s_mov_b32 s72, exec_lo
	v_cmpx_ne_u32_e32 0, v12
	s_cbranch_execz .LBB6_7037
; %bb.7030:                             ;   in Loop: Header=BB6_5167 Depth=3
	v_bfe_u32 v97, v12, 23, 8
	v_or_b32_e32 v13, 0x800000, v4
	s_delay_alu instid0(VALU_DEP_2) | instskip(SKIP_2) | instid1(VALU_DEP_2)
	v_cmp_gt_u32_e64 s13, 0x72, v97
	v_sub_nc_u32_e32 v12, 0x71, v97
	v_cmp_eq_u32_e32 vcc_lo, 0, v97
	v_cndmask_b32_e64 v12, 0, v12, s13
	s_delay_alu instid0(VALU_DEP_1) | instskip(NEXT) | instid1(VALU_DEP_1)
	v_cndmask_b32_e64 v99, v12, 0x70, vcc_lo
	v_dual_cndmask_b32 v4, v13, v4, vcc_lo :: v_dual_add_nc_u32 v12, 21, v99
	v_add_nc_u32_e32 v100, 20, v99
	s_delay_alu instid0(VALU_DEP_2) | instskip(NEXT) | instid1(VALU_DEP_2)
	v_lshlrev_b64_e64 v[12:13], v12, -1
	v_lshlrev_b64_e64 v[100:101], v100, 1
	s_delay_alu instid0(VALU_DEP_2) | instskip(SKIP_1) | instid1(VALU_DEP_4)
	v_bfi_b32 v12, v12, 0, v4
	v_lshrrev_b64 v[4:5], v99, v[4:5]
	v_bfi_b32 v13, v13, 0, 0
	s_delay_alu instid0(VALU_DEP_1) | instskip(NEXT) | instid1(VALU_DEP_3)
	v_cmp_eq_u64_e64 s13, v[12:13], v[100:101]
	v_mov_b64_e32 v[12:13], v[4:5]
	s_and_saveexec_b32 s73, s13
; %bb.7031:                             ;   in Loop: Header=BB6_5167 Depth=3
	v_bfe_u32 v12, v4, 21, 1
	v_mov_b32_e32 v13, v21
	s_delay_alu instid0(VALU_DEP_1) | instskip(NEXT) | instid1(VALU_DEP_1)
	v_add_nc_u64_e32 v[12:13], v[4:5], v[12:13]
	v_add_nc_u64_e32 v[12:13], -1, v[12:13]
; %bb.7032:                             ;   in Loop: Header=BB6_5167 Depth=3
	s_or_b32 exec_lo, exec_lo, s73
	v_add_nc_u32_e32 v5, 0xffffff81, v97
	v_lshrrev_b32_e32 v13, 23, v4
	s_mov_b32 s13, exec_lo
	s_delay_alu instid0(VALU_DEP_2) | instskip(NEXT) | instid1(VALU_DEP_1)
	v_cndmask_b32_e64 v5, v5, 0xffffff82, vcc_lo
	v_add3_u32 v97, v99, v5, v13
	v_and_b32_e32 v5, 0x1fffff, v12
                                        ; implicit-def: $vgpr12
	s_delay_alu instid0(VALU_DEP_1) | instskip(SKIP_1) | instid1(VALU_DEP_2)
	v_dual_add_nc_u32 v13, 14, v97 :: v_dual_add_nc_u32 v4, v5, v4
	v_mov_b32_e32 v5, v21
	v_cmpx_ne_u32_e32 0, v13
	s_xor_b32 s13, exec_lo, s13
; %bb.7033:                             ;   in Loop: Header=BB6_5167 Depth=3
	s_delay_alu instid0(VALU_DEP_2) | instskip(SKIP_1) | instid1(VALU_DEP_1)
	v_cmp_lt_u64_e32 vcc_lo, 0xffffff, v[4:5]
	v_add_nc_u32_e32 v12, 15, v97
	v_cndmask_b32_e32 v12, v13, v12, vcc_lo
	v_cndmask_b32_e64 v13, 0, 1, vcc_lo
	s_delay_alu instid0(VALU_DEP_1)
	v_lshrrev_b64 v[4:5], v13, v[4:5]
; %bb.7034:                             ;   in Loop: Header=BB6_5167 Depth=3
	s_and_not1_saveexec_b32 s13, s13
; %bb.7035:                             ;   in Loop: Header=BB6_5167 Depth=3
	s_delay_alu instid0(VALU_DEP_1)
	v_bfe_u32 v12, v4, 23, 1
; %bb.7036:                             ;   in Loop: Header=BB6_5167 Depth=3
	s_or_b32 exec_lo, exec_lo, s13
	s_delay_alu instid0(VALU_DEP_2) | instskip(NEXT) | instid1(VALU_DEP_2)
	v_lshrrev_b64 v[4:5], 21, v[4:5]
	v_cmp_gt_i32_e32 vcc_lo, 32, v12
	v_min_i32_e32 v13, 31, v12
	v_cmp_eq_u32_e64 s13, 0, v12
	s_delay_alu instid0(VALU_DEP_4) | instskip(NEXT) | instid1(VALU_DEP_3)
	v_cndmask_b32_e32 v5, 0, v5, vcc_lo
	v_dual_cndmask_b32 v4, 3, v4 :: v_dual_lshlrev_b32 v13, 2, v13
	s_delay_alu instid0(VALU_DEP_1) | instskip(NEXT) | instid1(VALU_DEP_2)
	v_and_b32_e32 v13, 0xfc, v13
	v_cmp_eq_u64_e32 vcc_lo, 0, v[4:5]
	s_delay_alu instid0(VALU_DEP_2)
	v_and_or_b32 v4, v4, 3, v13
	s_and_b32 s13, s13, vcc_lo
	s_delay_alu instid0(VALU_DEP_1) | instid1(SALU_CYCLE_1)
	v_cndmask_b32_e64 v4, v4, 0, s13
	s_delay_alu instid0(VALU_DEP_1)
	v_or_b32_e32 v97, v4, v98
.LBB6_7037:                             ;   in Loop: Header=BB6_5167 Depth=3
	s_or_b32 exec_lo, exec_lo, s72
                                        ; implicit-def: $vgpr98
.LBB6_7038:                             ;   in Loop: Header=BB6_5167 Depth=3
	s_and_not1_saveexec_b32 s13, s43
; %bb.7039:                             ;   in Loop: Header=BB6_5167 Depth=3
	v_or_b32_e32 v97, 0x7b, v98
; %bb.7040:                             ;   in Loop: Header=BB6_5167 Depth=3
	s_or_b32 exec_lo, exec_lo, s13
                                        ; implicit-def: $vgpr12
                                        ; implicit-def: $vgpr4_vgpr5
                                        ; implicit-def: $vgpr13
.LBB6_7041:                             ;   in Loop: Header=BB6_5167 Depth=3
	s_and_not1_saveexec_b32 s13, s42
	s_cbranch_execz .LBB6_7047
; %bb.7042:                             ;   in Loop: Header=BB6_5167 Depth=3
	s_mov_b32 s42, exec_lo
                                        ; implicit-def: $vgpr97
	v_cmpx_ne_u64_e32 0, v[4:5]
	s_xor_b32 s42, exec_lo, s42
; %bb.7043:                             ;   in Loop: Header=BB6_5167 Depth=3
	v_or_b32_e32 v97, 0x7f, v13
                                        ; implicit-def: $vgpr12
; %bb.7044:                             ;   in Loop: Header=BB6_5167 Depth=3
	s_and_not1_saveexec_b32 s42, s42
; %bb.7045:                             ;   in Loop: Header=BB6_5167 Depth=3
	v_cmp_lt_i32_e32 vcc_lo, -1, v12
	v_mov_b32_e32 v4, 0x7c
	s_delay_alu instid0(VALU_DEP_1)
	v_cndmask_b32_e32 v97, 0xfc, v4, vcc_lo
; %bb.7046:                             ;   in Loop: Header=BB6_5167 Depth=3
	s_or_b32 exec_lo, exec_lo, s42
.LBB6_7047:                             ;   in Loop: Header=BB6_5167 Depth=3
	s_delay_alu instid0(SALU_CYCLE_1)
	s_or_b32 exec_lo, exec_lo, s13
	v_dual_mov_b32 v5, 0 :: v_dual_mov_b32 v12, 0
	s_mov_b32 s42, exec_lo
	v_cmpx_lt_u64_e64 s[22:23], v[16:17]
	s_cbranch_execz .LBB6_7057
; %bb.7048:                             ;   in Loop: Header=BB6_5167 Depth=3
	v_lshrrev_b32_e32 v4, 24, v17
	v_bfrev_b32_e32 v12, 1
	s_mov_b32 s43, exec_lo
	s_delay_alu instid0(VALU_DEP_2)
	v_cmpx_ne_u32_e32 0x80, v4
	s_cbranch_execz .LBB6_7056
; %bb.7049:                             ;   in Loop: Header=BB6_5167 Depth=3
	v_and_b32_e32 v12, 0x7c000000, v17
	v_bfe_u32 v13, v17, 24, 2
	s_delay_alu instid0(VALU_DEP_2) | instskip(SKIP_1) | instid1(SALU_CYCLE_1)
	v_cmp_ne_u32_e32 vcc_lo, 0x7c000000, v12
                                        ; implicit-def: $vgpr12
	s_and_saveexec_b32 s13, vcc_lo
	s_xor_b32 s13, exec_lo, s13
	s_cbranch_execz .LBB6_7053
; %bb.7050:                             ;   in Loop: Header=BB6_5167 Depth=3
	v_bfe_u32 v12, v17, 26, 5
	s_mov_b32 s72, exec_lo
	s_delay_alu instid0(VALU_DEP_1)
	v_cmpx_eq_u32_e32 0, v12
; %bb.7051:                             ;   in Loop: Header=BB6_5167 Depth=3
	v_clz_i32_u32_e32 v12, v13
	s_delay_alu instid0(VALU_DEP_1) | instskip(NEXT) | instid1(VALU_DEP_1)
	v_min_u32_e32 v12, 32, v12
	v_subrev_nc_u32_e32 v13, 29, v12
	s_delay_alu instid0(VALU_DEP_1) | instskip(NEXT) | instid1(VALU_DEP_1)
	v_lshlrev_b64_e32 v[98:99], v13, v[4:5]
	v_dual_sub_nc_u32 v12, 30, v12 :: v_dual_bitop2_b32 v13, 3, v98 bitop3:0x40
; %bb.7052:                             ;   in Loop: Header=BB6_5167 Depth=3
	s_or_b32 exec_lo, exec_lo, s72
	v_and_b32_e32 v4, 0x80000000, v17
                                        ; implicit-def: $vgpr16_vgpr17
	s_delay_alu instid0(VALU_DEP_1) | instskip(NEXT) | instid1(VALU_DEP_1)
	v_lshl_add_u32 v4, v12, 23, v4
	v_lshl_or_b32 v4, v13, 21, v4
                                        ; implicit-def: $vgpr13
	s_delay_alu instid0(VALU_DEP_1)
	v_add_nc_u32_e32 v12, 0x38000000, v4
.LBB6_7053:                             ;   in Loop: Header=BB6_5167 Depth=3
	s_and_not1_saveexec_b32 s72, s13
; %bb.7054:                             ;   in Loop: Header=BB6_5167 Depth=3
	v_cmp_lt_i64_e64 s13, -1, v[16:17]
	v_mov_b32_e32 v4, 0x7f800000
	v_cmp_eq_u32_e32 vcc_lo, 0, v13
	s_delay_alu instid0(VALU_DEP_2) | instskip(NEXT) | instid1(VALU_DEP_1)
	v_cndmask_b32_e64 v4, 0xff800000, v4, s13
	v_cndmask_b32_e32 v12, 0x7f800001, v4, vcc_lo
; %bb.7055:                             ;   in Loop: Header=BB6_5167 Depth=3
	s_or_b32 exec_lo, exec_lo, s72
.LBB6_7056:                             ;   in Loop: Header=BB6_5167 Depth=3
	s_delay_alu instid0(SALU_CYCLE_1)
	s_or_b32 exec_lo, exec_lo, s43
.LBB6_7057:                             ;   in Loop: Header=BB6_5167 Depth=3
	s_delay_alu instid0(SALU_CYCLE_1) | instskip(NEXT) | instid1(SALU_CYCLE_1)
	s_or_b32 exec_lo, exec_lo, s42
	s_mov_b32 s42, exec_lo
	v_cmpx_lt_u64_e64 s[22:23], v[6:7]
	s_cbranch_execz .LBB6_7067
; %bb.7058:                             ;   in Loop: Header=BB6_5167 Depth=3
	v_lshrrev_b32_e32 v4, 24, v7
	v_bfrev_b32_e32 v5, 1
	s_mov_b32 s43, exec_lo
	s_delay_alu instid0(VALU_DEP_2)
	v_cmpx_ne_u32_e32 0x80, v4
	s_cbranch_execz .LBB6_7066
; %bb.7059:                             ;   in Loop: Header=BB6_5167 Depth=3
	v_and_b32_e32 v5, 0x7c000000, v7
	v_bfe_u32 v13, v7, 24, 2
	s_delay_alu instid0(VALU_DEP_2) | instskip(SKIP_1) | instid1(SALU_CYCLE_1)
	v_cmp_ne_u32_e32 vcc_lo, 0x7c000000, v5
                                        ; implicit-def: $vgpr5
	s_and_saveexec_b32 s13, vcc_lo
	s_xor_b32 s13, exec_lo, s13
	s_cbranch_execz .LBB6_7063
; %bb.7060:                             ;   in Loop: Header=BB6_5167 Depth=3
	v_bfe_u32 v5, v7, 26, 5
	s_mov_b32 s72, exec_lo
	s_delay_alu instid0(VALU_DEP_1)
	v_cmpx_eq_u32_e32 0, v5
; %bb.7061:                             ;   in Loop: Header=BB6_5167 Depth=3
	v_clz_i32_u32_e32 v5, v13
	s_delay_alu instid0(VALU_DEP_1) | instskip(NEXT) | instid1(VALU_DEP_1)
	v_min_u32_e32 v6, 32, v5
	v_subrev_nc_u32_e32 v5, 29, v6
	s_delay_alu instid0(VALU_DEP_1) | instskip(NEXT) | instid1(VALU_DEP_1)
	v_lshlrev_b64_e32 v[4:5], v5, v[4:5]
	v_dual_sub_nc_u32 v5, 30, v6 :: v_dual_bitop2_b32 v13, 3, v4 bitop3:0x40
; %bb.7062:                             ;   in Loop: Header=BB6_5167 Depth=3
	s_or_b32 exec_lo, exec_lo, s72
	v_and_b32_e32 v4, 0x80000000, v7
                                        ; implicit-def: $vgpr6_vgpr7
	s_delay_alu instid0(VALU_DEP_1) | instskip(NEXT) | instid1(VALU_DEP_1)
	v_lshl_add_u32 v4, v5, 23, v4
	v_lshl_or_b32 v4, v13, 21, v4
                                        ; implicit-def: $vgpr13
	s_delay_alu instid0(VALU_DEP_1)
	v_add_nc_u32_e32 v5, 0x38000000, v4
.LBB6_7063:                             ;   in Loop: Header=BB6_5167 Depth=3
	s_and_not1_saveexec_b32 s72, s13
; %bb.7064:                             ;   in Loop: Header=BB6_5167 Depth=3
	v_cmp_lt_i64_e64 s13, -1, v[6:7]
	v_mov_b32_e32 v4, 0x7f800000
	v_cmp_eq_u32_e32 vcc_lo, 0, v13
	s_delay_alu instid0(VALU_DEP_2) | instskip(NEXT) | instid1(VALU_DEP_1)
	v_cndmask_b32_e64 v4, 0xff800000, v4, s13
	v_cndmask_b32_e32 v5, 0x7f800001, v4, vcc_lo
; %bb.7065:                             ;   in Loop: Header=BB6_5167 Depth=3
	s_or_b32 exec_lo, exec_lo, s72
.LBB6_7066:                             ;   in Loop: Header=BB6_5167 Depth=3
	s_delay_alu instid0(SALU_CYCLE_1)
	s_or_b32 exec_lo, exec_lo, s43
.LBB6_7067:                             ;   in Loop: Header=BB6_5167 Depth=3
	s_delay_alu instid0(SALU_CYCLE_1) | instskip(NEXT) | instid1(VALU_DEP_1)
	s_or_b32 exec_lo, exec_lo, s42
	v_dual_mul_f32 v6, v12, v5 :: v_dual_mov_b32 v13, v21
	v_mov_b32_e32 v5, v21
                                        ; implicit-def: $vgpr16
	s_mov_b32 s13, exec_lo
	s_delay_alu instid0(VALU_DEP_2) | instskip(SKIP_2) | instid1(VALU_DEP_3)
	v_and_b32_e32 v12, 0x7f800000, v6
	v_and_b32_e32 v4, 0x7fffff, v6
	v_lshrrev_b32_e32 v7, 24, v6
	v_cmpx_ne_u64_e32 0x7f800000, v[12:13]
	s_xor_b32 s42, exec_lo, s13
	s_cbranch_execz .LBB6_7081
; %bb.7068:                             ;   in Loop: Header=BB6_5167 Depth=3
	v_and_b32_e32 v12, 0x7fffffff, v6
	v_mov_b32_e32 v13, v21
                                        ; implicit-def: $vgpr16
	s_delay_alu instid0(VALU_DEP_1) | instskip(SKIP_2) | instid1(SALU_CYCLE_1)
	v_cmp_gt_u64_e32 vcc_lo, 0x47600001, v[12:13]
	v_and_b32_e32 v12, 0x80, v7
	s_and_saveexec_b32 s13, vcc_lo
	s_xor_b32 s43, exec_lo, s13
	s_cbranch_execz .LBB6_7078
; %bb.7069:                             ;   in Loop: Header=BB6_5167 Depth=3
	v_mov_b32_e32 v16, 0
	s_mov_b32 s72, exec_lo
	v_cmpx_ne_u32_e32 0, v6
	s_cbranch_execz .LBB6_7077
; %bb.7070:                             ;   in Loop: Header=BB6_5167 Depth=3
	v_bfe_u32 v13, v6, 23, 8
	v_or_b32_e32 v7, 0x800000, v4
	s_delay_alu instid0(VALU_DEP_2) | instskip(SKIP_2) | instid1(VALU_DEP_2)
	v_cmp_gt_u32_e64 s13, 0x72, v13
	v_sub_nc_u32_e32 v6, 0x71, v13
	v_cmp_eq_u32_e32 vcc_lo, 0, v13
	v_dual_cndmask_b32 v6, 0, v6, s13 :: v_dual_cndmask_b32 v4, v7, v4, vcc_lo
	s_delay_alu instid0(VALU_DEP_1) | instskip(NEXT) | instid1(VALU_DEP_1)
	v_cndmask_b32_e64 v16, v6, 0x70, vcc_lo
	v_dual_add_nc_u32 v6, 21, v16 :: v_dual_add_nc_u32 v17, 20, v16
	s_delay_alu instid0(VALU_DEP_1) | instskip(NEXT) | instid1(VALU_DEP_2)
	v_lshlrev_b64_e64 v[6:7], v6, -1
	v_lshlrev_b64_e64 v[98:99], v17, 1
	s_delay_alu instid0(VALU_DEP_2) | instskip(SKIP_1) | instid1(VALU_DEP_4)
	v_bfi_b32 v6, v6, 0, v4
	v_lshrrev_b64 v[4:5], v16, v[4:5]
	v_bfi_b32 v7, v7, 0, 0
	s_delay_alu instid0(VALU_DEP_1) | instskip(NEXT) | instid1(VALU_DEP_3)
	v_cmp_eq_u64_e64 s13, v[6:7], v[98:99]
	v_mov_b64_e32 v[6:7], v[4:5]
	s_and_saveexec_b32 s73, s13
; %bb.7071:                             ;   in Loop: Header=BB6_5167 Depth=3
	v_bfe_u32 v6, v4, 21, 1
	v_mov_b32_e32 v7, v21
	s_delay_alu instid0(VALU_DEP_1) | instskip(NEXT) | instid1(VALU_DEP_1)
	v_add_nc_u64_e32 v[6:7], v[4:5], v[6:7]
	v_add_nc_u64_e32 v[6:7], -1, v[6:7]
; %bb.7072:                             ;   in Loop: Header=BB6_5167 Depth=3
	s_or_b32 exec_lo, exec_lo, s73
	v_add_nc_u32_e32 v5, 0xffffff81, v13
	v_lshrrev_b32_e32 v7, 23, v4
	s_mov_b32 s13, exec_lo
	s_delay_alu instid0(VALU_DEP_2) | instskip(NEXT) | instid1(VALU_DEP_1)
	v_cndmask_b32_e64 v5, v5, 0xffffff82, vcc_lo
	v_add3_u32 v13, v16, v5, v7
	v_and_b32_e32 v5, 0x1fffff, v6
                                        ; implicit-def: $vgpr6
	s_delay_alu instid0(VALU_DEP_1) | instskip(SKIP_1) | instid1(VALU_DEP_2)
	v_dual_add_nc_u32 v7, 14, v13 :: v_dual_add_nc_u32 v4, v5, v4
	v_mov_b32_e32 v5, v21
	v_cmpx_ne_u32_e32 0, v7
	s_xor_b32 s13, exec_lo, s13
; %bb.7073:                             ;   in Loop: Header=BB6_5167 Depth=3
	s_delay_alu instid0(VALU_DEP_2) | instskip(SKIP_1) | instid1(VALU_DEP_1)
	v_cmp_lt_u64_e32 vcc_lo, 0xffffff, v[4:5]
	v_add_nc_u32_e32 v6, 15, v13
	v_cndmask_b32_e32 v6, v7, v6, vcc_lo
	v_cndmask_b32_e64 v7, 0, 1, vcc_lo
	s_delay_alu instid0(VALU_DEP_1)
	v_lshrrev_b64 v[4:5], v7, v[4:5]
; %bb.7074:                             ;   in Loop: Header=BB6_5167 Depth=3
	s_and_not1_saveexec_b32 s13, s13
; %bb.7075:                             ;   in Loop: Header=BB6_5167 Depth=3
	s_delay_alu instid0(VALU_DEP_1)
	v_bfe_u32 v6, v4, 23, 1
; %bb.7076:                             ;   in Loop: Header=BB6_5167 Depth=3
	s_or_b32 exec_lo, exec_lo, s13
	s_delay_alu instid0(VALU_DEP_2) | instskip(NEXT) | instid1(VALU_DEP_2)
	v_lshrrev_b64 v[4:5], 21, v[4:5]
	v_cmp_gt_i32_e32 vcc_lo, 32, v6
	v_min_i32_e32 v7, 31, v6
	v_cmp_eq_u32_e64 s13, 0, v6
	s_delay_alu instid0(VALU_DEP_2) | instskip(SKIP_1) | instid1(VALU_DEP_2)
	v_dual_cndmask_b32 v5, 0, v5, vcc_lo :: v_dual_lshlrev_b32 v7, 2, v7
	v_cndmask_b32_e32 v4, 3, v4, vcc_lo
	v_and_b32_e32 v7, 0xfc, v7
	s_delay_alu instid0(VALU_DEP_2) | instskip(NEXT) | instid1(VALU_DEP_2)
	v_cmp_eq_u64_e32 vcc_lo, 0, v[4:5]
	v_and_or_b32 v4, v4, 3, v7
	s_and_b32 s13, s13, vcc_lo
	s_delay_alu instid0(VALU_DEP_1) | instid1(SALU_CYCLE_1)
	v_cndmask_b32_e64 v4, v4, 0, s13
	s_delay_alu instid0(VALU_DEP_1)
	v_or_b32_e32 v16, v4, v12
.LBB6_7077:                             ;   in Loop: Header=BB6_5167 Depth=3
	s_or_b32 exec_lo, exec_lo, s72
                                        ; implicit-def: $vgpr12
.LBB6_7078:                             ;   in Loop: Header=BB6_5167 Depth=3
	s_and_not1_saveexec_b32 s13, s43
; %bb.7079:                             ;   in Loop: Header=BB6_5167 Depth=3
	v_or_b32_e32 v16, 0x7b, v12
; %bb.7080:                             ;   in Loop: Header=BB6_5167 Depth=3
	s_or_b32 exec_lo, exec_lo, s13
                                        ; implicit-def: $vgpr6
                                        ; implicit-def: $vgpr4_vgpr5
                                        ; implicit-def: $vgpr7
.LBB6_7081:                             ;   in Loop: Header=BB6_5167 Depth=3
	s_and_not1_saveexec_b32 s13, s42
	s_cbranch_execz .LBB6_7087
; %bb.7082:                             ;   in Loop: Header=BB6_5167 Depth=3
	s_mov_b32 s42, exec_lo
                                        ; implicit-def: $vgpr16
	v_cmpx_ne_u64_e32 0, v[4:5]
	s_xor_b32 s42, exec_lo, s42
; %bb.7083:                             ;   in Loop: Header=BB6_5167 Depth=3
	v_or_b32_e32 v16, 0x7f, v7
                                        ; implicit-def: $vgpr6
; %bb.7084:                             ;   in Loop: Header=BB6_5167 Depth=3
	s_and_not1_saveexec_b32 s42, s42
; %bb.7085:                             ;   in Loop: Header=BB6_5167 Depth=3
	v_cmp_lt_i32_e32 vcc_lo, -1, v6
	v_mov_b32_e32 v4, 0x7c
	s_delay_alu instid0(VALU_DEP_1)
	v_cndmask_b32_e32 v16, 0xfc, v4, vcc_lo
; %bb.7086:                             ;   in Loop: Header=BB6_5167 Depth=3
	s_or_b32 exec_lo, exec_lo, s42
.LBB6_7087:                             ;   in Loop: Header=BB6_5167 Depth=3
	s_delay_alu instid0(SALU_CYCLE_1) | instskip(SKIP_2) | instid1(VALU_DEP_2)
	s_or_b32 exec_lo, exec_lo, s13
	v_and_b32_e32 v5, 0xff, v0
	v_mov_b32_e32 v4, 0
	v_cmp_ne_u16_e32 vcc_lo, 0, v5
	v_mov_b32_e32 v5, 0
	s_and_saveexec_b32 s42, vcc_lo
	s_cbranch_execz .LBB6_7097
; %bb.7088:                             ;   in Loop: Header=BB6_5167 Depth=3
	v_bfe_i32 v7, v0, 0, 8
	v_bfrev_b32_e32 v5, 1
	s_mov_b32 s43, exec_lo
	s_delay_alu instid0(VALU_DEP_2)
	v_cmpx_ne_u16_e32 0xff80, v7
	s_cbranch_execz .LBB6_7096
; %bb.7089:                             ;   in Loop: Header=BB6_5167 Depth=3
	v_and_b32_e32 v5, 0x7c, v0
	v_and_b32_e32 v6, 3, v0
	s_delay_alu instid0(VALU_DEP_2) | instskip(SKIP_1) | instid1(SALU_CYCLE_1)
	v_cmp_ne_u32_e32 vcc_lo, 0x7c, v5
                                        ; implicit-def: $vgpr5
	s_and_saveexec_b32 s13, vcc_lo
	s_xor_b32 s13, exec_lo, s13
	s_cbranch_execz .LBB6_7093
; %bb.7090:                             ;   in Loop: Header=BB6_5167 Depth=3
	v_bfe_u32 v5, v0, 2, 5
	s_mov_b32 s72, exec_lo
	s_delay_alu instid0(VALU_DEP_1)
	v_cmpx_eq_u32_e32 0, v5
; %bb.7091:                             ;   in Loop: Header=BB6_5167 Depth=3
	v_clz_i32_u32_e32 v5, v6
	s_delay_alu instid0(VALU_DEP_1) | instskip(NEXT) | instid1(VALU_DEP_1)
	v_min_u32_e32 v5, 32, v5
	v_subrev_nc_u32_e32 v6, 29, v5
	s_delay_alu instid0(VALU_DEP_1) | instskip(NEXT) | instid1(VALU_DEP_1)
	v_lshlrev_b64_e32 v[6:7], v6, v[0:1]
	v_dual_sub_nc_u32 v5, 30, v5 :: v_dual_bitop2_b32 v6, 3, v6 bitop3:0x40
; %bb.7092:                             ;   in Loop: Header=BB6_5167 Depth=3
	s_or_b32 exec_lo, exec_lo, s72
	v_lshlrev_b32_e32 v7, 24, v0
	s_delay_alu instid0(VALU_DEP_1) | instskip(NEXT) | instid1(VALU_DEP_1)
	v_and_b32_e32 v7, 0x80000000, v7
	v_lshl_add_u32 v5, v5, 23, v7
                                        ; implicit-def: $vgpr7
	s_delay_alu instid0(VALU_DEP_1) | instskip(NEXT) | instid1(VALU_DEP_1)
	v_lshl_or_b32 v5, v6, 21, v5
                                        ; implicit-def: $vgpr6
	v_add_nc_u32_e32 v5, 0x38000000, v5
.LBB6_7093:                             ;   in Loop: Header=BB6_5167 Depth=3
	s_and_not1_saveexec_b32 s72, s13
; %bb.7094:                             ;   in Loop: Header=BB6_5167 Depth=3
	v_cmp_lt_i16_e64 s13, -1, v7
	v_mov_b32_e32 v5, 0x7f800000
	v_cmp_eq_u32_e32 vcc_lo, 0, v6
	s_delay_alu instid0(VALU_DEP_2) | instskip(NEXT) | instid1(VALU_DEP_1)
	v_cndmask_b32_e64 v5, 0xff800000, v5, s13
	v_cndmask_b32_e32 v5, 0x7f800001, v5, vcc_lo
; %bb.7095:                             ;   in Loop: Header=BB6_5167 Depth=3
	s_or_b32 exec_lo, exec_lo, s72
.LBB6_7096:                             ;   in Loop: Header=BB6_5167 Depth=3
	s_delay_alu instid0(SALU_CYCLE_1)
	s_or_b32 exec_lo, exec_lo, s43
.LBB6_7097:                             ;   in Loop: Header=BB6_5167 Depth=3
	s_delay_alu instid0(SALU_CYCLE_1) | instskip(SKIP_3) | instid1(VALU_DEP_1)
	s_or_b32 exec_lo, exec_lo, s42
	s_wait_loadcnt 0x0
	v_and_b32_e32 v6, 0xff, v8
	s_mov_b32 s42, exec_lo
	v_cmpx_ne_u16_e32 0, v6
	s_cbranch_execz .LBB6_7107
; %bb.7098:                             ;   in Loop: Header=BB6_5167 Depth=3
	v_bfe_i32 v7, v8, 0, 8
	v_bfrev_b32_e32 v4, 1
	s_mov_b32 s43, exec_lo
	s_delay_alu instid0(VALU_DEP_2)
	v_cmpx_ne_u16_e32 0xff80, v7
	s_cbranch_execz .LBB6_7106
; %bb.7099:                             ;   in Loop: Header=BB6_5167 Depth=3
	v_and_b32_e32 v4, 0x7c, v8
	v_and_b32_e32 v6, 3, v8
	s_delay_alu instid0(VALU_DEP_2) | instskip(SKIP_1) | instid1(SALU_CYCLE_1)
	v_cmp_ne_u32_e32 vcc_lo, 0x7c, v4
                                        ; implicit-def: $vgpr4
	s_and_saveexec_b32 s13, vcc_lo
	s_xor_b32 s13, exec_lo, s13
	s_cbranch_execz .LBB6_7103
; %bb.7100:                             ;   in Loop: Header=BB6_5167 Depth=3
	v_bfe_u32 v4, v8, 2, 5
	s_mov_b32 s72, exec_lo
	s_delay_alu instid0(VALU_DEP_1)
	v_cmpx_eq_u32_e32 0, v4
; %bb.7101:                             ;   in Loop: Header=BB6_5167 Depth=3
	v_clz_i32_u32_e32 v4, v6
	s_delay_alu instid0(VALU_DEP_1) | instskip(NEXT) | instid1(VALU_DEP_1)
	v_min_u32_e32 v4, 32, v4
	v_subrev_nc_u32_e32 v6, 29, v4
	s_delay_alu instid0(VALU_DEP_1) | instskip(NEXT) | instid1(VALU_DEP_1)
	v_lshlrev_b64_e32 v[6:7], v6, v[8:9]
	v_dual_sub_nc_u32 v4, 30, v4 :: v_dual_bitop2_b32 v6, 3, v6 bitop3:0x40
; %bb.7102:                             ;   in Loop: Header=BB6_5167 Depth=3
	s_or_b32 exec_lo, exec_lo, s72
	v_lshlrev_b32_e32 v7, 24, v8
	s_delay_alu instid0(VALU_DEP_1) | instskip(NEXT) | instid1(VALU_DEP_1)
	v_and_b32_e32 v7, 0x80000000, v7
	v_lshl_add_u32 v4, v4, 23, v7
                                        ; implicit-def: $vgpr7
	s_delay_alu instid0(VALU_DEP_1) | instskip(NEXT) | instid1(VALU_DEP_1)
	v_lshl_or_b32 v4, v6, 21, v4
                                        ; implicit-def: $vgpr6
	v_add_nc_u32_e32 v4, 0x38000000, v4
.LBB6_7103:                             ;   in Loop: Header=BB6_5167 Depth=3
	s_and_not1_saveexec_b32 s72, s13
; %bb.7104:                             ;   in Loop: Header=BB6_5167 Depth=3
	v_cmp_lt_i16_e64 s13, -1, v7
	v_mov_b32_e32 v4, 0x7f800000
	v_cmp_eq_u32_e32 vcc_lo, 0, v6
	s_delay_alu instid0(VALU_DEP_2) | instskip(NEXT) | instid1(VALU_DEP_1)
	v_cndmask_b32_e64 v4, 0xff800000, v4, s13
	v_cndmask_b32_e32 v4, 0x7f800001, v4, vcc_lo
; %bb.7105:                             ;   in Loop: Header=BB6_5167 Depth=3
	s_or_b32 exec_lo, exec_lo, s72
.LBB6_7106:                             ;   in Loop: Header=BB6_5167 Depth=3
	s_delay_alu instid0(SALU_CYCLE_1)
	s_or_b32 exec_lo, exec_lo, s43
.LBB6_7107:                             ;   in Loop: Header=BB6_5167 Depth=3
	s_delay_alu instid0(SALU_CYCLE_1) | instskip(NEXT) | instid1(VALU_DEP_1)
	s_or_b32 exec_lo, exec_lo, s42
	v_mul_f32_e32 v6, v5, v4
	v_dual_mov_b32 v13, v21 :: v_dual_mov_b32 v5, v21
                                        ; implicit-def: $vgpr17
	s_mov_b32 s13, exec_lo
	s_delay_alu instid0(VALU_DEP_2) | instskip(SKIP_2) | instid1(VALU_DEP_3)
	v_and_b32_e32 v12, 0x7f800000, v6
	v_and_b32_e32 v4, 0x7fffff, v6
	v_lshrrev_b32_e32 v7, 24, v6
	v_cmpx_ne_u64_e32 0x7f800000, v[12:13]
	s_xor_b32 s42, exec_lo, s13
	s_cbranch_execz .LBB6_7121
; %bb.7108:                             ;   in Loop: Header=BB6_5167 Depth=3
	v_and_b32_e32 v12, 0x7fffffff, v6
	v_mov_b32_e32 v13, v21
                                        ; implicit-def: $vgpr17
	s_delay_alu instid0(VALU_DEP_1) | instskip(SKIP_2) | instid1(SALU_CYCLE_1)
	v_cmp_gt_u64_e32 vcc_lo, 0x47600001, v[12:13]
	v_and_b32_e32 v12, 0x80, v7
	s_and_saveexec_b32 s13, vcc_lo
	s_xor_b32 s43, exec_lo, s13
	s_cbranch_execz .LBB6_7118
; %bb.7109:                             ;   in Loop: Header=BB6_5167 Depth=3
	v_mov_b32_e32 v17, 0
	s_mov_b32 s72, exec_lo
	v_cmpx_ne_u32_e32 0, v6
	s_cbranch_execz .LBB6_7117
; %bb.7110:                             ;   in Loop: Header=BB6_5167 Depth=3
	v_bfe_u32 v13, v6, 23, 8
	v_or_b32_e32 v7, 0x800000, v4
	s_delay_alu instid0(VALU_DEP_2) | instskip(SKIP_2) | instid1(VALU_DEP_2)
	v_cmp_gt_u32_e64 s13, 0x72, v13
	v_sub_nc_u32_e32 v6, 0x71, v13
	v_cmp_eq_u32_e32 vcc_lo, 0, v13
	v_dual_cndmask_b32 v6, 0, v6, s13 :: v_dual_cndmask_b32 v4, v7, v4, vcc_lo
	s_delay_alu instid0(VALU_DEP_1) | instskip(NEXT) | instid1(VALU_DEP_1)
	v_cndmask_b32_e64 v17, v6, 0x70, vcc_lo
	v_dual_add_nc_u32 v6, 21, v17 :: v_dual_add_nc_u32 v98, 20, v17
	s_delay_alu instid0(VALU_DEP_1) | instskip(NEXT) | instid1(VALU_DEP_2)
	v_lshlrev_b64_e64 v[6:7], v6, -1
	v_lshlrev_b64_e64 v[98:99], v98, 1
	s_delay_alu instid0(VALU_DEP_2) | instskip(SKIP_1) | instid1(VALU_DEP_4)
	v_bfi_b32 v6, v6, 0, v4
	v_lshrrev_b64 v[4:5], v17, v[4:5]
	v_bfi_b32 v7, v7, 0, 0
	s_delay_alu instid0(VALU_DEP_1) | instskip(NEXT) | instid1(VALU_DEP_3)
	v_cmp_eq_u64_e64 s13, v[6:7], v[98:99]
	v_mov_b64_e32 v[6:7], v[4:5]
	s_and_saveexec_b32 s73, s13
; %bb.7111:                             ;   in Loop: Header=BB6_5167 Depth=3
	v_bfe_u32 v6, v4, 21, 1
	v_mov_b32_e32 v7, v21
	s_delay_alu instid0(VALU_DEP_1) | instskip(NEXT) | instid1(VALU_DEP_1)
	v_add_nc_u64_e32 v[6:7], v[4:5], v[6:7]
	v_add_nc_u64_e32 v[6:7], -1, v[6:7]
; %bb.7112:                             ;   in Loop: Header=BB6_5167 Depth=3
	s_or_b32 exec_lo, exec_lo, s73
	v_add_nc_u32_e32 v5, 0xffffff81, v13
	v_lshrrev_b32_e32 v7, 23, v4
	s_mov_b32 s13, exec_lo
	s_delay_alu instid0(VALU_DEP_2) | instskip(NEXT) | instid1(VALU_DEP_1)
	v_cndmask_b32_e64 v5, v5, 0xffffff82, vcc_lo
	v_add3_u32 v13, v17, v5, v7
	v_and_b32_e32 v5, 0x1fffff, v6
                                        ; implicit-def: $vgpr6
	s_delay_alu instid0(VALU_DEP_1) | instskip(SKIP_1) | instid1(VALU_DEP_2)
	v_dual_add_nc_u32 v7, 14, v13 :: v_dual_add_nc_u32 v4, v5, v4
	v_mov_b32_e32 v5, v21
	v_cmpx_ne_u32_e32 0, v7
	s_xor_b32 s13, exec_lo, s13
; %bb.7113:                             ;   in Loop: Header=BB6_5167 Depth=3
	s_delay_alu instid0(VALU_DEP_2) | instskip(SKIP_1) | instid1(VALU_DEP_1)
	v_cmp_lt_u64_e32 vcc_lo, 0xffffff, v[4:5]
	v_add_nc_u32_e32 v6, 15, v13
	v_cndmask_b32_e32 v6, v7, v6, vcc_lo
	v_cndmask_b32_e64 v7, 0, 1, vcc_lo
	s_delay_alu instid0(VALU_DEP_1)
	v_lshrrev_b64 v[4:5], v7, v[4:5]
; %bb.7114:                             ;   in Loop: Header=BB6_5167 Depth=3
	s_and_not1_saveexec_b32 s13, s13
; %bb.7115:                             ;   in Loop: Header=BB6_5167 Depth=3
	s_delay_alu instid0(VALU_DEP_1)
	v_bfe_u32 v6, v4, 23, 1
; %bb.7116:                             ;   in Loop: Header=BB6_5167 Depth=3
	s_or_b32 exec_lo, exec_lo, s13
	s_delay_alu instid0(VALU_DEP_2) | instskip(NEXT) | instid1(VALU_DEP_2)
	v_lshrrev_b64 v[4:5], 21, v[4:5]
	v_cmp_gt_i32_e32 vcc_lo, 32, v6
	v_min_i32_e32 v7, 31, v6
	v_cmp_eq_u32_e64 s13, 0, v6
	s_delay_alu instid0(VALU_DEP_2) | instskip(SKIP_1) | instid1(VALU_DEP_2)
	v_dual_cndmask_b32 v5, 0, v5, vcc_lo :: v_dual_lshlrev_b32 v7, 2, v7
	v_cndmask_b32_e32 v4, 3, v4, vcc_lo
	v_and_b32_e32 v7, 0xfc, v7
	s_delay_alu instid0(VALU_DEP_2) | instskip(NEXT) | instid1(VALU_DEP_2)
	v_cmp_eq_u64_e32 vcc_lo, 0, v[4:5]
	v_and_or_b32 v4, v4, 3, v7
	s_and_b32 s13, s13, vcc_lo
	s_delay_alu instid0(VALU_DEP_1) | instid1(SALU_CYCLE_1)
	v_cndmask_b32_e64 v4, v4, 0, s13
	s_delay_alu instid0(VALU_DEP_1)
	v_or_b32_e32 v17, v4, v12
.LBB6_7117:                             ;   in Loop: Header=BB6_5167 Depth=3
	s_or_b32 exec_lo, exec_lo, s72
                                        ; implicit-def: $vgpr12
.LBB6_7118:                             ;   in Loop: Header=BB6_5167 Depth=3
	s_and_not1_saveexec_b32 s13, s43
; %bb.7119:                             ;   in Loop: Header=BB6_5167 Depth=3
	v_or_b32_e32 v17, 0x7b, v12
; %bb.7120:                             ;   in Loop: Header=BB6_5167 Depth=3
	s_or_b32 exec_lo, exec_lo, s13
                                        ; implicit-def: $vgpr6
                                        ; implicit-def: $vgpr4_vgpr5
                                        ; implicit-def: $vgpr7
.LBB6_7121:                             ;   in Loop: Header=BB6_5167 Depth=3
	s_and_not1_saveexec_b32 s13, s42
	s_cbranch_execz .LBB6_7127
; %bb.7122:                             ;   in Loop: Header=BB6_5167 Depth=3
	s_mov_b32 s42, exec_lo
                                        ; implicit-def: $vgpr17
	v_cmpx_ne_u64_e32 0, v[4:5]
	s_xor_b32 s42, exec_lo, s42
; %bb.7123:                             ;   in Loop: Header=BB6_5167 Depth=3
	v_or_b32_e32 v17, 0x7f, v7
                                        ; implicit-def: $vgpr6
; %bb.7124:                             ;   in Loop: Header=BB6_5167 Depth=3
	s_and_not1_saveexec_b32 s42, s42
; %bb.7125:                             ;   in Loop: Header=BB6_5167 Depth=3
	v_cmp_lt_i32_e32 vcc_lo, -1, v6
	v_mov_b32_e32 v4, 0x7c
	s_delay_alu instid0(VALU_DEP_1)
	v_cndmask_b32_e32 v17, 0xfc, v4, vcc_lo
; %bb.7126:                             ;   in Loop: Header=BB6_5167 Depth=3
	s_or_b32 exec_lo, exec_lo, s42
.LBB6_7127:                             ;   in Loop: Header=BB6_5167 Depth=3
	s_delay_alu instid0(SALU_CYCLE_1) | instskip(SKIP_3) | instid1(VALU_DEP_2)
	s_or_b32 exec_lo, exec_lo, s13
	v_lshrrev_b16 v4, 8, v0
	v_dual_mov_b32 v6, 0 :: v_dual_mov_b32 v7, 0
	s_mov_b32 s42, exec_lo
	v_cmpx_ne_u16_e32 0, v4
	s_cbranch_execz .LBB6_7137
; %bb.7128:                             ;   in Loop: Header=BB6_5167 Depth=3
	v_bfrev_b32_e32 v7, 1
	s_mov_b32 s43, exec_lo
	v_cmpx_ne_u16_e32 0x80, v4
	s_cbranch_execz .LBB6_7136
; %bb.7129:                             ;   in Loop: Header=BB6_5167 Depth=3
	v_and_b32_e32 v12, 0xffff, v4
	s_delay_alu instid0(VALU_DEP_1) | instskip(SKIP_1) | instid1(VALU_DEP_2)
	v_and_b32_e32 v7, 0x7c, v12
	v_and_b32_e32 v5, 3, v12
	v_cmp_ne_u32_e32 vcc_lo, 0x7c, v7
                                        ; implicit-def: $vgpr7
	s_and_saveexec_b32 s13, vcc_lo
	s_delay_alu instid0(SALU_CYCLE_1)
	s_xor_b32 s13, exec_lo, s13
	s_cbranch_execz .LBB6_7133
; %bb.7130:                             ;   in Loop: Header=BB6_5167 Depth=3
	v_bfe_u32 v7, v12, 2, 5
	s_mov_b32 s72, exec_lo
	s_delay_alu instid0(VALU_DEP_1)
	v_cmpx_eq_u32_e32 0, v7
	s_cbranch_execz .LBB6_7132
; %bb.7131:                             ;   in Loop: Header=BB6_5167 Depth=3
	v_clz_i32_u32_e32 v5, v5
	s_delay_alu instid0(VALU_DEP_1) | instskip(SKIP_1) | instid1(VALU_DEP_2)
	v_min_u32_e32 v7, 32, v5
	v_mov_b32_e32 v5, v21
	v_subrev_nc_u32_e32 v12, 29, v7
	v_sub_nc_u32_e32 v7, 30, v7
	s_delay_alu instid0(VALU_DEP_2) | instskip(NEXT) | instid1(VALU_DEP_1)
	v_lshlrev_b64_e32 v[4:5], v12, v[4:5]
	v_and_b32_e32 v5, 3, v4
.LBB6_7132:                             ;   in Loop: Header=BB6_5167 Depth=3
	s_or_b32 exec_lo, exec_lo, s72
	v_lshlrev_b32_e32 v4, 16, v0
	s_delay_alu instid0(VALU_DEP_1) | instskip(NEXT) | instid1(VALU_DEP_1)
	v_and_b32_e32 v4, 0x80000000, v4
	v_lshl_add_u32 v4, v7, 23, v4
	s_delay_alu instid0(VALU_DEP_1) | instskip(NEXT) | instid1(VALU_DEP_1)
	v_lshl_or_b32 v4, v5, 21, v4
                                        ; implicit-def: $vgpr5
	v_add_nc_u32_e32 v7, 0x38000000, v4
.LBB6_7133:                             ;   in Loop: Header=BB6_5167 Depth=3
	s_and_not1_saveexec_b32 s72, s13
; %bb.7134:                             ;   in Loop: Header=BB6_5167 Depth=3
	v_cmp_lt_i16_e64 s13, -1, v0
	v_mov_b32_e32 v4, 0x7f800000
	v_cmp_eq_u32_e32 vcc_lo, 0, v5
	s_delay_alu instid0(VALU_DEP_2) | instskip(NEXT) | instid1(VALU_DEP_1)
	v_cndmask_b32_e64 v4, 0xff800000, v4, s13
	v_cndmask_b32_e32 v7, 0x7f800001, v4, vcc_lo
; %bb.7135:                             ;   in Loop: Header=BB6_5167 Depth=3
	s_or_b32 exec_lo, exec_lo, s72
.LBB6_7136:                             ;   in Loop: Header=BB6_5167 Depth=3
	s_delay_alu instid0(SALU_CYCLE_1)
	s_or_b32 exec_lo, exec_lo, s43
.LBB6_7137:                             ;   in Loop: Header=BB6_5167 Depth=3
	s_delay_alu instid0(SALU_CYCLE_1) | instskip(SKIP_2) | instid1(VALU_DEP_1)
	s_or_b32 exec_lo, exec_lo, s42
	v_lshrrev_b16 v4, 8, v8
	s_mov_b32 s42, exec_lo
	v_cmpx_ne_u16_e32 0, v4
	s_cbranch_execz .LBB6_7147
; %bb.7138:                             ;   in Loop: Header=BB6_5167 Depth=3
	v_bfrev_b32_e32 v6, 1
	s_mov_b32 s43, exec_lo
	v_cmpx_ne_u16_e32 0x80, v4
	s_cbranch_execz .LBB6_7146
; %bb.7139:                             ;   in Loop: Header=BB6_5167 Depth=3
	v_and_b32_e32 v12, 0xffff, v4
	s_delay_alu instid0(VALU_DEP_1) | instskip(SKIP_1) | instid1(VALU_DEP_2)
	v_and_b32_e32 v6, 0x7c, v12
	v_and_b32_e32 v5, 3, v12
	v_cmp_ne_u32_e32 vcc_lo, 0x7c, v6
                                        ; implicit-def: $vgpr6
	s_and_saveexec_b32 s13, vcc_lo
	s_delay_alu instid0(SALU_CYCLE_1)
	s_xor_b32 s13, exec_lo, s13
	s_cbranch_execz .LBB6_7143
; %bb.7140:                             ;   in Loop: Header=BB6_5167 Depth=3
	v_bfe_u32 v6, v12, 2, 5
	s_mov_b32 s72, exec_lo
	s_delay_alu instid0(VALU_DEP_1)
	v_cmpx_eq_u32_e32 0, v6
	s_cbranch_execz .LBB6_7142
; %bb.7141:                             ;   in Loop: Header=BB6_5167 Depth=3
	v_clz_i32_u32_e32 v5, v5
	s_delay_alu instid0(VALU_DEP_1) | instskip(SKIP_1) | instid1(VALU_DEP_2)
	v_min_u32_e32 v6, 32, v5
	v_mov_b32_e32 v5, v21
	v_subrev_nc_u32_e32 v12, 29, v6
	v_sub_nc_u32_e32 v6, 30, v6
	s_delay_alu instid0(VALU_DEP_2) | instskip(NEXT) | instid1(VALU_DEP_1)
	v_lshlrev_b64_e32 v[4:5], v12, v[4:5]
	v_and_b32_e32 v5, 3, v4
.LBB6_7142:                             ;   in Loop: Header=BB6_5167 Depth=3
	s_or_b32 exec_lo, exec_lo, s72
	v_lshlrev_b32_e32 v4, 16, v8
	s_delay_alu instid0(VALU_DEP_1) | instskip(NEXT) | instid1(VALU_DEP_1)
	v_and_b32_e32 v4, 0x80000000, v4
	v_lshl_add_u32 v4, v6, 23, v4
	s_delay_alu instid0(VALU_DEP_1) | instskip(NEXT) | instid1(VALU_DEP_1)
	v_lshl_or_b32 v4, v5, 21, v4
                                        ; implicit-def: $vgpr5
	v_add_nc_u32_e32 v6, 0x38000000, v4
.LBB6_7143:                             ;   in Loop: Header=BB6_5167 Depth=3
	s_and_not1_saveexec_b32 s72, s13
; %bb.7144:                             ;   in Loop: Header=BB6_5167 Depth=3
	v_cmp_lt_i16_e64 s13, -1, v8
	v_mov_b32_e32 v4, 0x7f800000
	v_cmp_eq_u32_e32 vcc_lo, 0, v5
	s_delay_alu instid0(VALU_DEP_2) | instskip(NEXT) | instid1(VALU_DEP_1)
	v_cndmask_b32_e64 v4, 0xff800000, v4, s13
	v_cndmask_b32_e32 v6, 0x7f800001, v4, vcc_lo
; %bb.7145:                             ;   in Loop: Header=BB6_5167 Depth=3
	s_or_b32 exec_lo, exec_lo, s72
.LBB6_7146:                             ;   in Loop: Header=BB6_5167 Depth=3
	s_delay_alu instid0(SALU_CYCLE_1)
	s_or_b32 exec_lo, exec_lo, s43
.LBB6_7147:                             ;   in Loop: Header=BB6_5167 Depth=3
	s_delay_alu instid0(SALU_CYCLE_1) | instskip(NEXT) | instid1(VALU_DEP_1)
	s_or_b32 exec_lo, exec_lo, s42
	v_dual_mul_f32 v6, v7, v6 :: v_dual_mov_b32 v13, v21
	v_mov_b32_e32 v5, v21
                                        ; implicit-def: $vgpr98
	s_mov_b32 s13, exec_lo
	s_delay_alu instid0(VALU_DEP_2) | instskip(SKIP_2) | instid1(VALU_DEP_3)
	v_and_b32_e32 v12, 0x7f800000, v6
	v_and_b32_e32 v4, 0x7fffff, v6
	v_lshrrev_b32_e32 v7, 24, v6
	v_cmpx_ne_u64_e32 0x7f800000, v[12:13]
	s_xor_b32 s42, exec_lo, s13
	s_cbranch_execz .LBB6_7161
; %bb.7148:                             ;   in Loop: Header=BB6_5167 Depth=3
	v_and_b32_e32 v12, 0x7fffffff, v6
	v_mov_b32_e32 v13, v21
                                        ; implicit-def: $vgpr98
	s_delay_alu instid0(VALU_DEP_1) | instskip(SKIP_2) | instid1(SALU_CYCLE_1)
	v_cmp_gt_u64_e32 vcc_lo, 0x47600001, v[12:13]
	v_and_b32_e32 v12, 0x80, v7
	s_and_saveexec_b32 s13, vcc_lo
	s_xor_b32 s43, exec_lo, s13
	s_cbranch_execz .LBB6_7158
; %bb.7149:                             ;   in Loop: Header=BB6_5167 Depth=3
	v_mov_b32_e32 v98, 0
	s_mov_b32 s72, exec_lo
	v_cmpx_ne_u32_e32 0, v6
	s_cbranch_execz .LBB6_7157
; %bb.7150:                             ;   in Loop: Header=BB6_5167 Depth=3
	v_bfe_u32 v13, v6, 23, 8
	v_or_b32_e32 v7, 0x800000, v4
	s_delay_alu instid0(VALU_DEP_2) | instskip(SKIP_2) | instid1(VALU_DEP_2)
	v_cmp_gt_u32_e64 s13, 0x72, v13
	v_sub_nc_u32_e32 v6, 0x71, v13
	v_cmp_eq_u32_e32 vcc_lo, 0, v13
	v_dual_cndmask_b32 v6, 0, v6, s13 :: v_dual_cndmask_b32 v4, v7, v4, vcc_lo
	s_delay_alu instid0(VALU_DEP_1) | instskip(NEXT) | instid1(VALU_DEP_1)
	v_cndmask_b32_e64 v98, v6, 0x70, vcc_lo
	v_dual_add_nc_u32 v6, 21, v98 :: v_dual_add_nc_u32 v99, 20, v98
	s_delay_alu instid0(VALU_DEP_1) | instskip(NEXT) | instid1(VALU_DEP_2)
	v_lshlrev_b64_e64 v[6:7], v6, -1
	v_lshlrev_b64_e64 v[100:101], v99, 1
	s_delay_alu instid0(VALU_DEP_2) | instskip(SKIP_1) | instid1(VALU_DEP_4)
	v_bfi_b32 v6, v6, 0, v4
	v_lshrrev_b64 v[4:5], v98, v[4:5]
	v_bfi_b32 v7, v7, 0, 0
	s_delay_alu instid0(VALU_DEP_1) | instskip(NEXT) | instid1(VALU_DEP_3)
	v_cmp_eq_u64_e64 s13, v[6:7], v[100:101]
	v_mov_b64_e32 v[6:7], v[4:5]
	s_and_saveexec_b32 s73, s13
; %bb.7151:                             ;   in Loop: Header=BB6_5167 Depth=3
	v_bfe_u32 v6, v4, 21, 1
	v_mov_b32_e32 v7, v21
	s_delay_alu instid0(VALU_DEP_1) | instskip(NEXT) | instid1(VALU_DEP_1)
	v_add_nc_u64_e32 v[6:7], v[4:5], v[6:7]
	v_add_nc_u64_e32 v[6:7], -1, v[6:7]
; %bb.7152:                             ;   in Loop: Header=BB6_5167 Depth=3
	s_or_b32 exec_lo, exec_lo, s73
	v_add_nc_u32_e32 v5, 0xffffff81, v13
	v_lshrrev_b32_e32 v7, 23, v4
	s_mov_b32 s13, exec_lo
	s_delay_alu instid0(VALU_DEP_2) | instskip(NEXT) | instid1(VALU_DEP_1)
	v_cndmask_b32_e64 v5, v5, 0xffffff82, vcc_lo
	v_add3_u32 v13, v98, v5, v7
	v_and_b32_e32 v5, 0x1fffff, v6
                                        ; implicit-def: $vgpr6
	s_delay_alu instid0(VALU_DEP_1) | instskip(SKIP_1) | instid1(VALU_DEP_2)
	v_dual_add_nc_u32 v7, 14, v13 :: v_dual_add_nc_u32 v4, v5, v4
	v_mov_b32_e32 v5, v21
	v_cmpx_ne_u32_e32 0, v7
	s_xor_b32 s13, exec_lo, s13
; %bb.7153:                             ;   in Loop: Header=BB6_5167 Depth=3
	s_delay_alu instid0(VALU_DEP_2) | instskip(SKIP_1) | instid1(VALU_DEP_1)
	v_cmp_lt_u64_e32 vcc_lo, 0xffffff, v[4:5]
	v_add_nc_u32_e32 v6, 15, v13
	v_cndmask_b32_e32 v6, v7, v6, vcc_lo
	v_cndmask_b32_e64 v7, 0, 1, vcc_lo
	s_delay_alu instid0(VALU_DEP_1)
	v_lshrrev_b64 v[4:5], v7, v[4:5]
; %bb.7154:                             ;   in Loop: Header=BB6_5167 Depth=3
	s_and_not1_saveexec_b32 s13, s13
; %bb.7155:                             ;   in Loop: Header=BB6_5167 Depth=3
	s_delay_alu instid0(VALU_DEP_1)
	v_bfe_u32 v6, v4, 23, 1
; %bb.7156:                             ;   in Loop: Header=BB6_5167 Depth=3
	s_or_b32 exec_lo, exec_lo, s13
	s_delay_alu instid0(VALU_DEP_2) | instskip(NEXT) | instid1(VALU_DEP_2)
	v_lshrrev_b64 v[4:5], 21, v[4:5]
	v_cmp_gt_i32_e32 vcc_lo, 32, v6
	v_min_i32_e32 v7, 31, v6
	v_cmp_eq_u32_e64 s13, 0, v6
	s_delay_alu instid0(VALU_DEP_2) | instskip(SKIP_1) | instid1(VALU_DEP_2)
	v_dual_cndmask_b32 v5, 0, v5, vcc_lo :: v_dual_lshlrev_b32 v7, 2, v7
	v_cndmask_b32_e32 v4, 3, v4, vcc_lo
	v_and_b32_e32 v7, 0xfc, v7
	s_delay_alu instid0(VALU_DEP_2) | instskip(NEXT) | instid1(VALU_DEP_2)
	v_cmp_eq_u64_e32 vcc_lo, 0, v[4:5]
	v_and_or_b32 v4, v4, 3, v7
	s_and_b32 s13, s13, vcc_lo
	s_delay_alu instid0(VALU_DEP_1) | instid1(SALU_CYCLE_1)
	v_cndmask_b32_e64 v4, v4, 0, s13
	s_delay_alu instid0(VALU_DEP_1)
	v_or_b32_e32 v98, v4, v12
.LBB6_7157:                             ;   in Loop: Header=BB6_5167 Depth=3
	s_or_b32 exec_lo, exec_lo, s72
                                        ; implicit-def: $vgpr12
.LBB6_7158:                             ;   in Loop: Header=BB6_5167 Depth=3
	s_and_not1_saveexec_b32 s13, s43
; %bb.7159:                             ;   in Loop: Header=BB6_5167 Depth=3
	v_or_b32_e32 v98, 0x7b, v12
; %bb.7160:                             ;   in Loop: Header=BB6_5167 Depth=3
	s_or_b32 exec_lo, exec_lo, s13
                                        ; implicit-def: $vgpr6
                                        ; implicit-def: $vgpr4_vgpr5
                                        ; implicit-def: $vgpr7
.LBB6_7161:                             ;   in Loop: Header=BB6_5167 Depth=3
	s_and_not1_saveexec_b32 s13, s42
	s_cbranch_execz .LBB6_7167
; %bb.7162:                             ;   in Loop: Header=BB6_5167 Depth=3
	s_mov_b32 s42, exec_lo
                                        ; implicit-def: $vgpr98
	v_cmpx_ne_u64_e32 0, v[4:5]
	s_xor_b32 s42, exec_lo, s42
; %bb.7163:                             ;   in Loop: Header=BB6_5167 Depth=3
	v_or_b32_e32 v98, 0x7f, v7
                                        ; implicit-def: $vgpr6
; %bb.7164:                             ;   in Loop: Header=BB6_5167 Depth=3
	s_and_not1_saveexec_b32 s42, s42
; %bb.7165:                             ;   in Loop: Header=BB6_5167 Depth=3
	v_cmp_lt_i32_e32 vcc_lo, -1, v6
	v_mov_b32_e32 v4, 0x7c
	s_delay_alu instid0(VALU_DEP_1)
	v_cndmask_b32_e32 v98, 0xfc, v4, vcc_lo
; %bb.7166:                             ;   in Loop: Header=BB6_5167 Depth=3
	s_or_b32 exec_lo, exec_lo, s42
.LBB6_7167:                             ;   in Loop: Header=BB6_5167 Depth=3
	s_delay_alu instid0(SALU_CYCLE_1) | instskip(SKIP_3) | instid1(VALU_DEP_2)
	s_or_b32 exec_lo, exec_lo, s13
	v_dual_mov_b32 v5, 0 :: v_dual_lshrrev_b32 v4, 16, v0
	v_mov_b32_e32 v6, 0
	s_mov_b32 s42, exec_lo
	v_and_b32_e32 v7, 0xff, v4
	s_delay_alu instid0(VALU_DEP_1)
	v_cmpx_ne_u16_e32 0, v7
	s_cbranch_execz .LBB6_7177
; %bb.7168:                             ;   in Loop: Header=BB6_5167 Depth=3
	v_bfrev_b32_e32 v6, 1
	s_mov_b32 s43, exec_lo
	v_cmpx_ne_u16_e32 0x80, v7
	s_cbranch_execz .LBB6_7176
; %bb.7169:                             ;   in Loop: Header=BB6_5167 Depth=3
	v_and_b32_e32 v6, 0x7c0000, v0
	v_bfe_u32 v7, v0, 16, 2
	s_delay_alu instid0(VALU_DEP_2) | instskip(SKIP_1) | instid1(SALU_CYCLE_1)
	v_cmp_ne_u32_e32 vcc_lo, 0x7c0000, v6
                                        ; implicit-def: $vgpr6
	s_and_saveexec_b32 s13, vcc_lo
	s_xor_b32 s13, exec_lo, s13
	s_cbranch_execz .LBB6_7173
; %bb.7170:                             ;   in Loop: Header=BB6_5167 Depth=3
	v_bfe_u32 v6, v0, 18, 5
	s_mov_b32 s72, exec_lo
	s_delay_alu instid0(VALU_DEP_1)
	v_cmpx_eq_u32_e32 0, v6
; %bb.7171:                             ;   in Loop: Header=BB6_5167 Depth=3
	v_clz_i32_u32_e32 v6, v7
	s_delay_alu instid0(VALU_DEP_1) | instskip(NEXT) | instid1(VALU_DEP_1)
	v_min_u32_e32 v6, 32, v6
	v_subrev_nc_u32_e32 v7, 29, v6
	s_delay_alu instid0(VALU_DEP_1) | instskip(NEXT) | instid1(VALU_DEP_1)
	v_lshlrev_b64_e32 v[12:13], v7, v[4:5]
	v_dual_sub_nc_u32 v6, 30, v6 :: v_dual_bitop2_b32 v7, 3, v12 bitop3:0x40
; %bb.7172:                             ;   in Loop: Header=BB6_5167 Depth=3
	s_or_b32 exec_lo, exec_lo, s72
	v_lshlrev_b32_e32 v4, 24, v4
	s_delay_alu instid0(VALU_DEP_1) | instskip(NEXT) | instid1(VALU_DEP_1)
	v_and_b32_e32 v4, 0x80000000, v4
	v_lshl_add_u32 v4, v6, 23, v4
	s_delay_alu instid0(VALU_DEP_1) | instskip(NEXT) | instid1(VALU_DEP_1)
	v_lshl_or_b32 v4, v7, 21, v4
                                        ; implicit-def: $vgpr7
	v_add_nc_u32_e32 v6, 0x38000000, v4
                                        ; implicit-def: $vgpr4
.LBB6_7173:                             ;   in Loop: Header=BB6_5167 Depth=3
	s_and_not1_saveexec_b32 s72, s13
; %bb.7174:                             ;   in Loop: Header=BB6_5167 Depth=3
	v_bfe_i32 v4, v4, 0, 8
	v_cmp_eq_u32_e32 vcc_lo, 0, v7
	s_delay_alu instid0(VALU_DEP_2) | instskip(SKIP_1) | instid1(VALU_DEP_1)
	v_cmp_lt_i16_e64 s13, -1, v4
	v_mov_b32_e32 v4, 0x7f800000
	v_cndmask_b32_e64 v4, 0xff800000, v4, s13
	s_delay_alu instid0(VALU_DEP_1)
	v_cndmask_b32_e32 v6, 0x7f800001, v4, vcc_lo
; %bb.7175:                             ;   in Loop: Header=BB6_5167 Depth=3
	s_or_b32 exec_lo, exec_lo, s72
.LBB6_7176:                             ;   in Loop: Header=BB6_5167 Depth=3
	s_delay_alu instid0(SALU_CYCLE_1)
	s_or_b32 exec_lo, exec_lo, s43
.LBB6_7177:                             ;   in Loop: Header=BB6_5167 Depth=3
	s_delay_alu instid0(SALU_CYCLE_1) | instskip(SKIP_2) | instid1(VALU_DEP_1)
	s_or_b32 exec_lo, exec_lo, s42
	v_lshrrev_b32_e32 v4, 16, v8
	s_mov_b32 s42, exec_lo
	v_and_b32_e32 v7, 0xff, v4
	s_delay_alu instid0(VALU_DEP_1)
	v_cmpx_ne_u16_e32 0, v7
	s_cbranch_execz .LBB6_7187
; %bb.7178:                             ;   in Loop: Header=BB6_5167 Depth=3
	v_bfrev_b32_e32 v5, 1
	s_mov_b32 s43, exec_lo
	v_cmpx_ne_u16_e32 0x80, v7
	s_cbranch_execz .LBB6_7186
; %bb.7179:                             ;   in Loop: Header=BB6_5167 Depth=3
	v_and_b32_e32 v5, 0x7c0000, v8
	v_bfe_u32 v7, v8, 16, 2
	s_delay_alu instid0(VALU_DEP_2) | instskip(SKIP_1) | instid1(SALU_CYCLE_1)
	v_cmp_ne_u32_e32 vcc_lo, 0x7c0000, v5
                                        ; implicit-def: $vgpr5
	s_and_saveexec_b32 s13, vcc_lo
	s_xor_b32 s13, exec_lo, s13
	s_cbranch_execz .LBB6_7183
; %bb.7180:                             ;   in Loop: Header=BB6_5167 Depth=3
	v_bfe_u32 v5, v8, 18, 5
	s_mov_b32 s72, exec_lo
	s_delay_alu instid0(VALU_DEP_1)
	v_cmpx_eq_u32_e32 0, v5
; %bb.7181:                             ;   in Loop: Header=BB6_5167 Depth=3
	v_clz_i32_u32_e32 v5, v7
	s_delay_alu instid0(VALU_DEP_1) | instskip(NEXT) | instid1(VALU_DEP_1)
	v_min_u32_e32 v5, 32, v5
	v_subrev_nc_u32_e32 v7, 29, v5
	s_delay_alu instid0(VALU_DEP_1) | instskip(NEXT) | instid1(VALU_DEP_1)
	v_lshlrev_b64_e32 v[12:13], v7, v[4:5]
	v_dual_sub_nc_u32 v5, 30, v5 :: v_dual_bitop2_b32 v7, 3, v12 bitop3:0x40
; %bb.7182:                             ;   in Loop: Header=BB6_5167 Depth=3
	s_or_b32 exec_lo, exec_lo, s72
	v_lshlrev_b32_e32 v4, 24, v4
	s_delay_alu instid0(VALU_DEP_1) | instskip(NEXT) | instid1(VALU_DEP_1)
	v_and_b32_e32 v4, 0x80000000, v4
	v_lshl_add_u32 v4, v5, 23, v4
	s_delay_alu instid0(VALU_DEP_1) | instskip(NEXT) | instid1(VALU_DEP_1)
	v_lshl_or_b32 v4, v7, 21, v4
                                        ; implicit-def: $vgpr7
	v_add_nc_u32_e32 v5, 0x38000000, v4
                                        ; implicit-def: $vgpr4
.LBB6_7183:                             ;   in Loop: Header=BB6_5167 Depth=3
	s_and_not1_saveexec_b32 s72, s13
; %bb.7184:                             ;   in Loop: Header=BB6_5167 Depth=3
	v_bfe_i32 v4, v4, 0, 8
	v_cmp_eq_u32_e32 vcc_lo, 0, v7
	s_delay_alu instid0(VALU_DEP_2) | instskip(SKIP_1) | instid1(VALU_DEP_1)
	v_cmp_lt_i16_e64 s13, -1, v4
	v_mov_b32_e32 v4, 0x7f800000
	v_cndmask_b32_e64 v4, 0xff800000, v4, s13
	s_delay_alu instid0(VALU_DEP_1)
	v_cndmask_b32_e32 v5, 0x7f800001, v4, vcc_lo
; %bb.7185:                             ;   in Loop: Header=BB6_5167 Depth=3
	s_or_b32 exec_lo, exec_lo, s72
.LBB6_7186:                             ;   in Loop: Header=BB6_5167 Depth=3
	s_delay_alu instid0(SALU_CYCLE_1)
	s_or_b32 exec_lo, exec_lo, s43
.LBB6_7187:                             ;   in Loop: Header=BB6_5167 Depth=3
	s_delay_alu instid0(SALU_CYCLE_1) | instskip(NEXT) | instid1(VALU_DEP_1)
	s_or_b32 exec_lo, exec_lo, s42
	v_dual_mul_f32 v6, v6, v5 :: v_dual_mov_b32 v13, v21
	v_mov_b32_e32 v5, v21
                                        ; implicit-def: $vgpr99
	s_mov_b32 s13, exec_lo
	s_delay_alu instid0(VALU_DEP_2) | instskip(SKIP_2) | instid1(VALU_DEP_3)
	v_and_b32_e32 v12, 0x7f800000, v6
	v_and_b32_e32 v4, 0x7fffff, v6
	v_lshrrev_b32_e32 v7, 24, v6
	v_cmpx_ne_u64_e32 0x7f800000, v[12:13]
	s_xor_b32 s42, exec_lo, s13
	s_cbranch_execz .LBB6_7201
; %bb.7188:                             ;   in Loop: Header=BB6_5167 Depth=3
	v_and_b32_e32 v12, 0x7fffffff, v6
	v_mov_b32_e32 v13, v21
                                        ; implicit-def: $vgpr99
	s_delay_alu instid0(VALU_DEP_1) | instskip(SKIP_2) | instid1(SALU_CYCLE_1)
	v_cmp_gt_u64_e32 vcc_lo, 0x47600001, v[12:13]
	v_and_b32_e32 v12, 0x80, v7
	s_and_saveexec_b32 s13, vcc_lo
	s_xor_b32 s43, exec_lo, s13
	s_cbranch_execz .LBB6_7198
; %bb.7189:                             ;   in Loop: Header=BB6_5167 Depth=3
	v_mov_b32_e32 v99, 0
	s_mov_b32 s72, exec_lo
	v_cmpx_ne_u32_e32 0, v6
	s_cbranch_execz .LBB6_7197
; %bb.7190:                             ;   in Loop: Header=BB6_5167 Depth=3
	v_bfe_u32 v13, v6, 23, 8
	v_or_b32_e32 v7, 0x800000, v4
	s_delay_alu instid0(VALU_DEP_2) | instskip(SKIP_2) | instid1(VALU_DEP_2)
	v_cmp_gt_u32_e64 s13, 0x72, v13
	v_sub_nc_u32_e32 v6, 0x71, v13
	v_cmp_eq_u32_e32 vcc_lo, 0, v13
	v_dual_cndmask_b32 v6, 0, v6, s13 :: v_dual_cndmask_b32 v4, v7, v4, vcc_lo
	s_delay_alu instid0(VALU_DEP_1) | instskip(NEXT) | instid1(VALU_DEP_1)
	v_cndmask_b32_e64 v99, v6, 0x70, vcc_lo
	v_dual_add_nc_u32 v6, 21, v99 :: v_dual_add_nc_u32 v100, 20, v99
	s_delay_alu instid0(VALU_DEP_1) | instskip(NEXT) | instid1(VALU_DEP_2)
	v_lshlrev_b64_e64 v[6:7], v6, -1
	v_lshlrev_b64_e64 v[100:101], v100, 1
	s_delay_alu instid0(VALU_DEP_2) | instskip(SKIP_1) | instid1(VALU_DEP_4)
	v_bfi_b32 v6, v6, 0, v4
	v_lshrrev_b64 v[4:5], v99, v[4:5]
	v_bfi_b32 v7, v7, 0, 0
	s_delay_alu instid0(VALU_DEP_1) | instskip(NEXT) | instid1(VALU_DEP_3)
	v_cmp_eq_u64_e64 s13, v[6:7], v[100:101]
	v_mov_b64_e32 v[6:7], v[4:5]
	s_and_saveexec_b32 s73, s13
; %bb.7191:                             ;   in Loop: Header=BB6_5167 Depth=3
	v_bfe_u32 v6, v4, 21, 1
	v_mov_b32_e32 v7, v21
	s_delay_alu instid0(VALU_DEP_1) | instskip(NEXT) | instid1(VALU_DEP_1)
	v_add_nc_u64_e32 v[6:7], v[4:5], v[6:7]
	v_add_nc_u64_e32 v[6:7], -1, v[6:7]
; %bb.7192:                             ;   in Loop: Header=BB6_5167 Depth=3
	s_or_b32 exec_lo, exec_lo, s73
	v_add_nc_u32_e32 v5, 0xffffff81, v13
	v_lshrrev_b32_e32 v7, 23, v4
	s_mov_b32 s13, exec_lo
	s_delay_alu instid0(VALU_DEP_2) | instskip(NEXT) | instid1(VALU_DEP_1)
	v_cndmask_b32_e64 v5, v5, 0xffffff82, vcc_lo
	v_add3_u32 v13, v99, v5, v7
	v_and_b32_e32 v5, 0x1fffff, v6
                                        ; implicit-def: $vgpr6
	s_delay_alu instid0(VALU_DEP_1) | instskip(SKIP_1) | instid1(VALU_DEP_2)
	v_dual_add_nc_u32 v7, 14, v13 :: v_dual_add_nc_u32 v4, v5, v4
	v_mov_b32_e32 v5, v21
	v_cmpx_ne_u32_e32 0, v7
	s_xor_b32 s13, exec_lo, s13
; %bb.7193:                             ;   in Loop: Header=BB6_5167 Depth=3
	s_delay_alu instid0(VALU_DEP_2) | instskip(SKIP_1) | instid1(VALU_DEP_1)
	v_cmp_lt_u64_e32 vcc_lo, 0xffffff, v[4:5]
	v_add_nc_u32_e32 v6, 15, v13
	v_cndmask_b32_e32 v6, v7, v6, vcc_lo
	v_cndmask_b32_e64 v7, 0, 1, vcc_lo
	s_delay_alu instid0(VALU_DEP_1)
	v_lshrrev_b64 v[4:5], v7, v[4:5]
; %bb.7194:                             ;   in Loop: Header=BB6_5167 Depth=3
	s_and_not1_saveexec_b32 s13, s13
; %bb.7195:                             ;   in Loop: Header=BB6_5167 Depth=3
	s_delay_alu instid0(VALU_DEP_1)
	v_bfe_u32 v6, v4, 23, 1
; %bb.7196:                             ;   in Loop: Header=BB6_5167 Depth=3
	s_or_b32 exec_lo, exec_lo, s13
	s_delay_alu instid0(VALU_DEP_2) | instskip(NEXT) | instid1(VALU_DEP_2)
	v_lshrrev_b64 v[4:5], 21, v[4:5]
	v_cmp_gt_i32_e32 vcc_lo, 32, v6
	v_min_i32_e32 v7, 31, v6
	v_cmp_eq_u32_e64 s13, 0, v6
	s_delay_alu instid0(VALU_DEP_2) | instskip(SKIP_1) | instid1(VALU_DEP_2)
	v_dual_cndmask_b32 v5, 0, v5, vcc_lo :: v_dual_lshlrev_b32 v7, 2, v7
	v_cndmask_b32_e32 v4, 3, v4, vcc_lo
	v_and_b32_e32 v7, 0xfc, v7
	s_delay_alu instid0(VALU_DEP_2) | instskip(NEXT) | instid1(VALU_DEP_2)
	v_cmp_eq_u64_e32 vcc_lo, 0, v[4:5]
	v_and_or_b32 v4, v4, 3, v7
	s_and_b32 s13, s13, vcc_lo
	s_delay_alu instid0(VALU_DEP_1) | instid1(SALU_CYCLE_1)
	v_cndmask_b32_e64 v4, v4, 0, s13
	s_delay_alu instid0(VALU_DEP_1)
	v_or_b32_e32 v99, v4, v12
.LBB6_7197:                             ;   in Loop: Header=BB6_5167 Depth=3
	s_or_b32 exec_lo, exec_lo, s72
                                        ; implicit-def: $vgpr12
.LBB6_7198:                             ;   in Loop: Header=BB6_5167 Depth=3
	s_and_not1_saveexec_b32 s13, s43
; %bb.7199:                             ;   in Loop: Header=BB6_5167 Depth=3
	v_or_b32_e32 v99, 0x7b, v12
; %bb.7200:                             ;   in Loop: Header=BB6_5167 Depth=3
	s_or_b32 exec_lo, exec_lo, s13
                                        ; implicit-def: $vgpr6
                                        ; implicit-def: $vgpr4_vgpr5
                                        ; implicit-def: $vgpr7
.LBB6_7201:                             ;   in Loop: Header=BB6_5167 Depth=3
	s_and_not1_saveexec_b32 s13, s42
	s_cbranch_execz .LBB6_7207
; %bb.7202:                             ;   in Loop: Header=BB6_5167 Depth=3
	s_mov_b32 s42, exec_lo
                                        ; implicit-def: $vgpr99
	v_cmpx_ne_u64_e32 0, v[4:5]
	s_xor_b32 s42, exec_lo, s42
; %bb.7203:                             ;   in Loop: Header=BB6_5167 Depth=3
	v_or_b32_e32 v99, 0x7f, v7
                                        ; implicit-def: $vgpr6
; %bb.7204:                             ;   in Loop: Header=BB6_5167 Depth=3
	s_and_not1_saveexec_b32 s42, s42
; %bb.7205:                             ;   in Loop: Header=BB6_5167 Depth=3
	v_cmp_lt_i32_e32 vcc_lo, -1, v6
	v_mov_b32_e32 v4, 0x7c
	s_delay_alu instid0(VALU_DEP_1)
	v_cndmask_b32_e32 v99, 0xfc, v4, vcc_lo
; %bb.7206:                             ;   in Loop: Header=BB6_5167 Depth=3
	s_or_b32 exec_lo, exec_lo, s42
.LBB6_7207:                             ;   in Loop: Header=BB6_5167 Depth=3
	s_delay_alu instid0(SALU_CYCLE_1)
	s_or_b32 exec_lo, exec_lo, s13
	v_dual_mov_b32 v5, 0 :: v_dual_mov_b32 v6, 0
	s_mov_b32 s42, exec_lo
	v_cmpx_lt_u32_e32 0xffffff, v0
	s_cbranch_execz .LBB6_7217
; %bb.7208:                             ;   in Loop: Header=BB6_5167 Depth=3
	v_lshrrev_b32_e32 v4, 24, v0
	v_bfrev_b32_e32 v6, 1
	s_mov_b32 s43, exec_lo
	s_delay_alu instid0(VALU_DEP_2)
	v_cmpx_ne_u32_e32 0x80, v4
	s_cbranch_execz .LBB6_7216
; %bb.7209:                             ;   in Loop: Header=BB6_5167 Depth=3
	v_and_b32_e32 v6, 0x7c000000, v0
	v_bfe_u32 v7, v0, 24, 2
	s_delay_alu instid0(VALU_DEP_2) | instskip(SKIP_1) | instid1(SALU_CYCLE_1)
	v_cmp_ne_u32_e32 vcc_lo, 0x7c000000, v6
                                        ; implicit-def: $vgpr6
	s_and_saveexec_b32 s13, vcc_lo
	s_xor_b32 s13, exec_lo, s13
	s_cbranch_execz .LBB6_7213
; %bb.7210:                             ;   in Loop: Header=BB6_5167 Depth=3
	v_bfe_u32 v6, v0, 26, 5
	s_mov_b32 s72, exec_lo
	s_delay_alu instid0(VALU_DEP_1)
	v_cmpx_eq_u32_e32 0, v6
; %bb.7211:                             ;   in Loop: Header=BB6_5167 Depth=3
	v_clz_i32_u32_e32 v6, v7
	s_delay_alu instid0(VALU_DEP_1) | instskip(NEXT) | instid1(VALU_DEP_1)
	v_min_u32_e32 v6, 32, v6
	v_subrev_nc_u32_e32 v7, 29, v6
	s_delay_alu instid0(VALU_DEP_1) | instskip(NEXT) | instid1(VALU_DEP_1)
	v_lshlrev_b64_e32 v[12:13], v7, v[4:5]
	v_dual_sub_nc_u32 v6, 30, v6 :: v_dual_bitop2_b32 v7, 3, v12 bitop3:0x40
; %bb.7212:                             ;   in Loop: Header=BB6_5167 Depth=3
	s_or_b32 exec_lo, exec_lo, s72
	v_and_b32_e32 v4, 0x80000000, v0
	s_delay_alu instid0(VALU_DEP_1) | instskip(NEXT) | instid1(VALU_DEP_1)
	v_lshl_add_u32 v4, v6, 23, v4
	v_lshl_or_b32 v4, v7, 21, v4
                                        ; implicit-def: $vgpr7
	s_delay_alu instid0(VALU_DEP_1)
	v_add_nc_u32_e32 v6, 0x38000000, v4
.LBB6_7213:                             ;   in Loop: Header=BB6_5167 Depth=3
	s_and_not1_saveexec_b32 s72, s13
; %bb.7214:                             ;   in Loop: Header=BB6_5167 Depth=3
	v_cmp_lt_i32_e64 s13, -1, v0
	v_mov_b32_e32 v4, 0x7f800000
	v_cmp_eq_u32_e32 vcc_lo, 0, v7
	s_delay_alu instid0(VALU_DEP_2) | instskip(NEXT) | instid1(VALU_DEP_1)
	v_cndmask_b32_e64 v4, 0xff800000, v4, s13
	v_cndmask_b32_e32 v6, 0x7f800001, v4, vcc_lo
; %bb.7215:                             ;   in Loop: Header=BB6_5167 Depth=3
	s_or_b32 exec_lo, exec_lo, s72
.LBB6_7216:                             ;   in Loop: Header=BB6_5167 Depth=3
	s_delay_alu instid0(SALU_CYCLE_1)
	s_or_b32 exec_lo, exec_lo, s43
.LBB6_7217:                             ;   in Loop: Header=BB6_5167 Depth=3
	s_delay_alu instid0(SALU_CYCLE_1) | instskip(NEXT) | instid1(SALU_CYCLE_1)
	s_or_b32 exec_lo, exec_lo, s42
	s_mov_b32 s42, exec_lo
	v_cmpx_lt_u32_e32 0xffffff, v8
	s_cbranch_execz .LBB6_7227
; %bb.7218:                             ;   in Loop: Header=BB6_5167 Depth=3
	v_lshrrev_b32_e32 v4, 24, v8
	v_bfrev_b32_e32 v5, 1
	s_mov_b32 s43, exec_lo
	s_delay_alu instid0(VALU_DEP_2)
	v_cmpx_ne_u32_e32 0x80, v4
	s_cbranch_execz .LBB6_7226
; %bb.7219:                             ;   in Loop: Header=BB6_5167 Depth=3
	v_and_b32_e32 v5, 0x7c000000, v8
	v_bfe_u32 v7, v8, 24, 2
	s_delay_alu instid0(VALU_DEP_2) | instskip(SKIP_1) | instid1(SALU_CYCLE_1)
	v_cmp_ne_u32_e32 vcc_lo, 0x7c000000, v5
                                        ; implicit-def: $vgpr5
	s_and_saveexec_b32 s13, vcc_lo
	s_xor_b32 s13, exec_lo, s13
	s_cbranch_execz .LBB6_7223
; %bb.7220:                             ;   in Loop: Header=BB6_5167 Depth=3
	v_bfe_u32 v5, v8, 26, 5
	s_mov_b32 s72, exec_lo
	s_delay_alu instid0(VALU_DEP_1)
	v_cmpx_eq_u32_e32 0, v5
; %bb.7221:                             ;   in Loop: Header=BB6_5167 Depth=3
	v_clz_i32_u32_e32 v5, v7
	s_delay_alu instid0(VALU_DEP_1) | instskip(NEXT) | instid1(VALU_DEP_1)
	v_min_u32_e32 v7, 32, v5
	v_subrev_nc_u32_e32 v5, 29, v7
	s_delay_alu instid0(VALU_DEP_1) | instskip(NEXT) | instid1(VALU_DEP_1)
	v_lshlrev_b64_e32 v[4:5], v5, v[4:5]
	v_dual_sub_nc_u32 v5, 30, v7 :: v_dual_bitop2_b32 v7, 3, v4 bitop3:0x40
; %bb.7222:                             ;   in Loop: Header=BB6_5167 Depth=3
	s_or_b32 exec_lo, exec_lo, s72
	v_and_b32_e32 v4, 0x80000000, v8
	s_delay_alu instid0(VALU_DEP_1) | instskip(NEXT) | instid1(VALU_DEP_1)
	v_lshl_add_u32 v4, v5, 23, v4
	v_lshl_or_b32 v4, v7, 21, v4
                                        ; implicit-def: $vgpr7
	s_delay_alu instid0(VALU_DEP_1)
	v_add_nc_u32_e32 v5, 0x38000000, v4
.LBB6_7223:                             ;   in Loop: Header=BB6_5167 Depth=3
	s_and_not1_saveexec_b32 s72, s13
; %bb.7224:                             ;   in Loop: Header=BB6_5167 Depth=3
	v_cmp_lt_i32_e64 s13, -1, v8
	v_mov_b32_e32 v4, 0x7f800000
	v_cmp_eq_u32_e32 vcc_lo, 0, v7
	s_delay_alu instid0(VALU_DEP_2) | instskip(NEXT) | instid1(VALU_DEP_1)
	v_cndmask_b32_e64 v4, 0xff800000, v4, s13
	v_cndmask_b32_e32 v5, 0x7f800001, v4, vcc_lo
; %bb.7225:                             ;   in Loop: Header=BB6_5167 Depth=3
	s_or_b32 exec_lo, exec_lo, s72
.LBB6_7226:                             ;   in Loop: Header=BB6_5167 Depth=3
	s_delay_alu instid0(SALU_CYCLE_1)
	s_or_b32 exec_lo, exec_lo, s43
.LBB6_7227:                             ;   in Loop: Header=BB6_5167 Depth=3
	s_delay_alu instid0(SALU_CYCLE_1) | instskip(NEXT) | instid1(VALU_DEP_1)
	s_or_b32 exec_lo, exec_lo, s42
	v_dual_mul_f32 v6, v6, v5 :: v_dual_mov_b32 v13, v21
	v_mov_b32_e32 v5, v21
                                        ; implicit-def: $vgpr100
	s_mov_b32 s13, exec_lo
	s_delay_alu instid0(VALU_DEP_2) | instskip(SKIP_2) | instid1(VALU_DEP_3)
	v_and_b32_e32 v12, 0x7f800000, v6
	v_and_b32_e32 v4, 0x7fffff, v6
	v_lshrrev_b32_e32 v7, 24, v6
	v_cmpx_ne_u64_e32 0x7f800000, v[12:13]
	s_xor_b32 s42, exec_lo, s13
	s_cbranch_execz .LBB6_7241
; %bb.7228:                             ;   in Loop: Header=BB6_5167 Depth=3
	v_and_b32_e32 v12, 0x7fffffff, v6
	v_mov_b32_e32 v13, v21
                                        ; implicit-def: $vgpr100
	s_delay_alu instid0(VALU_DEP_1) | instskip(SKIP_2) | instid1(SALU_CYCLE_1)
	v_cmp_gt_u64_e32 vcc_lo, 0x47600001, v[12:13]
	v_and_b32_e32 v12, 0x80, v7
	s_and_saveexec_b32 s13, vcc_lo
	s_xor_b32 s43, exec_lo, s13
	s_cbranch_execz .LBB6_7238
; %bb.7229:                             ;   in Loop: Header=BB6_5167 Depth=3
	v_mov_b32_e32 v100, 0
	s_mov_b32 s72, exec_lo
	v_cmpx_ne_u32_e32 0, v6
	s_cbranch_execz .LBB6_7237
; %bb.7230:                             ;   in Loop: Header=BB6_5167 Depth=3
	v_bfe_u32 v13, v6, 23, 8
	v_or_b32_e32 v7, 0x800000, v4
	s_delay_alu instid0(VALU_DEP_2) | instskip(SKIP_2) | instid1(VALU_DEP_2)
	v_cmp_gt_u32_e64 s13, 0x72, v13
	v_sub_nc_u32_e32 v6, 0x71, v13
	v_cmp_eq_u32_e32 vcc_lo, 0, v13
	v_dual_cndmask_b32 v6, 0, v6, s13 :: v_dual_cndmask_b32 v4, v7, v4, vcc_lo
	s_delay_alu instid0(VALU_DEP_1) | instskip(NEXT) | instid1(VALU_DEP_1)
	v_cndmask_b32_e64 v100, v6, 0x70, vcc_lo
	v_dual_add_nc_u32 v6, 21, v100 :: v_dual_add_nc_u32 v101, 20, v100
	s_delay_alu instid0(VALU_DEP_1) | instskip(NEXT) | instid1(VALU_DEP_2)
	v_lshlrev_b64_e64 v[6:7], v6, -1
	v_lshlrev_b64_e64 v[102:103], v101, 1
	s_delay_alu instid0(VALU_DEP_2) | instskip(SKIP_1) | instid1(VALU_DEP_4)
	v_bfi_b32 v6, v6, 0, v4
	v_lshrrev_b64 v[4:5], v100, v[4:5]
	v_bfi_b32 v7, v7, 0, 0
	s_delay_alu instid0(VALU_DEP_1) | instskip(NEXT) | instid1(VALU_DEP_3)
	v_cmp_eq_u64_e64 s13, v[6:7], v[102:103]
	v_mov_b64_e32 v[6:7], v[4:5]
	s_and_saveexec_b32 s73, s13
; %bb.7231:                             ;   in Loop: Header=BB6_5167 Depth=3
	v_bfe_u32 v6, v4, 21, 1
	v_mov_b32_e32 v7, v21
	s_delay_alu instid0(VALU_DEP_1) | instskip(NEXT) | instid1(VALU_DEP_1)
	v_add_nc_u64_e32 v[6:7], v[4:5], v[6:7]
	v_add_nc_u64_e32 v[6:7], -1, v[6:7]
; %bb.7232:                             ;   in Loop: Header=BB6_5167 Depth=3
	s_or_b32 exec_lo, exec_lo, s73
	v_add_nc_u32_e32 v5, 0xffffff81, v13
	v_lshrrev_b32_e32 v7, 23, v4
	s_mov_b32 s13, exec_lo
	s_delay_alu instid0(VALU_DEP_2) | instskip(NEXT) | instid1(VALU_DEP_1)
	v_cndmask_b32_e64 v5, v5, 0xffffff82, vcc_lo
	v_add3_u32 v13, v100, v5, v7
	v_and_b32_e32 v5, 0x1fffff, v6
                                        ; implicit-def: $vgpr6
	s_delay_alu instid0(VALU_DEP_1) | instskip(SKIP_1) | instid1(VALU_DEP_2)
	v_dual_add_nc_u32 v7, 14, v13 :: v_dual_add_nc_u32 v4, v5, v4
	v_mov_b32_e32 v5, v21
	v_cmpx_ne_u32_e32 0, v7
	s_xor_b32 s13, exec_lo, s13
; %bb.7233:                             ;   in Loop: Header=BB6_5167 Depth=3
	s_delay_alu instid0(VALU_DEP_2) | instskip(SKIP_1) | instid1(VALU_DEP_1)
	v_cmp_lt_u64_e32 vcc_lo, 0xffffff, v[4:5]
	v_add_nc_u32_e32 v6, 15, v13
	v_cndmask_b32_e32 v6, v7, v6, vcc_lo
	v_cndmask_b32_e64 v7, 0, 1, vcc_lo
	s_delay_alu instid0(VALU_DEP_1)
	v_lshrrev_b64 v[4:5], v7, v[4:5]
; %bb.7234:                             ;   in Loop: Header=BB6_5167 Depth=3
	s_and_not1_saveexec_b32 s13, s13
; %bb.7235:                             ;   in Loop: Header=BB6_5167 Depth=3
	s_delay_alu instid0(VALU_DEP_1)
	v_bfe_u32 v6, v4, 23, 1
; %bb.7236:                             ;   in Loop: Header=BB6_5167 Depth=3
	s_or_b32 exec_lo, exec_lo, s13
	s_delay_alu instid0(VALU_DEP_2) | instskip(NEXT) | instid1(VALU_DEP_2)
	v_lshrrev_b64 v[4:5], 21, v[4:5]
	v_cmp_gt_i32_e32 vcc_lo, 32, v6
	v_min_i32_e32 v7, 31, v6
	v_cmp_eq_u32_e64 s13, 0, v6
	s_delay_alu instid0(VALU_DEP_2) | instskip(SKIP_1) | instid1(VALU_DEP_2)
	v_dual_cndmask_b32 v5, 0, v5, vcc_lo :: v_dual_lshlrev_b32 v7, 2, v7
	v_cndmask_b32_e32 v4, 3, v4, vcc_lo
	v_and_b32_e32 v7, 0xfc, v7
	s_delay_alu instid0(VALU_DEP_2) | instskip(NEXT) | instid1(VALU_DEP_2)
	v_cmp_eq_u64_e32 vcc_lo, 0, v[4:5]
	v_and_or_b32 v4, v4, 3, v7
	s_and_b32 s13, s13, vcc_lo
	s_delay_alu instid0(VALU_DEP_1) | instid1(SALU_CYCLE_1)
	v_cndmask_b32_e64 v4, v4, 0, s13
	s_delay_alu instid0(VALU_DEP_1)
	v_or_b32_e32 v100, v4, v12
.LBB6_7237:                             ;   in Loop: Header=BB6_5167 Depth=3
	s_or_b32 exec_lo, exec_lo, s72
                                        ; implicit-def: $vgpr12
.LBB6_7238:                             ;   in Loop: Header=BB6_5167 Depth=3
	s_and_not1_saveexec_b32 s13, s43
; %bb.7239:                             ;   in Loop: Header=BB6_5167 Depth=3
	v_or_b32_e32 v100, 0x7b, v12
; %bb.7240:                             ;   in Loop: Header=BB6_5167 Depth=3
	s_or_b32 exec_lo, exec_lo, s13
                                        ; implicit-def: $vgpr6
                                        ; implicit-def: $vgpr4_vgpr5
                                        ; implicit-def: $vgpr7
.LBB6_7241:                             ;   in Loop: Header=BB6_5167 Depth=3
	s_and_not1_saveexec_b32 s13, s42
	s_cbranch_execz .LBB6_7247
; %bb.7242:                             ;   in Loop: Header=BB6_5167 Depth=3
	s_mov_b32 s42, exec_lo
                                        ; implicit-def: $vgpr100
	v_cmpx_ne_u64_e32 0, v[4:5]
	s_xor_b32 s42, exec_lo, s42
; %bb.7243:                             ;   in Loop: Header=BB6_5167 Depth=3
	v_or_b32_e32 v100, 0x7f, v7
                                        ; implicit-def: $vgpr6
; %bb.7244:                             ;   in Loop: Header=BB6_5167 Depth=3
	s_and_not1_saveexec_b32 s42, s42
; %bb.7245:                             ;   in Loop: Header=BB6_5167 Depth=3
	v_cmp_lt_i32_e32 vcc_lo, -1, v6
	v_mov_b32_e32 v4, 0x7c
	s_delay_alu instid0(VALU_DEP_1)
	v_cndmask_b32_e32 v100, 0xfc, v4, vcc_lo
; %bb.7246:                             ;   in Loop: Header=BB6_5167 Depth=3
	s_or_b32 exec_lo, exec_lo, s42
.LBB6_7247:                             ;   in Loop: Header=BB6_5167 Depth=3
	s_delay_alu instid0(SALU_CYCLE_1) | instskip(SKIP_4) | instid1(VALU_DEP_3)
	s_or_b32 exec_lo, exec_lo, s13
	v_and_b32_e32 v12, 0xff, v1
	v_dual_mov_b32 v4, v1 :: v_dual_mov_b32 v5, v21
	v_dual_mov_b32 v7, 0 :: v_dual_mov_b32 v6, 0
	s_mov_b32 s42, exec_lo
	v_cmpx_ne_u16_e32 0, v12
	s_cbranch_execz .LBB6_7257
; %bb.7248:                             ;   in Loop: Header=BB6_5167 Depth=3
	v_bfrev_b32_e32 v6, 1
	s_mov_b32 s43, exec_lo
	v_cmpx_ne_u16_e32 0x80, v12
	s_cbranch_execz .LBB6_7256
; %bb.7249:                             ;   in Loop: Header=BB6_5167 Depth=3
	v_and_b32_e32 v6, 0x7c, v1
	v_and_b32_e32 v12, 3, v1
	s_delay_alu instid0(VALU_DEP_2) | instskip(SKIP_1) | instid1(SALU_CYCLE_1)
	v_cmp_ne_u32_e32 vcc_lo, 0x7c, v6
                                        ; implicit-def: $vgpr6
	s_and_saveexec_b32 s13, vcc_lo
	s_xor_b32 s13, exec_lo, s13
	s_cbranch_execz .LBB6_7253
; %bb.7250:                             ;   in Loop: Header=BB6_5167 Depth=3
	v_bfe_u32 v6, v1, 2, 5
	s_mov_b32 s72, exec_lo
	s_delay_alu instid0(VALU_DEP_1)
	v_cmpx_eq_u32_e32 0, v6
; %bb.7251:                             ;   in Loop: Header=BB6_5167 Depth=3
	v_clz_i32_u32_e32 v6, v12
	s_delay_alu instid0(VALU_DEP_1) | instskip(NEXT) | instid1(VALU_DEP_1)
	v_min_u32_e32 v6, 32, v6
	v_subrev_nc_u32_e32 v12, 29, v6
	s_delay_alu instid0(VALU_DEP_1) | instskip(NEXT) | instid1(VALU_DEP_1)
	v_lshlrev_b64_e32 v[12:13], v12, v[4:5]
	v_dual_sub_nc_u32 v6, 30, v6 :: v_dual_bitop2_b32 v12, 3, v12 bitop3:0x40
; %bb.7252:                             ;   in Loop: Header=BB6_5167 Depth=3
	s_or_b32 exec_lo, exec_lo, s72
	v_lshlrev_b32_e32 v5, 24, v1
	s_delay_alu instid0(VALU_DEP_1) | instskip(NEXT) | instid1(VALU_DEP_1)
	v_and_b32_e32 v5, 0x80000000, v5
	v_lshl_add_u32 v5, v6, 23, v5
	s_delay_alu instid0(VALU_DEP_1) | instskip(NEXT) | instid1(VALU_DEP_1)
	v_lshl_or_b32 v5, v12, 21, v5
                                        ; implicit-def: $vgpr12
	v_add_nc_u32_e32 v6, 0x38000000, v5
.LBB6_7253:                             ;   in Loop: Header=BB6_5167 Depth=3
	s_and_not1_saveexec_b32 s72, s13
; %bb.7254:                             ;   in Loop: Header=BB6_5167 Depth=3
	v_bfe_i32 v5, v1, 0, 8
	v_cmp_eq_u32_e32 vcc_lo, 0, v12
	s_delay_alu instid0(VALU_DEP_2) | instskip(SKIP_1) | instid1(VALU_DEP_1)
	v_cmp_lt_i16_e64 s13, -1, v5
	v_mov_b32_e32 v5, 0x7f800000
	v_cndmask_b32_e64 v5, 0xff800000, v5, s13
	s_delay_alu instid0(VALU_DEP_1)
	v_cndmask_b32_e32 v6, 0x7f800001, v5, vcc_lo
; %bb.7255:                             ;   in Loop: Header=BB6_5167 Depth=3
	s_or_b32 exec_lo, exec_lo, s72
.LBB6_7256:                             ;   in Loop: Header=BB6_5167 Depth=3
	s_delay_alu instid0(SALU_CYCLE_1)
	s_or_b32 exec_lo, exec_lo, s43
.LBB6_7257:                             ;   in Loop: Header=BB6_5167 Depth=3
	s_delay_alu instid0(SALU_CYCLE_1) | instskip(SKIP_2) | instid1(VALU_DEP_1)
	s_or_b32 exec_lo, exec_lo, s42
	v_and_b32_e32 v5, 0xff, v9
	s_mov_b32 s42, exec_lo
	v_cmpx_ne_u16_e32 0, v5
	s_cbranch_execz .LBB6_7267
; %bb.7258:                             ;   in Loop: Header=BB6_5167 Depth=3
	v_bfrev_b32_e32 v7, 1
	s_mov_b32 s43, exec_lo
	v_cmpx_ne_u16_e32 0x80, v5
	s_cbranch_execz .LBB6_7266
; %bb.7259:                             ;   in Loop: Header=BB6_5167 Depth=3
	v_and_b32_e32 v7, 0x7c, v9
	v_and_b32_e32 v5, 3, v9
	s_delay_alu instid0(VALU_DEP_2) | instskip(SKIP_1) | instid1(SALU_CYCLE_1)
	v_cmp_ne_u32_e32 vcc_lo, 0x7c, v7
                                        ; implicit-def: $vgpr7
	s_and_saveexec_b32 s13, vcc_lo
	s_xor_b32 s13, exec_lo, s13
	s_cbranch_execz .LBB6_7263
; %bb.7260:                             ;   in Loop: Header=BB6_5167 Depth=3
	v_bfe_u32 v7, v9, 2, 5
	s_mov_b32 s72, exec_lo
	s_delay_alu instid0(VALU_DEP_1)
	v_cmpx_eq_u32_e32 0, v7
; %bb.7261:                             ;   in Loop: Header=BB6_5167 Depth=3
	v_clz_i32_u32_e32 v5, v5
	v_dual_mov_b32 v12, v9 :: v_dual_mov_b32 v13, v21
	s_delay_alu instid0(VALU_DEP_2) | instskip(NEXT) | instid1(VALU_DEP_1)
	v_min_u32_e32 v5, 32, v5
	v_subrev_nc_u32_e32 v7, 29, v5
	s_delay_alu instid0(VALU_DEP_1) | instskip(NEXT) | instid1(VALU_DEP_1)
	v_lshlrev_b64_e32 v[12:13], v7, v[12:13]
	v_dual_sub_nc_u32 v7, 30, v5 :: v_dual_bitop2_b32 v5, 3, v12 bitop3:0x40
; %bb.7262:                             ;   in Loop: Header=BB6_5167 Depth=3
	s_or_b32 exec_lo, exec_lo, s72
	v_lshlrev_b32_e32 v12, 24, v9
	s_delay_alu instid0(VALU_DEP_1) | instskip(NEXT) | instid1(VALU_DEP_1)
	v_and_b32_e32 v12, 0x80000000, v12
	v_lshl_add_u32 v7, v7, 23, v12
	s_delay_alu instid0(VALU_DEP_1) | instskip(NEXT) | instid1(VALU_DEP_1)
	v_lshl_or_b32 v5, v5, 21, v7
	v_add_nc_u32_e32 v7, 0x38000000, v5
                                        ; implicit-def: $vgpr5
.LBB6_7263:                             ;   in Loop: Header=BB6_5167 Depth=3
	s_and_not1_saveexec_b32 s72, s13
; %bb.7264:                             ;   in Loop: Header=BB6_5167 Depth=3
	v_bfe_i32 v7, v9, 0, 8
	v_cmp_eq_u32_e32 vcc_lo, 0, v5
	v_mov_b32_e32 v5, 0x7f800000
	s_delay_alu instid0(VALU_DEP_3) | instskip(NEXT) | instid1(VALU_DEP_1)
	v_cmp_lt_i16_e64 s13, -1, v7
	v_cndmask_b32_e64 v5, 0xff800000, v5, s13
	s_delay_alu instid0(VALU_DEP_1)
	v_cndmask_b32_e32 v7, 0x7f800001, v5, vcc_lo
; %bb.7265:                             ;   in Loop: Header=BB6_5167 Depth=3
	s_or_b32 exec_lo, exec_lo, s72
.LBB6_7266:                             ;   in Loop: Header=BB6_5167 Depth=3
	s_delay_alu instid0(SALU_CYCLE_1)
	s_or_b32 exec_lo, exec_lo, s43
.LBB6_7267:                             ;   in Loop: Header=BB6_5167 Depth=3
	s_delay_alu instid0(SALU_CYCLE_1) | instskip(NEXT) | instid1(VALU_DEP_1)
	s_or_b32 exec_lo, exec_lo, s42
	v_dual_mul_f32 v13, v6, v7 :: v_dual_mov_b32 v103, v21
	v_mov_b32_e32 v7, v21
                                        ; implicit-def: $vgpr12
	s_mov_b32 s13, exec_lo
	s_delay_alu instid0(VALU_DEP_2) | instskip(SKIP_2) | instid1(VALU_DEP_3)
	v_and_b32_e32 v102, 0x7f800000, v13
	v_and_b32_e32 v6, 0x7fffff, v13
	v_lshrrev_b32_e32 v5, 24, v13
	v_cmpx_ne_u64_e32 0x7f800000, v[102:103]
	s_xor_b32 s42, exec_lo, s13
	s_cbranch_execz .LBB6_7281
; %bb.7268:                             ;   in Loop: Header=BB6_5167 Depth=3
	v_and_b32_e32 v102, 0x7fffffff, v13
	v_mov_b32_e32 v103, v21
	v_and_b32_e32 v5, 0x80, v5
                                        ; implicit-def: $vgpr12
	s_mov_b32 s13, exec_lo
	s_delay_alu instid0(VALU_DEP_2)
	v_cmpx_gt_u64_e32 0x47600001, v[102:103]
	s_xor_b32 s43, exec_lo, s13
	s_cbranch_execz .LBB6_7278
; %bb.7269:                             ;   in Loop: Header=BB6_5167 Depth=3
	v_mov_b32_e32 v12, 0
	s_mov_b32 s72, exec_lo
	v_cmpx_ne_u32_e32 0, v13
	s_cbranch_execz .LBB6_7277
; %bb.7270:                             ;   in Loop: Header=BB6_5167 Depth=3
	v_bfe_u32 v101, v13, 23, 8
	v_or_b32_e32 v13, 0x800000, v6
	s_delay_alu instid0(VALU_DEP_2) | instskip(SKIP_2) | instid1(VALU_DEP_2)
	v_cmp_gt_u32_e64 s13, 0x72, v101
	v_sub_nc_u32_e32 v12, 0x71, v101
	v_cmp_eq_u32_e32 vcc_lo, 0, v101
	v_dual_cndmask_b32 v12, 0, v12, s13 :: v_dual_cndmask_b32 v6, v13, v6, vcc_lo
	s_delay_alu instid0(VALU_DEP_1) | instskip(NEXT) | instid1(VALU_DEP_1)
	v_cndmask_b32_e64 v102, v12, 0x70, vcc_lo
	v_dual_add_nc_u32 v12, 21, v102 :: v_dual_add_nc_u32 v103, 20, v102
	s_delay_alu instid0(VALU_DEP_1) | instskip(NEXT) | instid1(VALU_DEP_2)
	v_lshlrev_b64_e64 v[12:13], v12, -1
	v_lshlrev_b64_e64 v[112:113], v103, 1
	s_delay_alu instid0(VALU_DEP_2) | instskip(SKIP_1) | instid1(VALU_DEP_4)
	v_bfi_b32 v12, v12, 0, v6
	v_lshrrev_b64 v[6:7], v102, v[6:7]
	v_bfi_b32 v13, v13, 0, 0
	s_delay_alu instid0(VALU_DEP_1) | instskip(NEXT) | instid1(VALU_DEP_3)
	v_cmp_eq_u64_e64 s13, v[12:13], v[112:113]
	v_mov_b64_e32 v[12:13], v[6:7]
	s_and_saveexec_b32 s73, s13
; %bb.7271:                             ;   in Loop: Header=BB6_5167 Depth=3
	v_bfe_u32 v12, v6, 21, 1
	v_mov_b32_e32 v13, v21
	s_delay_alu instid0(VALU_DEP_1) | instskip(NEXT) | instid1(VALU_DEP_1)
	v_add_nc_u64_e32 v[12:13], v[6:7], v[12:13]
	v_add_nc_u64_e32 v[12:13], -1, v[12:13]
; %bb.7272:                             ;   in Loop: Header=BB6_5167 Depth=3
	s_or_b32 exec_lo, exec_lo, s73
	v_add_nc_u32_e32 v7, 0xffffff81, v101
	v_lshrrev_b32_e32 v13, 23, v6
	s_mov_b32 s13, exec_lo
	s_delay_alu instid0(VALU_DEP_2) | instskip(NEXT) | instid1(VALU_DEP_1)
	v_cndmask_b32_e64 v7, v7, 0xffffff82, vcc_lo
	v_add3_u32 v101, v102, v7, v13
	v_and_b32_e32 v7, 0x1fffff, v12
                                        ; implicit-def: $vgpr12
	s_delay_alu instid0(VALU_DEP_1) | instskip(SKIP_1) | instid1(VALU_DEP_2)
	v_dual_add_nc_u32 v13, 14, v101 :: v_dual_add_nc_u32 v6, v7, v6
	v_mov_b32_e32 v7, v21
	v_cmpx_ne_u32_e32 0, v13
	s_xor_b32 s13, exec_lo, s13
; %bb.7273:                             ;   in Loop: Header=BB6_5167 Depth=3
	s_delay_alu instid0(VALU_DEP_2) | instskip(SKIP_1) | instid1(VALU_DEP_1)
	v_cmp_lt_u64_e32 vcc_lo, 0xffffff, v[6:7]
	v_add_nc_u32_e32 v12, 15, v101
	v_cndmask_b32_e32 v12, v13, v12, vcc_lo
	v_cndmask_b32_e64 v13, 0, 1, vcc_lo
	s_delay_alu instid0(VALU_DEP_1)
	v_lshrrev_b64 v[6:7], v13, v[6:7]
; %bb.7274:                             ;   in Loop: Header=BB6_5167 Depth=3
	s_and_not1_saveexec_b32 s13, s13
; %bb.7275:                             ;   in Loop: Header=BB6_5167 Depth=3
	s_delay_alu instid0(VALU_DEP_1)
	v_bfe_u32 v12, v6, 23, 1
; %bb.7276:                             ;   in Loop: Header=BB6_5167 Depth=3
	s_or_b32 exec_lo, exec_lo, s13
	s_delay_alu instid0(VALU_DEP_2) | instskip(NEXT) | instid1(VALU_DEP_2)
	v_lshrrev_b64 v[6:7], 21, v[6:7]
	v_cmp_gt_i32_e32 vcc_lo, 32, v12
	v_min_i32_e32 v13, 31, v12
	v_cmp_eq_u32_e64 s13, 0, v12
	s_delay_alu instid0(VALU_DEP_2) | instskip(SKIP_1) | instid1(VALU_DEP_2)
	v_dual_cndmask_b32 v7, 0, v7, vcc_lo :: v_dual_lshlrev_b32 v13, 2, v13
	v_cndmask_b32_e32 v6, 3, v6, vcc_lo
	v_and_b32_e32 v13, 0xfc, v13
	s_delay_alu instid0(VALU_DEP_2) | instskip(NEXT) | instid1(VALU_DEP_2)
	v_cmp_eq_u64_e32 vcc_lo, 0, v[6:7]
	v_and_or_b32 v6, v6, 3, v13
	s_and_b32 s13, s13, vcc_lo
	s_delay_alu instid0(VALU_DEP_1) | instid1(SALU_CYCLE_1)
	v_cndmask_b32_e64 v6, v6, 0, s13
	s_delay_alu instid0(VALU_DEP_1)
	v_or_b32_e32 v12, v6, v5
.LBB6_7277:                             ;   in Loop: Header=BB6_5167 Depth=3
	s_or_b32 exec_lo, exec_lo, s72
                                        ; implicit-def: $vgpr5
.LBB6_7278:                             ;   in Loop: Header=BB6_5167 Depth=3
	s_and_not1_saveexec_b32 s13, s43
; %bb.7279:                             ;   in Loop: Header=BB6_5167 Depth=3
	v_or_b32_e32 v12, 0x7b, v5
; %bb.7280:                             ;   in Loop: Header=BB6_5167 Depth=3
	s_or_b32 exec_lo, exec_lo, s13
                                        ; implicit-def: $vgpr13
                                        ; implicit-def: $vgpr6_vgpr7
                                        ; implicit-def: $vgpr5
.LBB6_7281:                             ;   in Loop: Header=BB6_5167 Depth=3
	s_and_not1_saveexec_b32 s13, s42
	s_cbranch_execz .LBB6_7287
; %bb.7282:                             ;   in Loop: Header=BB6_5167 Depth=3
	s_mov_b32 s42, exec_lo
                                        ; implicit-def: $vgpr12
	v_cmpx_ne_u64_e32 0, v[6:7]
	s_xor_b32 s42, exec_lo, s42
; %bb.7283:                             ;   in Loop: Header=BB6_5167 Depth=3
	v_or_b32_e32 v12, 0x7f, v5
                                        ; implicit-def: $vgpr13
; %bb.7284:                             ;   in Loop: Header=BB6_5167 Depth=3
	s_and_not1_saveexec_b32 s42, s42
; %bb.7285:                             ;   in Loop: Header=BB6_5167 Depth=3
	v_cmp_lt_i32_e32 vcc_lo, -1, v13
	v_mov_b32_e32 v5, 0x7c
	s_delay_alu instid0(VALU_DEP_1)
	v_cndmask_b32_e32 v12, 0xfc, v5, vcc_lo
; %bb.7286:                             ;   in Loop: Header=BB6_5167 Depth=3
	s_or_b32 exec_lo, exec_lo, s42
.LBB6_7287:                             ;   in Loop: Header=BB6_5167 Depth=3
	s_delay_alu instid0(SALU_CYCLE_1) | instskip(SKIP_3) | instid1(VALU_DEP_2)
	s_or_b32 exec_lo, exec_lo, s13
	v_lshrrev_b16 v6, 8, v4
	v_dual_mov_b32 v13, 0 :: v_dual_mov_b32 v7, 0
	s_mov_b32 s42, exec_lo
	v_cmpx_ne_u16_e32 0, v6
	s_cbranch_execz .LBB6_7297
; %bb.7288:                             ;   in Loop: Header=BB6_5167 Depth=3
	v_bfrev_b32_e32 v7, 1
	s_mov_b32 s43, exec_lo
	v_cmpx_ne_u16_e32 0x80, v6
	s_cbranch_execz .LBB6_7296
; %bb.7289:                             ;   in Loop: Header=BB6_5167 Depth=3
	v_and_b32_e32 v5, 0xffff, v6
	s_delay_alu instid0(VALU_DEP_1) | instskip(SKIP_1) | instid1(VALU_DEP_2)
	v_and_b32_e32 v7, 0x7c, v5
	v_and_b32_e32 v101, 3, v5
	v_cmp_ne_u32_e32 vcc_lo, 0x7c, v7
                                        ; implicit-def: $vgpr7
	s_and_saveexec_b32 s13, vcc_lo
	s_delay_alu instid0(SALU_CYCLE_1)
	s_xor_b32 s13, exec_lo, s13
	s_cbranch_execz .LBB6_7293
; %bb.7290:                             ;   in Loop: Header=BB6_5167 Depth=3
	v_bfe_u32 v5, v5, 2, 5
	s_mov_b32 s72, exec_lo
	s_delay_alu instid0(VALU_DEP_1)
	v_cmpx_eq_u32_e32 0, v5
	s_cbranch_execz .LBB6_7292
; %bb.7291:                             ;   in Loop: Header=BB6_5167 Depth=3
	v_clz_i32_u32_e32 v5, v101
	s_delay_alu instid0(VALU_DEP_1) | instskip(SKIP_1) | instid1(VALU_DEP_2)
	v_min_u32_e32 v5, 32, v5
	v_mov_b32_e32 v7, v21
	v_subrev_nc_u32_e32 v101, 29, v5
	v_sub_nc_u32_e32 v5, 30, v5
	s_delay_alu instid0(VALU_DEP_2) | instskip(NEXT) | instid1(VALU_DEP_1)
	v_lshlrev_b64_e32 v[6:7], v101, v[6:7]
	v_and_b32_e32 v101, 3, v6
.LBB6_7292:                             ;   in Loop: Header=BB6_5167 Depth=3
	s_or_b32 exec_lo, exec_lo, s72
	v_lshlrev_b32_e32 v4, 16, v4
	s_delay_alu instid0(VALU_DEP_1) | instskip(NEXT) | instid1(VALU_DEP_1)
	v_and_b32_e32 v4, 0x80000000, v4
	v_lshl_add_u32 v4, v5, 23, v4
	s_delay_alu instid0(VALU_DEP_1) | instskip(NEXT) | instid1(VALU_DEP_1)
	v_lshl_or_b32 v4, v101, 21, v4
                                        ; implicit-def: $vgpr101
	v_add_nc_u32_e32 v7, 0x38000000, v4
                                        ; implicit-def: $vgpr4_vgpr5
.LBB6_7293:                             ;   in Loop: Header=BB6_5167 Depth=3
	s_and_not1_saveexec_b32 s72, s13
; %bb.7294:                             ;   in Loop: Header=BB6_5167 Depth=3
	v_cmp_lt_i16_e64 s13, -1, v4
	v_mov_b32_e32 v4, 0x7f800000
	v_cmp_eq_u32_e32 vcc_lo, 0, v101
	s_delay_alu instid0(VALU_DEP_2) | instskip(NEXT) | instid1(VALU_DEP_1)
	v_cndmask_b32_e64 v4, 0xff800000, v4, s13
	v_cndmask_b32_e32 v7, 0x7f800001, v4, vcc_lo
; %bb.7295:                             ;   in Loop: Header=BB6_5167 Depth=3
	s_or_b32 exec_lo, exec_lo, s72
.LBB6_7296:                             ;   in Loop: Header=BB6_5167 Depth=3
	s_delay_alu instid0(SALU_CYCLE_1)
	s_or_b32 exec_lo, exec_lo, s43
.LBB6_7297:                             ;   in Loop: Header=BB6_5167 Depth=3
	s_delay_alu instid0(SALU_CYCLE_1) | instskip(SKIP_2) | instid1(VALU_DEP_1)
	s_or_b32 exec_lo, exec_lo, s42
	v_lshrrev_b16 v4, 8, v9
	s_mov_b32 s42, exec_lo
	v_cmpx_ne_u16_e32 0, v4
	s_cbranch_execz .LBB6_7307
; %bb.7298:                             ;   in Loop: Header=BB6_5167 Depth=3
	v_bfrev_b32_e32 v13, 1
	s_mov_b32 s43, exec_lo
	v_cmpx_ne_u16_e32 0x80, v4
	s_cbranch_execz .LBB6_7306
; %bb.7299:                             ;   in Loop: Header=BB6_5167 Depth=3
	v_and_b32_e32 v6, 0xffff, v4
	s_delay_alu instid0(VALU_DEP_1) | instskip(SKIP_1) | instid1(VALU_DEP_2)
	v_and_b32_e32 v13, 0x7c, v6
	v_and_b32_e32 v5, 3, v6
	v_cmp_ne_u32_e32 vcc_lo, 0x7c, v13
                                        ; implicit-def: $vgpr13
	s_and_saveexec_b32 s13, vcc_lo
	s_delay_alu instid0(SALU_CYCLE_1)
	s_xor_b32 s13, exec_lo, s13
	s_cbranch_execz .LBB6_7303
; %bb.7300:                             ;   in Loop: Header=BB6_5167 Depth=3
	v_bfe_u32 v6, v6, 2, 5
	s_mov_b32 s72, exec_lo
	s_delay_alu instid0(VALU_DEP_1)
	v_cmpx_eq_u32_e32 0, v6
	s_cbranch_execz .LBB6_7302
; %bb.7301:                             ;   in Loop: Header=BB6_5167 Depth=3
	v_clz_i32_u32_e32 v5, v5
	s_delay_alu instid0(VALU_DEP_1) | instskip(SKIP_1) | instid1(VALU_DEP_2)
	v_min_u32_e32 v6, 32, v5
	v_mov_b32_e32 v5, v21
	v_subrev_nc_u32_e32 v13, 29, v6
	v_sub_nc_u32_e32 v6, 30, v6
	s_delay_alu instid0(VALU_DEP_2) | instskip(NEXT) | instid1(VALU_DEP_1)
	v_lshlrev_b64_e32 v[4:5], v13, v[4:5]
	v_and_b32_e32 v5, 3, v4
.LBB6_7302:                             ;   in Loop: Header=BB6_5167 Depth=3
	s_or_b32 exec_lo, exec_lo, s72
	v_lshlrev_b32_e32 v4, 16, v9
	s_delay_alu instid0(VALU_DEP_1) | instskip(NEXT) | instid1(VALU_DEP_1)
	v_and_b32_e32 v4, 0x80000000, v4
	v_lshl_add_u32 v4, v6, 23, v4
	s_delay_alu instid0(VALU_DEP_1) | instskip(NEXT) | instid1(VALU_DEP_1)
	v_lshl_or_b32 v4, v5, 21, v4
                                        ; implicit-def: $vgpr5
	v_add_nc_u32_e32 v13, 0x38000000, v4
.LBB6_7303:                             ;   in Loop: Header=BB6_5167 Depth=3
	s_and_not1_saveexec_b32 s72, s13
; %bb.7304:                             ;   in Loop: Header=BB6_5167 Depth=3
	v_cmp_lt_i16_e64 s13, -1, v9
	v_mov_b32_e32 v4, 0x7f800000
	v_cmp_eq_u32_e32 vcc_lo, 0, v5
	s_delay_alu instid0(VALU_DEP_2) | instskip(NEXT) | instid1(VALU_DEP_1)
	v_cndmask_b32_e64 v4, 0xff800000, v4, s13
	v_cndmask_b32_e32 v13, 0x7f800001, v4, vcc_lo
; %bb.7305:                             ;   in Loop: Header=BB6_5167 Depth=3
	s_or_b32 exec_lo, exec_lo, s72
.LBB6_7306:                             ;   in Loop: Header=BB6_5167 Depth=3
	s_delay_alu instid0(SALU_CYCLE_1)
	s_or_b32 exec_lo, exec_lo, s43
.LBB6_7307:                             ;   in Loop: Header=BB6_5167 Depth=3
	s_delay_alu instid0(SALU_CYCLE_1) | instskip(NEXT) | instid1(VALU_DEP_1)
	s_or_b32 exec_lo, exec_lo, s42
	v_dual_mul_f32 v6, v7, v13 :: v_dual_mov_b32 v103, v21
	v_mov_b32_e32 v5, v21
                                        ; implicit-def: $vgpr13
	s_mov_b32 s13, exec_lo
	s_delay_alu instid0(VALU_DEP_2) | instskip(SKIP_2) | instid1(VALU_DEP_3)
	v_and_b32_e32 v102, 0x7f800000, v6
	v_and_b32_e32 v4, 0x7fffff, v6
	v_lshrrev_b32_e32 v7, 24, v6
	v_cmpx_ne_u64_e32 0x7f800000, v[102:103]
	s_xor_b32 s42, exec_lo, s13
	s_cbranch_execz .LBB6_7321
; %bb.7308:                             ;   in Loop: Header=BB6_5167 Depth=3
	v_and_b32_e32 v102, 0x7fffffff, v6
	v_mov_b32_e32 v103, v21
	v_and_b32_e32 v101, 0x80, v7
                                        ; implicit-def: $vgpr13
	s_mov_b32 s13, exec_lo
	s_delay_alu instid0(VALU_DEP_2)
	v_cmpx_gt_u64_e32 0x47600001, v[102:103]
	s_xor_b32 s43, exec_lo, s13
	s_cbranch_execz .LBB6_7318
; %bb.7309:                             ;   in Loop: Header=BB6_5167 Depth=3
	v_mov_b32_e32 v13, 0
	s_mov_b32 s72, exec_lo
	v_cmpx_ne_u32_e32 0, v6
	s_cbranch_execz .LBB6_7317
; %bb.7310:                             ;   in Loop: Header=BB6_5167 Depth=3
	v_bfe_u32 v13, v6, 23, 8
	v_or_b32_e32 v7, 0x800000, v4
	s_delay_alu instid0(VALU_DEP_2) | instskip(SKIP_2) | instid1(VALU_DEP_2)
	v_cmp_gt_u32_e64 s13, 0x72, v13
	v_sub_nc_u32_e32 v6, 0x71, v13
	v_cmp_eq_u32_e32 vcc_lo, 0, v13
	v_dual_cndmask_b32 v6, 0, v6, s13 :: v_dual_cndmask_b32 v4, v7, v4, vcc_lo
	s_delay_alu instid0(VALU_DEP_1) | instskip(NEXT) | instid1(VALU_DEP_1)
	v_cndmask_b32_e64 v102, v6, 0x70, vcc_lo
	v_dual_add_nc_u32 v6, 21, v102 :: v_dual_add_nc_u32 v103, 20, v102
	s_delay_alu instid0(VALU_DEP_1) | instskip(NEXT) | instid1(VALU_DEP_2)
	v_lshlrev_b64_e64 v[6:7], v6, -1
	v_lshlrev_b64_e64 v[112:113], v103, 1
	s_delay_alu instid0(VALU_DEP_2) | instskip(SKIP_1) | instid1(VALU_DEP_4)
	v_bfi_b32 v6, v6, 0, v4
	v_lshrrev_b64 v[4:5], v102, v[4:5]
	v_bfi_b32 v7, v7, 0, 0
	s_delay_alu instid0(VALU_DEP_1) | instskip(NEXT) | instid1(VALU_DEP_3)
	v_cmp_eq_u64_e64 s13, v[6:7], v[112:113]
	v_mov_b64_e32 v[6:7], v[4:5]
	s_and_saveexec_b32 s73, s13
; %bb.7311:                             ;   in Loop: Header=BB6_5167 Depth=3
	v_bfe_u32 v6, v4, 21, 1
	v_mov_b32_e32 v7, v21
	s_delay_alu instid0(VALU_DEP_1) | instskip(NEXT) | instid1(VALU_DEP_1)
	v_add_nc_u64_e32 v[6:7], v[4:5], v[6:7]
	v_add_nc_u64_e32 v[6:7], -1, v[6:7]
; %bb.7312:                             ;   in Loop: Header=BB6_5167 Depth=3
	s_or_b32 exec_lo, exec_lo, s73
	v_add_nc_u32_e32 v5, 0xffffff81, v13
	v_lshrrev_b32_e32 v7, 23, v4
	s_mov_b32 s13, exec_lo
	s_delay_alu instid0(VALU_DEP_2) | instskip(NEXT) | instid1(VALU_DEP_1)
	v_cndmask_b32_e64 v5, v5, 0xffffff82, vcc_lo
	v_add3_u32 v13, v102, v5, v7
	v_and_b32_e32 v5, 0x1fffff, v6
                                        ; implicit-def: $vgpr6
	s_delay_alu instid0(VALU_DEP_1) | instskip(SKIP_1) | instid1(VALU_DEP_2)
	v_dual_add_nc_u32 v7, 14, v13 :: v_dual_add_nc_u32 v4, v5, v4
	v_mov_b32_e32 v5, v21
	v_cmpx_ne_u32_e32 0, v7
	s_xor_b32 s13, exec_lo, s13
; %bb.7313:                             ;   in Loop: Header=BB6_5167 Depth=3
	s_delay_alu instid0(VALU_DEP_2) | instskip(SKIP_1) | instid1(VALU_DEP_1)
	v_cmp_lt_u64_e32 vcc_lo, 0xffffff, v[4:5]
	v_add_nc_u32_e32 v6, 15, v13
	v_cndmask_b32_e32 v6, v7, v6, vcc_lo
	v_cndmask_b32_e64 v7, 0, 1, vcc_lo
	s_delay_alu instid0(VALU_DEP_1)
	v_lshrrev_b64 v[4:5], v7, v[4:5]
; %bb.7314:                             ;   in Loop: Header=BB6_5167 Depth=3
	s_and_not1_saveexec_b32 s13, s13
; %bb.7315:                             ;   in Loop: Header=BB6_5167 Depth=3
	s_delay_alu instid0(VALU_DEP_1)
	v_bfe_u32 v6, v4, 23, 1
; %bb.7316:                             ;   in Loop: Header=BB6_5167 Depth=3
	s_or_b32 exec_lo, exec_lo, s13
	s_delay_alu instid0(VALU_DEP_2) | instskip(NEXT) | instid1(VALU_DEP_2)
	v_lshrrev_b64 v[4:5], 21, v[4:5]
	v_cmp_gt_i32_e32 vcc_lo, 32, v6
	v_min_i32_e32 v7, 31, v6
	v_cmp_eq_u32_e64 s13, 0, v6
	s_delay_alu instid0(VALU_DEP_2) | instskip(SKIP_1) | instid1(VALU_DEP_2)
	v_dual_cndmask_b32 v5, 0, v5, vcc_lo :: v_dual_lshlrev_b32 v7, 2, v7
	v_cndmask_b32_e32 v4, 3, v4, vcc_lo
	v_and_b32_e32 v7, 0xfc, v7
	s_delay_alu instid0(VALU_DEP_2) | instskip(NEXT) | instid1(VALU_DEP_2)
	v_cmp_eq_u64_e32 vcc_lo, 0, v[4:5]
	v_and_or_b32 v4, v4, 3, v7
	s_and_b32 s13, s13, vcc_lo
	s_delay_alu instid0(VALU_DEP_1) | instid1(SALU_CYCLE_1)
	v_cndmask_b32_e64 v4, v4, 0, s13
	s_delay_alu instid0(VALU_DEP_1)
	v_or_b32_e32 v13, v4, v101
.LBB6_7317:                             ;   in Loop: Header=BB6_5167 Depth=3
	s_or_b32 exec_lo, exec_lo, s72
                                        ; implicit-def: $vgpr101
.LBB6_7318:                             ;   in Loop: Header=BB6_5167 Depth=3
	s_and_not1_saveexec_b32 s13, s43
; %bb.7319:                             ;   in Loop: Header=BB6_5167 Depth=3
	v_or_b32_e32 v13, 0x7b, v101
; %bb.7320:                             ;   in Loop: Header=BB6_5167 Depth=3
	s_or_b32 exec_lo, exec_lo, s13
                                        ; implicit-def: $vgpr6
                                        ; implicit-def: $vgpr4_vgpr5
                                        ; implicit-def: $vgpr7
.LBB6_7321:                             ;   in Loop: Header=BB6_5167 Depth=3
	s_and_not1_saveexec_b32 s13, s42
	s_cbranch_execz .LBB6_7327
; %bb.7322:                             ;   in Loop: Header=BB6_5167 Depth=3
	s_mov_b32 s42, exec_lo
                                        ; implicit-def: $vgpr13
	v_cmpx_ne_u64_e32 0, v[4:5]
	s_xor_b32 s42, exec_lo, s42
; %bb.7323:                             ;   in Loop: Header=BB6_5167 Depth=3
	v_or_b32_e32 v13, 0x7f, v7
                                        ; implicit-def: $vgpr6
; %bb.7324:                             ;   in Loop: Header=BB6_5167 Depth=3
	s_and_not1_saveexec_b32 s42, s42
; %bb.7325:                             ;   in Loop: Header=BB6_5167 Depth=3
	v_cmp_lt_i32_e32 vcc_lo, -1, v6
	v_mov_b32_e32 v4, 0x7c
	s_delay_alu instid0(VALU_DEP_1)
	v_cndmask_b32_e32 v13, 0xfc, v4, vcc_lo
; %bb.7326:                             ;   in Loop: Header=BB6_5167 Depth=3
	s_or_b32 exec_lo, exec_lo, s42
.LBB6_7327:                             ;   in Loop: Header=BB6_5167 Depth=3
	s_delay_alu instid0(SALU_CYCLE_1) | instskip(SKIP_3) | instid1(VALU_DEP_2)
	s_or_b32 exec_lo, exec_lo, s13
	v_dual_mov_b32 v5, 0 :: v_dual_lshrrev_b32 v4, 16, v1
	v_mov_b32_e32 v6, 0
	s_mov_b32 s42, exec_lo
	v_and_b32_e32 v7, 0xff, v4
	s_delay_alu instid0(VALU_DEP_1)
	v_cmpx_ne_u16_e32 0, v7
	s_cbranch_execz .LBB6_7337
; %bb.7328:                             ;   in Loop: Header=BB6_5167 Depth=3
	v_bfrev_b32_e32 v6, 1
	s_mov_b32 s43, exec_lo
	v_cmpx_ne_u16_e32 0x80, v7
	s_cbranch_execz .LBB6_7336
; %bb.7329:                             ;   in Loop: Header=BB6_5167 Depth=3
	v_and_b32_e32 v6, 0x7c0000, v1
	v_bfe_u32 v7, v1, 16, 2
	s_delay_alu instid0(VALU_DEP_2) | instskip(SKIP_1) | instid1(SALU_CYCLE_1)
	v_cmp_ne_u32_e32 vcc_lo, 0x7c0000, v6
                                        ; implicit-def: $vgpr6
	s_and_saveexec_b32 s13, vcc_lo
	s_xor_b32 s13, exec_lo, s13
	s_cbranch_execz .LBB6_7333
; %bb.7330:                             ;   in Loop: Header=BB6_5167 Depth=3
	v_bfe_u32 v6, v1, 18, 5
	s_mov_b32 s72, exec_lo
	s_delay_alu instid0(VALU_DEP_1)
	v_cmpx_eq_u32_e32 0, v6
; %bb.7331:                             ;   in Loop: Header=BB6_5167 Depth=3
	v_clz_i32_u32_e32 v6, v7
	s_delay_alu instid0(VALU_DEP_1) | instskip(NEXT) | instid1(VALU_DEP_1)
	v_min_u32_e32 v6, 32, v6
	v_subrev_nc_u32_e32 v7, 29, v6
	v_sub_nc_u32_e32 v6, 30, v6
	s_delay_alu instid0(VALU_DEP_2) | instskip(NEXT) | instid1(VALU_DEP_1)
	v_lshlrev_b64_e32 v[102:103], v7, v[4:5]
	v_and_b32_e32 v7, 3, v102
; %bb.7332:                             ;   in Loop: Header=BB6_5167 Depth=3
	s_or_b32 exec_lo, exec_lo, s72
	v_lshlrev_b32_e32 v4, 24, v4
	s_delay_alu instid0(VALU_DEP_1) | instskip(NEXT) | instid1(VALU_DEP_1)
	v_and_b32_e32 v4, 0x80000000, v4
	v_lshl_add_u32 v4, v6, 23, v4
	s_delay_alu instid0(VALU_DEP_1) | instskip(NEXT) | instid1(VALU_DEP_1)
	v_lshl_or_b32 v4, v7, 21, v4
                                        ; implicit-def: $vgpr7
	v_add_nc_u32_e32 v6, 0x38000000, v4
                                        ; implicit-def: $vgpr4
.LBB6_7333:                             ;   in Loop: Header=BB6_5167 Depth=3
	s_and_not1_saveexec_b32 s72, s13
; %bb.7334:                             ;   in Loop: Header=BB6_5167 Depth=3
	v_bfe_i32 v4, v4, 0, 8
	v_cmp_eq_u32_e32 vcc_lo, 0, v7
	s_delay_alu instid0(VALU_DEP_2) | instskip(SKIP_1) | instid1(VALU_DEP_1)
	v_cmp_lt_i16_e64 s13, -1, v4
	v_mov_b32_e32 v4, 0x7f800000
	v_cndmask_b32_e64 v4, 0xff800000, v4, s13
	s_delay_alu instid0(VALU_DEP_1)
	v_cndmask_b32_e32 v6, 0x7f800001, v4, vcc_lo
; %bb.7335:                             ;   in Loop: Header=BB6_5167 Depth=3
	s_or_b32 exec_lo, exec_lo, s72
.LBB6_7336:                             ;   in Loop: Header=BB6_5167 Depth=3
	s_delay_alu instid0(SALU_CYCLE_1)
	s_or_b32 exec_lo, exec_lo, s43
.LBB6_7337:                             ;   in Loop: Header=BB6_5167 Depth=3
	s_delay_alu instid0(SALU_CYCLE_1) | instskip(SKIP_2) | instid1(VALU_DEP_1)
	s_or_b32 exec_lo, exec_lo, s42
	v_lshrrev_b32_e32 v4, 16, v9
	s_mov_b32 s42, exec_lo
	v_and_b32_e32 v7, 0xff, v4
	s_delay_alu instid0(VALU_DEP_1)
	v_cmpx_ne_u16_e32 0, v7
	s_cbranch_execz .LBB6_7347
; %bb.7338:                             ;   in Loop: Header=BB6_5167 Depth=3
	v_bfrev_b32_e32 v5, 1
	s_mov_b32 s43, exec_lo
	v_cmpx_ne_u16_e32 0x80, v7
	s_cbranch_execz .LBB6_7346
; %bb.7339:                             ;   in Loop: Header=BB6_5167 Depth=3
	v_and_b32_e32 v5, 0x7c0000, v9
	v_bfe_u32 v7, v9, 16, 2
	s_delay_alu instid0(VALU_DEP_2) | instskip(SKIP_1) | instid1(SALU_CYCLE_1)
	v_cmp_ne_u32_e32 vcc_lo, 0x7c0000, v5
                                        ; implicit-def: $vgpr5
	s_and_saveexec_b32 s13, vcc_lo
	s_xor_b32 s13, exec_lo, s13
	s_cbranch_execz .LBB6_7343
; %bb.7340:                             ;   in Loop: Header=BB6_5167 Depth=3
	v_bfe_u32 v5, v9, 18, 5
	s_mov_b32 s72, exec_lo
	s_delay_alu instid0(VALU_DEP_1)
	v_cmpx_eq_u32_e32 0, v5
; %bb.7341:                             ;   in Loop: Header=BB6_5167 Depth=3
	v_clz_i32_u32_e32 v5, v7
	s_delay_alu instid0(VALU_DEP_1) | instskip(NEXT) | instid1(VALU_DEP_1)
	v_min_u32_e32 v5, 32, v5
	v_subrev_nc_u32_e32 v7, 29, v5
	s_delay_alu instid0(VALU_DEP_1) | instskip(NEXT) | instid1(VALU_DEP_1)
	v_lshlrev_b64_e32 v[102:103], v7, v[4:5]
	v_dual_sub_nc_u32 v5, 30, v5 :: v_dual_bitop2_b32 v7, 3, v102 bitop3:0x40
; %bb.7342:                             ;   in Loop: Header=BB6_5167 Depth=3
	s_or_b32 exec_lo, exec_lo, s72
	v_lshlrev_b32_e32 v4, 24, v4
	s_delay_alu instid0(VALU_DEP_1) | instskip(NEXT) | instid1(VALU_DEP_1)
	v_and_b32_e32 v4, 0x80000000, v4
	v_lshl_add_u32 v4, v5, 23, v4
	s_delay_alu instid0(VALU_DEP_1) | instskip(NEXT) | instid1(VALU_DEP_1)
	v_lshl_or_b32 v4, v7, 21, v4
                                        ; implicit-def: $vgpr7
	v_add_nc_u32_e32 v5, 0x38000000, v4
                                        ; implicit-def: $vgpr4
.LBB6_7343:                             ;   in Loop: Header=BB6_5167 Depth=3
	s_and_not1_saveexec_b32 s72, s13
; %bb.7344:                             ;   in Loop: Header=BB6_5167 Depth=3
	v_bfe_i32 v4, v4, 0, 8
	v_cmp_eq_u32_e32 vcc_lo, 0, v7
	s_delay_alu instid0(VALU_DEP_2) | instskip(SKIP_1) | instid1(VALU_DEP_1)
	v_cmp_lt_i16_e64 s13, -1, v4
	v_mov_b32_e32 v4, 0x7f800000
	v_cndmask_b32_e64 v4, 0xff800000, v4, s13
	s_delay_alu instid0(VALU_DEP_1)
	v_cndmask_b32_e32 v5, 0x7f800001, v4, vcc_lo
; %bb.7345:                             ;   in Loop: Header=BB6_5167 Depth=3
	s_or_b32 exec_lo, exec_lo, s72
.LBB6_7346:                             ;   in Loop: Header=BB6_5167 Depth=3
	s_delay_alu instid0(SALU_CYCLE_1)
	s_or_b32 exec_lo, exec_lo, s43
.LBB6_7347:                             ;   in Loop: Header=BB6_5167 Depth=3
	s_delay_alu instid0(SALU_CYCLE_1) | instskip(NEXT) | instid1(VALU_DEP_1)
	s_or_b32 exec_lo, exec_lo, s42
	v_dual_mul_f32 v6, v6, v5 :: v_dual_mov_b32 v103, v21
	v_mov_b32_e32 v5, v21
                                        ; implicit-def: $vgpr101
	s_mov_b32 s13, exec_lo
	s_delay_alu instid0(VALU_DEP_2) | instskip(SKIP_2) | instid1(VALU_DEP_3)
	v_and_b32_e32 v102, 0x7f800000, v6
	v_and_b32_e32 v4, 0x7fffff, v6
	v_lshrrev_b32_e32 v7, 24, v6
	v_cmpx_ne_u64_e32 0x7f800000, v[102:103]
	s_xor_b32 s42, exec_lo, s13
	s_cbranch_execz .LBB6_7361
; %bb.7348:                             ;   in Loop: Header=BB6_5167 Depth=3
	v_and_b32_e32 v102, 0x7fffffff, v6
	v_mov_b32_e32 v103, v21
                                        ; implicit-def: $vgpr101
	s_delay_alu instid0(VALU_DEP_1) | instskip(SKIP_2) | instid1(SALU_CYCLE_1)
	v_cmp_gt_u64_e32 vcc_lo, 0x47600001, v[102:103]
	v_and_b32_e32 v102, 0x80, v7
	s_and_saveexec_b32 s13, vcc_lo
	s_xor_b32 s43, exec_lo, s13
	s_cbranch_execz .LBB6_7358
; %bb.7349:                             ;   in Loop: Header=BB6_5167 Depth=3
	v_mov_b32_e32 v101, 0
	s_mov_b32 s72, exec_lo
	v_cmpx_ne_u32_e32 0, v6
	s_cbranch_execz .LBB6_7357
; %bb.7350:                             ;   in Loop: Header=BB6_5167 Depth=3
	v_bfe_u32 v101, v6, 23, 8
	v_or_b32_e32 v7, 0x800000, v4
	s_delay_alu instid0(VALU_DEP_2) | instskip(SKIP_2) | instid1(VALU_DEP_2)
	v_cmp_gt_u32_e64 s13, 0x72, v101
	v_sub_nc_u32_e32 v6, 0x71, v101
	v_cmp_eq_u32_e32 vcc_lo, 0, v101
	v_dual_cndmask_b32 v6, 0, v6, s13 :: v_dual_cndmask_b32 v4, v7, v4, vcc_lo
	s_delay_alu instid0(VALU_DEP_1) | instskip(NEXT) | instid1(VALU_DEP_1)
	v_cndmask_b32_e64 v103, v6, 0x70, vcc_lo
	v_dual_add_nc_u32 v6, 21, v103 :: v_dual_add_nc_u32 v112, 20, v103
	s_delay_alu instid0(VALU_DEP_1) | instskip(NEXT) | instid1(VALU_DEP_2)
	v_lshlrev_b64_e64 v[6:7], v6, -1
	v_lshlrev_b64_e64 v[112:113], v112, 1
	s_delay_alu instid0(VALU_DEP_2) | instskip(SKIP_1) | instid1(VALU_DEP_4)
	v_bfi_b32 v6, v6, 0, v4
	v_lshrrev_b64 v[4:5], v103, v[4:5]
	v_bfi_b32 v7, v7, 0, 0
	s_delay_alu instid0(VALU_DEP_1) | instskip(NEXT) | instid1(VALU_DEP_3)
	v_cmp_eq_u64_e64 s13, v[6:7], v[112:113]
	v_mov_b64_e32 v[6:7], v[4:5]
	s_and_saveexec_b32 s73, s13
; %bb.7351:                             ;   in Loop: Header=BB6_5167 Depth=3
	v_bfe_u32 v6, v4, 21, 1
	v_mov_b32_e32 v7, v21
	s_delay_alu instid0(VALU_DEP_1) | instskip(NEXT) | instid1(VALU_DEP_1)
	v_add_nc_u64_e32 v[6:7], v[4:5], v[6:7]
	v_add_nc_u64_e32 v[6:7], -1, v[6:7]
; %bb.7352:                             ;   in Loop: Header=BB6_5167 Depth=3
	s_or_b32 exec_lo, exec_lo, s73
	v_add_nc_u32_e32 v5, 0xffffff81, v101
	v_lshrrev_b32_e32 v7, 23, v4
	s_mov_b32 s13, exec_lo
	s_delay_alu instid0(VALU_DEP_2) | instskip(NEXT) | instid1(VALU_DEP_1)
	v_cndmask_b32_e64 v5, v5, 0xffffff82, vcc_lo
	v_add3_u32 v101, v103, v5, v7
	v_and_b32_e32 v5, 0x1fffff, v6
                                        ; implicit-def: $vgpr6
	s_delay_alu instid0(VALU_DEP_1) | instskip(SKIP_1) | instid1(VALU_DEP_2)
	v_dual_add_nc_u32 v7, 14, v101 :: v_dual_add_nc_u32 v4, v5, v4
	v_mov_b32_e32 v5, v21
	v_cmpx_ne_u32_e32 0, v7
	s_xor_b32 s13, exec_lo, s13
; %bb.7353:                             ;   in Loop: Header=BB6_5167 Depth=3
	s_delay_alu instid0(VALU_DEP_2) | instskip(SKIP_1) | instid1(VALU_DEP_1)
	v_cmp_lt_u64_e32 vcc_lo, 0xffffff, v[4:5]
	v_add_nc_u32_e32 v6, 15, v101
	v_cndmask_b32_e32 v6, v7, v6, vcc_lo
	v_cndmask_b32_e64 v7, 0, 1, vcc_lo
	s_delay_alu instid0(VALU_DEP_1)
	v_lshrrev_b64 v[4:5], v7, v[4:5]
; %bb.7354:                             ;   in Loop: Header=BB6_5167 Depth=3
	s_and_not1_saveexec_b32 s13, s13
; %bb.7355:                             ;   in Loop: Header=BB6_5167 Depth=3
	s_delay_alu instid0(VALU_DEP_1)
	v_bfe_u32 v6, v4, 23, 1
; %bb.7356:                             ;   in Loop: Header=BB6_5167 Depth=3
	s_or_b32 exec_lo, exec_lo, s13
	s_delay_alu instid0(VALU_DEP_2) | instskip(NEXT) | instid1(VALU_DEP_2)
	v_lshrrev_b64 v[4:5], 21, v[4:5]
	v_cmp_gt_i32_e32 vcc_lo, 32, v6
	v_min_i32_e32 v7, 31, v6
	v_cmp_eq_u32_e64 s13, 0, v6
	s_delay_alu instid0(VALU_DEP_2) | instskip(SKIP_1) | instid1(VALU_DEP_2)
	v_dual_cndmask_b32 v5, 0, v5, vcc_lo :: v_dual_lshlrev_b32 v7, 2, v7
	v_cndmask_b32_e32 v4, 3, v4, vcc_lo
	v_and_b32_e32 v7, 0xfc, v7
	s_delay_alu instid0(VALU_DEP_2) | instskip(NEXT) | instid1(VALU_DEP_2)
	v_cmp_eq_u64_e32 vcc_lo, 0, v[4:5]
	v_and_or_b32 v4, v4, 3, v7
	s_and_b32 s13, s13, vcc_lo
	s_delay_alu instid0(VALU_DEP_1) | instid1(SALU_CYCLE_1)
	v_cndmask_b32_e64 v4, v4, 0, s13
	s_delay_alu instid0(VALU_DEP_1)
	v_or_b32_e32 v101, v4, v102
.LBB6_7357:                             ;   in Loop: Header=BB6_5167 Depth=3
	s_or_b32 exec_lo, exec_lo, s72
                                        ; implicit-def: $vgpr102
.LBB6_7358:                             ;   in Loop: Header=BB6_5167 Depth=3
	s_and_not1_saveexec_b32 s13, s43
; %bb.7359:                             ;   in Loop: Header=BB6_5167 Depth=3
	v_or_b32_e32 v101, 0x7b, v102
; %bb.7360:                             ;   in Loop: Header=BB6_5167 Depth=3
	s_or_b32 exec_lo, exec_lo, s13
                                        ; implicit-def: $vgpr6
                                        ; implicit-def: $vgpr4_vgpr5
                                        ; implicit-def: $vgpr7
.LBB6_7361:                             ;   in Loop: Header=BB6_5167 Depth=3
	s_and_not1_saveexec_b32 s13, s42
	s_cbranch_execz .LBB6_7367
; %bb.7362:                             ;   in Loop: Header=BB6_5167 Depth=3
	s_mov_b32 s42, exec_lo
                                        ; implicit-def: $vgpr101
	v_cmpx_ne_u64_e32 0, v[4:5]
	s_xor_b32 s42, exec_lo, s42
; %bb.7363:                             ;   in Loop: Header=BB6_5167 Depth=3
	v_or_b32_e32 v101, 0x7f, v7
                                        ; implicit-def: $vgpr6
; %bb.7364:                             ;   in Loop: Header=BB6_5167 Depth=3
	s_and_not1_saveexec_b32 s42, s42
; %bb.7365:                             ;   in Loop: Header=BB6_5167 Depth=3
	v_cmp_lt_i32_e32 vcc_lo, -1, v6
	v_mov_b32_e32 v4, 0x7c
	s_delay_alu instid0(VALU_DEP_1)
	v_cndmask_b32_e32 v101, 0xfc, v4, vcc_lo
; %bb.7366:                             ;   in Loop: Header=BB6_5167 Depth=3
	s_or_b32 exec_lo, exec_lo, s42
.LBB6_7367:                             ;   in Loop: Header=BB6_5167 Depth=3
	s_delay_alu instid0(SALU_CYCLE_1)
	s_or_b32 exec_lo, exec_lo, s13
	v_dual_mov_b32 v5, 0 :: v_dual_mov_b32 v6, 0
	s_mov_b32 s42, exec_lo
	v_cmpx_lt_u64_e64 s[22:23], v[0:1]
	s_cbranch_execz .LBB6_7377
; %bb.7368:                             ;   in Loop: Header=BB6_5167 Depth=3
	v_lshrrev_b32_e32 v4, 24, v1
	v_bfrev_b32_e32 v6, 1
	s_mov_b32 s43, exec_lo
	s_delay_alu instid0(VALU_DEP_2)
	v_cmpx_ne_u32_e32 0x80, v4
	s_cbranch_execz .LBB6_7376
; %bb.7369:                             ;   in Loop: Header=BB6_5167 Depth=3
	v_and_b32_e32 v6, 0x7c000000, v1
	v_bfe_u32 v7, v1, 24, 2
	s_delay_alu instid0(VALU_DEP_2) | instskip(SKIP_1) | instid1(SALU_CYCLE_1)
	v_cmp_ne_u32_e32 vcc_lo, 0x7c000000, v6
                                        ; implicit-def: $vgpr6
	s_and_saveexec_b32 s13, vcc_lo
	s_xor_b32 s13, exec_lo, s13
	s_cbranch_execz .LBB6_7373
; %bb.7370:                             ;   in Loop: Header=BB6_5167 Depth=3
	v_bfe_u32 v6, v1, 26, 5
	s_mov_b32 s72, exec_lo
	s_delay_alu instid0(VALU_DEP_1)
	v_cmpx_eq_u32_e32 0, v6
; %bb.7371:                             ;   in Loop: Header=BB6_5167 Depth=3
	v_clz_i32_u32_e32 v6, v7
	s_delay_alu instid0(VALU_DEP_1) | instskip(NEXT) | instid1(VALU_DEP_1)
	v_min_u32_e32 v6, 32, v6
	v_subrev_nc_u32_e32 v7, 29, v6
	v_sub_nc_u32_e32 v6, 30, v6
	s_delay_alu instid0(VALU_DEP_2) | instskip(NEXT) | instid1(VALU_DEP_1)
	v_lshlrev_b64_e32 v[102:103], v7, v[4:5]
	v_and_b32_e32 v7, 3, v102
; %bb.7372:                             ;   in Loop: Header=BB6_5167 Depth=3
	s_or_b32 exec_lo, exec_lo, s72
	v_and_b32_e32 v4, 0x80000000, v1
	s_delay_alu instid0(VALU_DEP_1) | instskip(NEXT) | instid1(VALU_DEP_1)
	v_lshl_add_u32 v4, v6, 23, v4
	v_lshl_or_b32 v4, v7, 21, v4
                                        ; implicit-def: $vgpr7
	s_delay_alu instid0(VALU_DEP_1)
	v_add_nc_u32_e32 v6, 0x38000000, v4
.LBB6_7373:                             ;   in Loop: Header=BB6_5167 Depth=3
	s_and_not1_saveexec_b32 s72, s13
; %bb.7374:                             ;   in Loop: Header=BB6_5167 Depth=3
	v_cmp_lt_i64_e64 s13, -1, v[0:1]
	v_mov_b32_e32 v0, 0x7f800000
	v_cmp_eq_u32_e32 vcc_lo, 0, v7
	s_delay_alu instid0(VALU_DEP_2) | instskip(NEXT) | instid1(VALU_DEP_1)
	v_cndmask_b32_e64 v0, 0xff800000, v0, s13
	v_cndmask_b32_e32 v6, 0x7f800001, v0, vcc_lo
; %bb.7375:                             ;   in Loop: Header=BB6_5167 Depth=3
	s_or_b32 exec_lo, exec_lo, s72
.LBB6_7376:                             ;   in Loop: Header=BB6_5167 Depth=3
	s_delay_alu instid0(SALU_CYCLE_1)
	s_or_b32 exec_lo, exec_lo, s43
.LBB6_7377:                             ;   in Loop: Header=BB6_5167 Depth=3
	s_delay_alu instid0(SALU_CYCLE_1) | instskip(NEXT) | instid1(SALU_CYCLE_1)
	s_or_b32 exec_lo, exec_lo, s42
	s_mov_b32 s42, exec_lo
	v_cmpx_lt_u64_e64 s[22:23], v[8:9]
	s_cbranch_execz .LBB6_7387
; %bb.7378:                             ;   in Loop: Header=BB6_5167 Depth=3
	v_lshrrev_b32_e32 v0, 24, v9
	v_bfrev_b32_e32 v5, 1
	s_mov_b32 s43, exec_lo
	s_delay_alu instid0(VALU_DEP_2)
	v_cmpx_ne_u32_e32 0x80, v0
	s_cbranch_execz .LBB6_7386
; %bb.7379:                             ;   in Loop: Header=BB6_5167 Depth=3
	v_and_b32_e32 v4, 0x7c000000, v9
	v_bfe_u32 v1, v9, 24, 2
	s_mov_b32 s13, exec_lo
                                        ; implicit-def: $vgpr5
	s_delay_alu instid0(VALU_DEP_2)
	v_cmpx_ne_u32_e32 0x7c000000, v4
	s_xor_b32 s13, exec_lo, s13
	s_cbranch_execz .LBB6_7383
; %bb.7380:                             ;   in Loop: Header=BB6_5167 Depth=3
	v_bfe_u32 v4, v9, 26, 5
	s_mov_b32 s72, exec_lo
	s_delay_alu instid0(VALU_DEP_1)
	v_cmpx_eq_u32_e32 0, v4
; %bb.7381:                             ;   in Loop: Header=BB6_5167 Depth=3
	v_clz_i32_u32_e32 v1, v1
	s_delay_alu instid0(VALU_DEP_1) | instskip(NEXT) | instid1(VALU_DEP_1)
	v_min_u32_e32 v4, 32, v1
	v_subrev_nc_u32_e32 v1, 29, v4
	v_sub_nc_u32_e32 v4, 30, v4
	s_delay_alu instid0(VALU_DEP_2) | instskip(NEXT) | instid1(VALU_DEP_1)
	v_lshlrev_b64_e32 v[0:1], v1, v[0:1]
	v_and_b32_e32 v1, 3, v0
; %bb.7382:                             ;   in Loop: Header=BB6_5167 Depth=3
	s_or_b32 exec_lo, exec_lo, s72
	v_and_b32_e32 v0, 0x80000000, v9
	s_delay_alu instid0(VALU_DEP_1) | instskip(NEXT) | instid1(VALU_DEP_1)
	v_lshl_add_u32 v0, v4, 23, v0
	v_lshl_or_b32 v0, v1, 21, v0
                                        ; implicit-def: $vgpr1
	s_delay_alu instid0(VALU_DEP_1)
	v_add_nc_u32_e32 v5, 0x38000000, v0
.LBB6_7383:                             ;   in Loop: Header=BB6_5167 Depth=3
	s_and_not1_saveexec_b32 s72, s13
; %bb.7384:                             ;   in Loop: Header=BB6_5167 Depth=3
	v_cmp_lt_i64_e64 s13, -1, v[8:9]
	v_mov_b32_e32 v0, 0x7f800000
	v_cmp_eq_u32_e32 vcc_lo, 0, v1
	s_delay_alu instid0(VALU_DEP_2) | instskip(NEXT) | instid1(VALU_DEP_1)
	v_cndmask_b32_e64 v0, 0xff800000, v0, s13
	v_cndmask_b32_e32 v5, 0x7f800001, v0, vcc_lo
; %bb.7385:                             ;   in Loop: Header=BB6_5167 Depth=3
	s_or_b32 exec_lo, exec_lo, s72
.LBB6_7386:                             ;   in Loop: Header=BB6_5167 Depth=3
	s_delay_alu instid0(SALU_CYCLE_1)
	s_or_b32 exec_lo, exec_lo, s43
.LBB6_7387:                             ;   in Loop: Header=BB6_5167 Depth=3
	s_delay_alu instid0(SALU_CYCLE_1) | instskip(NEXT) | instid1(VALU_DEP_1)
	s_or_b32 exec_lo, exec_lo, s42
	v_dual_mul_f32 v4, v6, v5 :: v_dual_mov_b32 v7, v21
	v_mov_b32_e32 v1, v21
                                        ; implicit-def: $vgpr8
	s_mov_b32 s13, exec_lo
	s_delay_alu instid0(VALU_DEP_2) | instskip(SKIP_2) | instid1(VALU_DEP_3)
	v_and_b32_e32 v6, 0x7f800000, v4
	v_and_b32_e32 v0, 0x7fffff, v4
	v_lshrrev_b32_e32 v5, 24, v4
	v_cmpx_ne_u64_e32 0x7f800000, v[6:7]
	s_xor_b32 s42, exec_lo, s13
	s_cbranch_execz .LBB6_7401
; %bb.7388:                             ;   in Loop: Header=BB6_5167 Depth=3
	v_and_b32_e32 v6, 0x7fffffff, v4
	v_mov_b32_e32 v7, v21
                                        ; implicit-def: $vgpr8
	s_delay_alu instid0(VALU_DEP_1) | instskip(SKIP_2) | instid1(SALU_CYCLE_1)
	v_cmp_gt_u64_e32 vcc_lo, 0x47600001, v[6:7]
	v_and_b32_e32 v6, 0x80, v5
	s_and_saveexec_b32 s13, vcc_lo
	s_xor_b32 s43, exec_lo, s13
	s_cbranch_execz .LBB6_7398
; %bb.7389:                             ;   in Loop: Header=BB6_5167 Depth=3
	v_mov_b32_e32 v8, 0
	s_mov_b32 s72, exec_lo
	v_cmpx_ne_u32_e32 0, v4
	s_cbranch_execz .LBB6_7397
; %bb.7390:                             ;   in Loop: Header=BB6_5167 Depth=3
	v_bfe_u32 v7, v4, 23, 8
	v_or_b32_e32 v5, 0x800000, v0
	s_delay_alu instid0(VALU_DEP_2) | instskip(SKIP_2) | instid1(VALU_DEP_2)
	v_cmp_gt_u32_e64 s13, 0x72, v7
	v_sub_nc_u32_e32 v4, 0x71, v7
	v_cmp_eq_u32_e32 vcc_lo, 0, v7
	v_cndmask_b32_e64 v4, 0, v4, s13
	v_cndmask_b32_e32 v0, v5, v0, vcc_lo
	s_delay_alu instid0(VALU_DEP_2) | instskip(NEXT) | instid1(VALU_DEP_1)
	v_cndmask_b32_e64 v8, v4, 0x70, vcc_lo
	v_dual_add_nc_u32 v4, 21, v8 :: v_dual_add_nc_u32 v9, 20, v8
	s_delay_alu instid0(VALU_DEP_1) | instskip(NEXT) | instid1(VALU_DEP_2)
	v_lshlrev_b64_e64 v[4:5], v4, -1
	v_lshlrev_b64_e64 v[102:103], v9, 1
	s_delay_alu instid0(VALU_DEP_2) | instskip(SKIP_1) | instid1(VALU_DEP_4)
	v_bfi_b32 v4, v4, 0, v0
	v_lshrrev_b64 v[0:1], v8, v[0:1]
	v_bfi_b32 v5, v5, 0, 0
	s_delay_alu instid0(VALU_DEP_1) | instskip(NEXT) | instid1(VALU_DEP_3)
	v_cmp_eq_u64_e64 s13, v[4:5], v[102:103]
	v_mov_b64_e32 v[4:5], v[0:1]
	s_and_saveexec_b32 s73, s13
; %bb.7391:                             ;   in Loop: Header=BB6_5167 Depth=3
	v_bfe_u32 v4, v0, 21, 1
	v_mov_b32_e32 v5, v21
	s_delay_alu instid0(VALU_DEP_1) | instskip(NEXT) | instid1(VALU_DEP_1)
	v_add_nc_u64_e32 v[4:5], v[0:1], v[4:5]
	v_add_nc_u64_e32 v[4:5], -1, v[4:5]
; %bb.7392:                             ;   in Loop: Header=BB6_5167 Depth=3
	s_or_b32 exec_lo, exec_lo, s73
	v_add_nc_u32_e32 v1, 0xffffff81, v7
	v_lshrrev_b32_e32 v5, 23, v0
	s_mov_b32 s13, exec_lo
	s_delay_alu instid0(VALU_DEP_2) | instskip(NEXT) | instid1(VALU_DEP_1)
	v_cndmask_b32_e64 v1, v1, 0xffffff82, vcc_lo
	v_add3_u32 v7, v8, v1, v5
	v_and_b32_e32 v1, 0x1fffff, v4
                                        ; implicit-def: $vgpr4
	s_delay_alu instid0(VALU_DEP_1) | instskip(SKIP_1) | instid1(VALU_DEP_2)
	v_dual_add_nc_u32 v5, 14, v7 :: v_dual_add_nc_u32 v0, v1, v0
	v_mov_b32_e32 v1, v21
	v_cmpx_ne_u32_e32 0, v5
	s_xor_b32 s13, exec_lo, s13
; %bb.7393:                             ;   in Loop: Header=BB6_5167 Depth=3
	s_delay_alu instid0(VALU_DEP_2) | instskip(SKIP_1) | instid1(VALU_DEP_1)
	v_cmp_lt_u64_e32 vcc_lo, 0xffffff, v[0:1]
	v_add_nc_u32_e32 v4, 15, v7
	v_cndmask_b32_e32 v4, v5, v4, vcc_lo
	v_cndmask_b32_e64 v5, 0, 1, vcc_lo
	s_delay_alu instid0(VALU_DEP_1)
	v_lshrrev_b64 v[0:1], v5, v[0:1]
; %bb.7394:                             ;   in Loop: Header=BB6_5167 Depth=3
	s_and_not1_saveexec_b32 s13, s13
; %bb.7395:                             ;   in Loop: Header=BB6_5167 Depth=3
	s_delay_alu instid0(VALU_DEP_1)
	v_bfe_u32 v4, v0, 23, 1
; %bb.7396:                             ;   in Loop: Header=BB6_5167 Depth=3
	s_or_b32 exec_lo, exec_lo, s13
	s_delay_alu instid0(VALU_DEP_2) | instskip(NEXT) | instid1(VALU_DEP_2)
	v_lshrrev_b64 v[0:1], 21, v[0:1]
	v_cmp_gt_i32_e32 vcc_lo, 32, v4
	v_min_i32_e32 v5, 31, v4
	v_cmp_eq_u32_e64 s13, 0, v4
	s_delay_alu instid0(VALU_DEP_4) | instskip(NEXT) | instid1(VALU_DEP_3)
	v_cndmask_b32_e32 v1, 0, v1, vcc_lo
	v_dual_cndmask_b32 v0, 3, v0 :: v_dual_lshlrev_b32 v5, 2, v5
	s_delay_alu instid0(VALU_DEP_1) | instskip(NEXT) | instid1(VALU_DEP_2)
	v_and_b32_e32 v5, 0xfc, v5
	v_cmp_eq_u64_e32 vcc_lo, 0, v[0:1]
	s_delay_alu instid0(VALU_DEP_2)
	v_and_or_b32 v0, v0, 3, v5
	s_and_b32 s13, s13, vcc_lo
	s_delay_alu instid0(VALU_DEP_1) | instid1(SALU_CYCLE_1)
	v_cndmask_b32_e64 v0, v0, 0, s13
	s_delay_alu instid0(VALU_DEP_1)
	v_or_b32_e32 v8, v0, v6
.LBB6_7397:                             ;   in Loop: Header=BB6_5167 Depth=3
	s_or_b32 exec_lo, exec_lo, s72
                                        ; implicit-def: $vgpr6
.LBB6_7398:                             ;   in Loop: Header=BB6_5167 Depth=3
	s_and_not1_saveexec_b32 s13, s43
; %bb.7399:                             ;   in Loop: Header=BB6_5167 Depth=3
	v_or_b32_e32 v8, 0x7b, v6
; %bb.7400:                             ;   in Loop: Header=BB6_5167 Depth=3
	s_or_b32 exec_lo, exec_lo, s13
                                        ; implicit-def: $vgpr4
                                        ; implicit-def: $vgpr0_vgpr1
                                        ; implicit-def: $vgpr5
.LBB6_7401:                             ;   in Loop: Header=BB6_5167 Depth=3
	s_and_not1_saveexec_b32 s13, s42
	s_cbranch_execz .LBB6_7407
; %bb.7402:                             ;   in Loop: Header=BB6_5167 Depth=3
	s_mov_b32 s42, exec_lo
                                        ; implicit-def: $vgpr8
	v_cmpx_ne_u64_e32 0, v[0:1]
	s_xor_b32 s42, exec_lo, s42
; %bb.7403:                             ;   in Loop: Header=BB6_5167 Depth=3
	v_or_b32_e32 v8, 0x7f, v5
                                        ; implicit-def: $vgpr4
; %bb.7404:                             ;   in Loop: Header=BB6_5167 Depth=3
	s_and_not1_saveexec_b32 s42, s42
; %bb.7405:                             ;   in Loop: Header=BB6_5167 Depth=3
	v_cmp_lt_i32_e32 vcc_lo, -1, v4
	v_mov_b32_e32 v0, 0x7c
	s_delay_alu instid0(VALU_DEP_1)
	v_cndmask_b32_e32 v8, 0xfc, v0, vcc_lo
; %bb.7406:                             ;   in Loop: Header=BB6_5167 Depth=3
	s_or_b32 exec_lo, exec_lo, s42
.LBB6_7407:                             ;   in Loop: Header=BB6_5167 Depth=3
	s_delay_alu instid0(SALU_CYCLE_1) | instskip(SKIP_2) | instid1(VALU_DEP_2)
	s_or_b32 exec_lo, exec_lo, s13
	v_and_b32_e32 v1, 0xff, v2
	v_mov_b32_e32 v0, 0
	v_cmp_ne_u16_e32 vcc_lo, 0, v1
	v_mov_b32_e32 v1, 0
	s_and_saveexec_b32 s42, vcc_lo
	s_cbranch_execz .LBB6_7417
; %bb.7408:                             ;   in Loop: Header=BB6_5167 Depth=3
	v_bfe_i32 v5, v2, 0, 8
	v_bfrev_b32_e32 v1, 1
	s_mov_b32 s43, exec_lo
	s_delay_alu instid0(VALU_DEP_2)
	v_cmpx_ne_u16_e32 0xff80, v5
	s_cbranch_execz .LBB6_7416
; %bb.7409:                             ;   in Loop: Header=BB6_5167 Depth=3
	v_and_b32_e32 v1, 0x7c, v2
	v_and_b32_e32 v4, 3, v2
	s_delay_alu instid0(VALU_DEP_2) | instskip(SKIP_1) | instid1(SALU_CYCLE_1)
	v_cmp_ne_u32_e32 vcc_lo, 0x7c, v1
                                        ; implicit-def: $vgpr1
	s_and_saveexec_b32 s13, vcc_lo
	s_xor_b32 s13, exec_lo, s13
	s_cbranch_execz .LBB6_7413
; %bb.7410:                             ;   in Loop: Header=BB6_5167 Depth=3
	v_bfe_u32 v1, v2, 2, 5
	s_mov_b32 s72, exec_lo
	s_delay_alu instid0(VALU_DEP_1)
	v_cmpx_eq_u32_e32 0, v1
; %bb.7411:                             ;   in Loop: Header=BB6_5167 Depth=3
	v_clz_i32_u32_e32 v1, v4
	s_delay_alu instid0(VALU_DEP_1) | instskip(NEXT) | instid1(VALU_DEP_1)
	v_min_u32_e32 v1, 32, v1
	v_subrev_nc_u32_e32 v4, 29, v1
	s_delay_alu instid0(VALU_DEP_1) | instskip(NEXT) | instid1(VALU_DEP_1)
	v_lshlrev_b64_e32 v[4:5], v4, v[2:3]
	v_dual_sub_nc_u32 v1, 30, v1 :: v_dual_bitop2_b32 v4, 3, v4 bitop3:0x40
; %bb.7412:                             ;   in Loop: Header=BB6_5167 Depth=3
	s_or_b32 exec_lo, exec_lo, s72
	v_lshlrev_b32_e32 v5, 24, v2
	s_delay_alu instid0(VALU_DEP_1) | instskip(NEXT) | instid1(VALU_DEP_1)
	v_and_b32_e32 v5, 0x80000000, v5
	v_lshl_add_u32 v1, v1, 23, v5
                                        ; implicit-def: $vgpr5
	s_delay_alu instid0(VALU_DEP_1) | instskip(NEXT) | instid1(VALU_DEP_1)
	v_lshl_or_b32 v1, v4, 21, v1
                                        ; implicit-def: $vgpr4
	v_add_nc_u32_e32 v1, 0x38000000, v1
.LBB6_7413:                             ;   in Loop: Header=BB6_5167 Depth=3
	s_and_not1_saveexec_b32 s72, s13
; %bb.7414:                             ;   in Loop: Header=BB6_5167 Depth=3
	v_cmp_lt_i16_e64 s13, -1, v5
	v_mov_b32_e32 v1, 0x7f800000
	v_cmp_eq_u32_e32 vcc_lo, 0, v4
	s_delay_alu instid0(VALU_DEP_2) | instskip(NEXT) | instid1(VALU_DEP_1)
	v_cndmask_b32_e64 v1, 0xff800000, v1, s13
	v_cndmask_b32_e32 v1, 0x7f800001, v1, vcc_lo
; %bb.7415:                             ;   in Loop: Header=BB6_5167 Depth=3
	s_or_b32 exec_lo, exec_lo, s72
.LBB6_7416:                             ;   in Loop: Header=BB6_5167 Depth=3
	s_delay_alu instid0(SALU_CYCLE_1)
	s_or_b32 exec_lo, exec_lo, s43
.LBB6_7417:                             ;   in Loop: Header=BB6_5167 Depth=3
	s_delay_alu instid0(SALU_CYCLE_1) | instskip(SKIP_2) | instid1(VALU_DEP_1)
	s_or_b32 exec_lo, exec_lo, s42
	v_and_b32_e32 v4, 0xff, v10
	s_mov_b32 s42, exec_lo
	v_cmpx_ne_u16_e32 0, v4
	s_cbranch_execz .LBB6_7427
; %bb.7418:                             ;   in Loop: Header=BB6_5167 Depth=3
	v_bfe_i32 v5, v10, 0, 8
	v_bfrev_b32_e32 v0, 1
	s_mov_b32 s43, exec_lo
	s_delay_alu instid0(VALU_DEP_2)
	v_cmpx_ne_u16_e32 0xff80, v5
	s_cbranch_execz .LBB6_7426
; %bb.7419:                             ;   in Loop: Header=BB6_5167 Depth=3
	v_and_b32_e32 v0, 0x7c, v10
	v_and_b32_e32 v4, 3, v10
	s_delay_alu instid0(VALU_DEP_2) | instskip(SKIP_1) | instid1(SALU_CYCLE_1)
	v_cmp_ne_u32_e32 vcc_lo, 0x7c, v0
                                        ; implicit-def: $vgpr0
	s_and_saveexec_b32 s13, vcc_lo
	s_xor_b32 s13, exec_lo, s13
	s_cbranch_execz .LBB6_7423
; %bb.7420:                             ;   in Loop: Header=BB6_5167 Depth=3
	v_bfe_u32 v0, v10, 2, 5
	s_mov_b32 s72, exec_lo
	s_delay_alu instid0(VALU_DEP_1)
	v_cmpx_eq_u32_e32 0, v0
; %bb.7421:                             ;   in Loop: Header=BB6_5167 Depth=3
	v_clz_i32_u32_e32 v0, v4
	s_delay_alu instid0(VALU_DEP_1) | instskip(NEXT) | instid1(VALU_DEP_1)
	v_min_u32_e32 v0, 32, v0
	v_subrev_nc_u32_e32 v4, 29, v0
	v_sub_nc_u32_e32 v0, 30, v0
	s_delay_alu instid0(VALU_DEP_2) | instskip(NEXT) | instid1(VALU_DEP_1)
	v_lshlrev_b64_e32 v[4:5], v4, v[10:11]
	v_and_b32_e32 v4, 3, v4
; %bb.7422:                             ;   in Loop: Header=BB6_5167 Depth=3
	s_or_b32 exec_lo, exec_lo, s72
	v_lshlrev_b32_e32 v5, 24, v10
	s_delay_alu instid0(VALU_DEP_1) | instskip(NEXT) | instid1(VALU_DEP_1)
	v_and_b32_e32 v5, 0x80000000, v5
	v_lshl_add_u32 v0, v0, 23, v5
                                        ; implicit-def: $vgpr5
	s_delay_alu instid0(VALU_DEP_1) | instskip(NEXT) | instid1(VALU_DEP_1)
	v_lshl_or_b32 v0, v4, 21, v0
                                        ; implicit-def: $vgpr4
	v_add_nc_u32_e32 v0, 0x38000000, v0
.LBB6_7423:                             ;   in Loop: Header=BB6_5167 Depth=3
	s_and_not1_saveexec_b32 s72, s13
; %bb.7424:                             ;   in Loop: Header=BB6_5167 Depth=3
	v_cmp_lt_i16_e64 s13, -1, v5
	v_mov_b32_e32 v0, 0x7f800000
	v_cmp_eq_u32_e32 vcc_lo, 0, v4
	s_delay_alu instid0(VALU_DEP_2) | instskip(NEXT) | instid1(VALU_DEP_1)
	v_cndmask_b32_e64 v0, 0xff800000, v0, s13
	v_cndmask_b32_e32 v0, 0x7f800001, v0, vcc_lo
; %bb.7425:                             ;   in Loop: Header=BB6_5167 Depth=3
	s_or_b32 exec_lo, exec_lo, s72
.LBB6_7426:                             ;   in Loop: Header=BB6_5167 Depth=3
	s_delay_alu instid0(SALU_CYCLE_1)
	s_or_b32 exec_lo, exec_lo, s43
.LBB6_7427:                             ;   in Loop: Header=BB6_5167 Depth=3
	s_delay_alu instid0(SALU_CYCLE_1) | instskip(NEXT) | instid1(VALU_DEP_1)
	s_or_b32 exec_lo, exec_lo, s42
	v_mul_f32_e32 v4, v1, v0
	v_dual_mov_b32 v7, v21 :: v_dual_mov_b32 v1, v21
                                        ; implicit-def: $vgpr9
	s_mov_b32 s13, exec_lo
	s_delay_alu instid0(VALU_DEP_2) | instskip(SKIP_2) | instid1(VALU_DEP_3)
	v_and_b32_e32 v6, 0x7f800000, v4
	v_and_b32_e32 v0, 0x7fffff, v4
	v_lshrrev_b32_e32 v5, 24, v4
	v_cmpx_ne_u64_e32 0x7f800000, v[6:7]
	s_xor_b32 s42, exec_lo, s13
	s_cbranch_execz .LBB6_7441
; %bb.7428:                             ;   in Loop: Header=BB6_5167 Depth=3
	v_and_b32_e32 v6, 0x7fffffff, v4
	v_mov_b32_e32 v7, v21
                                        ; implicit-def: $vgpr9
	s_delay_alu instid0(VALU_DEP_1) | instskip(SKIP_2) | instid1(SALU_CYCLE_1)
	v_cmp_gt_u64_e32 vcc_lo, 0x47600001, v[6:7]
	v_and_b32_e32 v6, 0x80, v5
	s_and_saveexec_b32 s13, vcc_lo
	s_xor_b32 s43, exec_lo, s13
	s_cbranch_execz .LBB6_7438
; %bb.7429:                             ;   in Loop: Header=BB6_5167 Depth=3
	v_mov_b32_e32 v9, 0
	s_mov_b32 s72, exec_lo
	v_cmpx_ne_u32_e32 0, v4
	s_cbranch_execz .LBB6_7437
; %bb.7430:                             ;   in Loop: Header=BB6_5167 Depth=3
	v_bfe_u32 v7, v4, 23, 8
	v_or_b32_e32 v5, 0x800000, v0
	s_delay_alu instid0(VALU_DEP_2) | instskip(SKIP_2) | instid1(VALU_DEP_2)
	v_cmp_gt_u32_e64 s13, 0x72, v7
	v_sub_nc_u32_e32 v4, 0x71, v7
	v_cmp_eq_u32_e32 vcc_lo, 0, v7
	v_cndmask_b32_e64 v4, 0, v4, s13
	s_delay_alu instid0(VALU_DEP_1) | instskip(NEXT) | instid1(VALU_DEP_1)
	v_cndmask_b32_e64 v9, v4, 0x70, vcc_lo
	v_dual_cndmask_b32 v0, v5, v0, vcc_lo :: v_dual_add_nc_u32 v4, 21, v9
	v_add_nc_u32_e32 v102, 20, v9
	s_delay_alu instid0(VALU_DEP_2) | instskip(NEXT) | instid1(VALU_DEP_2)
	v_lshlrev_b64_e64 v[4:5], v4, -1
	v_lshlrev_b64_e64 v[102:103], v102, 1
	s_delay_alu instid0(VALU_DEP_2) | instskip(SKIP_1) | instid1(VALU_DEP_4)
	v_bfi_b32 v4, v4, 0, v0
	v_lshrrev_b64 v[0:1], v9, v[0:1]
	v_bfi_b32 v5, v5, 0, 0
	s_delay_alu instid0(VALU_DEP_1) | instskip(NEXT) | instid1(VALU_DEP_3)
	v_cmp_eq_u64_e64 s13, v[4:5], v[102:103]
	v_mov_b64_e32 v[4:5], v[0:1]
	s_and_saveexec_b32 s73, s13
; %bb.7431:                             ;   in Loop: Header=BB6_5167 Depth=3
	v_bfe_u32 v4, v0, 21, 1
	v_mov_b32_e32 v5, v21
	s_delay_alu instid0(VALU_DEP_1) | instskip(NEXT) | instid1(VALU_DEP_1)
	v_add_nc_u64_e32 v[4:5], v[0:1], v[4:5]
	v_add_nc_u64_e32 v[4:5], -1, v[4:5]
; %bb.7432:                             ;   in Loop: Header=BB6_5167 Depth=3
	s_or_b32 exec_lo, exec_lo, s73
	v_add_nc_u32_e32 v1, 0xffffff81, v7
	v_lshrrev_b32_e32 v5, 23, v0
	s_mov_b32 s13, exec_lo
	s_delay_alu instid0(VALU_DEP_2) | instskip(NEXT) | instid1(VALU_DEP_1)
	v_cndmask_b32_e64 v1, v1, 0xffffff82, vcc_lo
	v_add3_u32 v7, v9, v1, v5
	v_and_b32_e32 v1, 0x1fffff, v4
                                        ; implicit-def: $vgpr4
	s_delay_alu instid0(VALU_DEP_1) | instskip(SKIP_1) | instid1(VALU_DEP_2)
	v_dual_add_nc_u32 v5, 14, v7 :: v_dual_add_nc_u32 v0, v1, v0
	v_mov_b32_e32 v1, v21
	v_cmpx_ne_u32_e32 0, v5
	s_xor_b32 s13, exec_lo, s13
; %bb.7433:                             ;   in Loop: Header=BB6_5167 Depth=3
	s_delay_alu instid0(VALU_DEP_2) | instskip(SKIP_1) | instid1(VALU_DEP_1)
	v_cmp_lt_u64_e32 vcc_lo, 0xffffff, v[0:1]
	v_add_nc_u32_e32 v4, 15, v7
	v_cndmask_b32_e32 v4, v5, v4, vcc_lo
	v_cndmask_b32_e64 v5, 0, 1, vcc_lo
	s_delay_alu instid0(VALU_DEP_1)
	v_lshrrev_b64 v[0:1], v5, v[0:1]
; %bb.7434:                             ;   in Loop: Header=BB6_5167 Depth=3
	s_and_not1_saveexec_b32 s13, s13
; %bb.7435:                             ;   in Loop: Header=BB6_5167 Depth=3
	s_delay_alu instid0(VALU_DEP_1)
	v_bfe_u32 v4, v0, 23, 1
; %bb.7436:                             ;   in Loop: Header=BB6_5167 Depth=3
	s_or_b32 exec_lo, exec_lo, s13
	s_delay_alu instid0(VALU_DEP_2) | instskip(NEXT) | instid1(VALU_DEP_2)
	v_lshrrev_b64 v[0:1], 21, v[0:1]
	v_cmp_gt_i32_e32 vcc_lo, 32, v4
	v_min_i32_e32 v5, 31, v4
	v_cmp_eq_u32_e64 s13, 0, v4
	s_delay_alu instid0(VALU_DEP_4) | instskip(NEXT) | instid1(VALU_DEP_3)
	v_cndmask_b32_e32 v1, 0, v1, vcc_lo
	v_dual_cndmask_b32 v0, 3, v0 :: v_dual_lshlrev_b32 v5, 2, v5
	s_delay_alu instid0(VALU_DEP_1) | instskip(NEXT) | instid1(VALU_DEP_2)
	v_and_b32_e32 v5, 0xfc, v5
	v_cmp_eq_u64_e32 vcc_lo, 0, v[0:1]
	s_delay_alu instid0(VALU_DEP_2)
	v_and_or_b32 v0, v0, 3, v5
	s_and_b32 s13, s13, vcc_lo
	s_delay_alu instid0(VALU_DEP_1) | instid1(SALU_CYCLE_1)
	v_cndmask_b32_e64 v0, v0, 0, s13
	s_delay_alu instid0(VALU_DEP_1)
	v_or_b32_e32 v9, v0, v6
.LBB6_7437:                             ;   in Loop: Header=BB6_5167 Depth=3
	s_or_b32 exec_lo, exec_lo, s72
                                        ; implicit-def: $vgpr6
.LBB6_7438:                             ;   in Loop: Header=BB6_5167 Depth=3
	s_and_not1_saveexec_b32 s13, s43
; %bb.7439:                             ;   in Loop: Header=BB6_5167 Depth=3
	v_or_b32_e32 v9, 0x7b, v6
; %bb.7440:                             ;   in Loop: Header=BB6_5167 Depth=3
	s_or_b32 exec_lo, exec_lo, s13
                                        ; implicit-def: $vgpr4
                                        ; implicit-def: $vgpr0_vgpr1
                                        ; implicit-def: $vgpr5
.LBB6_7441:                             ;   in Loop: Header=BB6_5167 Depth=3
	s_and_not1_saveexec_b32 s13, s42
	s_cbranch_execz .LBB6_7447
; %bb.7442:                             ;   in Loop: Header=BB6_5167 Depth=3
	s_mov_b32 s42, exec_lo
                                        ; implicit-def: $vgpr9
	v_cmpx_ne_u64_e32 0, v[0:1]
	s_xor_b32 s42, exec_lo, s42
; %bb.7443:                             ;   in Loop: Header=BB6_5167 Depth=3
	v_or_b32_e32 v9, 0x7f, v5
                                        ; implicit-def: $vgpr4
; %bb.7444:                             ;   in Loop: Header=BB6_5167 Depth=3
	s_and_not1_saveexec_b32 s42, s42
; %bb.7445:                             ;   in Loop: Header=BB6_5167 Depth=3
	v_cmp_lt_i32_e32 vcc_lo, -1, v4
	v_mov_b32_e32 v0, 0x7c
	s_delay_alu instid0(VALU_DEP_1)
	v_cndmask_b32_e32 v9, 0xfc, v0, vcc_lo
; %bb.7446:                             ;   in Loop: Header=BB6_5167 Depth=3
	s_or_b32 exec_lo, exec_lo, s42
.LBB6_7447:                             ;   in Loop: Header=BB6_5167 Depth=3
	s_delay_alu instid0(SALU_CYCLE_1) | instskip(SKIP_3) | instid1(VALU_DEP_2)
	s_or_b32 exec_lo, exec_lo, s13
	v_lshrrev_b16 v0, 8, v2
	v_dual_mov_b32 v4, 0 :: v_dual_mov_b32 v5, 0
	s_mov_b32 s42, exec_lo
	v_cmpx_ne_u16_e32 0, v0
	s_cbranch_execz .LBB6_7457
; %bb.7448:                             ;   in Loop: Header=BB6_5167 Depth=3
	v_bfrev_b32_e32 v5, 1
	s_mov_b32 s43, exec_lo
	v_cmpx_ne_u16_e32 0x80, v0
	s_cbranch_execz .LBB6_7456
; %bb.7449:                             ;   in Loop: Header=BB6_5167 Depth=3
	v_and_b32_e32 v6, 0xffff, v0
	s_delay_alu instid0(VALU_DEP_1) | instskip(SKIP_1) | instid1(VALU_DEP_2)
	v_and_b32_e32 v5, 0x7c, v6
	v_and_b32_e32 v1, 3, v6
	v_cmp_ne_u32_e32 vcc_lo, 0x7c, v5
                                        ; implicit-def: $vgpr5
	s_and_saveexec_b32 s13, vcc_lo
	s_delay_alu instid0(SALU_CYCLE_1)
	s_xor_b32 s13, exec_lo, s13
	s_cbranch_execz .LBB6_7453
; %bb.7450:                             ;   in Loop: Header=BB6_5167 Depth=3
	v_bfe_u32 v5, v6, 2, 5
	s_mov_b32 s72, exec_lo
	s_delay_alu instid0(VALU_DEP_1)
	v_cmpx_eq_u32_e32 0, v5
	s_cbranch_execz .LBB6_7452
; %bb.7451:                             ;   in Loop: Header=BB6_5167 Depth=3
	v_clz_i32_u32_e32 v1, v1
	s_delay_alu instid0(VALU_DEP_1) | instskip(SKIP_1) | instid1(VALU_DEP_2)
	v_min_u32_e32 v5, 32, v1
	v_mov_b32_e32 v1, v21
	v_subrev_nc_u32_e32 v6, 29, v5
	v_sub_nc_u32_e32 v5, 30, v5
	s_delay_alu instid0(VALU_DEP_2) | instskip(NEXT) | instid1(VALU_DEP_1)
	v_lshlrev_b64_e32 v[0:1], v6, v[0:1]
	v_and_b32_e32 v1, 3, v0
.LBB6_7452:                             ;   in Loop: Header=BB6_5167 Depth=3
	s_or_b32 exec_lo, exec_lo, s72
	v_lshlrev_b32_e32 v0, 16, v2
	s_delay_alu instid0(VALU_DEP_1) | instskip(NEXT) | instid1(VALU_DEP_1)
	v_and_b32_e32 v0, 0x80000000, v0
	v_lshl_add_u32 v0, v5, 23, v0
	s_delay_alu instid0(VALU_DEP_1) | instskip(NEXT) | instid1(VALU_DEP_1)
	v_lshl_or_b32 v0, v1, 21, v0
                                        ; implicit-def: $vgpr1
	v_add_nc_u32_e32 v5, 0x38000000, v0
.LBB6_7453:                             ;   in Loop: Header=BB6_5167 Depth=3
	s_and_not1_saveexec_b32 s72, s13
; %bb.7454:                             ;   in Loop: Header=BB6_5167 Depth=3
	v_cmp_lt_i16_e64 s13, -1, v2
	v_mov_b32_e32 v0, 0x7f800000
	v_cmp_eq_u32_e32 vcc_lo, 0, v1
	s_delay_alu instid0(VALU_DEP_2) | instskip(NEXT) | instid1(VALU_DEP_1)
	v_cndmask_b32_e64 v0, 0xff800000, v0, s13
	v_cndmask_b32_e32 v5, 0x7f800001, v0, vcc_lo
; %bb.7455:                             ;   in Loop: Header=BB6_5167 Depth=3
	s_or_b32 exec_lo, exec_lo, s72
.LBB6_7456:                             ;   in Loop: Header=BB6_5167 Depth=3
	s_delay_alu instid0(SALU_CYCLE_1)
	s_or_b32 exec_lo, exec_lo, s43
.LBB6_7457:                             ;   in Loop: Header=BB6_5167 Depth=3
	s_delay_alu instid0(SALU_CYCLE_1) | instskip(SKIP_2) | instid1(VALU_DEP_1)
	s_or_b32 exec_lo, exec_lo, s42
	v_lshrrev_b16 v0, 8, v10
	s_mov_b32 s42, exec_lo
	v_cmpx_ne_u16_e32 0, v0
	s_cbranch_execz .LBB6_7467
; %bb.7458:                             ;   in Loop: Header=BB6_5167 Depth=3
	v_bfrev_b32_e32 v4, 1
	s_mov_b32 s43, exec_lo
	v_cmpx_ne_u16_e32 0x80, v0
	s_cbranch_execz .LBB6_7466
; %bb.7459:                             ;   in Loop: Header=BB6_5167 Depth=3
	v_and_b32_e32 v6, 0xffff, v0
	s_delay_alu instid0(VALU_DEP_1) | instskip(SKIP_1) | instid1(VALU_DEP_2)
	v_and_b32_e32 v4, 0x7c, v6
	v_and_b32_e32 v1, 3, v6
	v_cmp_ne_u32_e32 vcc_lo, 0x7c, v4
                                        ; implicit-def: $vgpr4
	s_and_saveexec_b32 s13, vcc_lo
	s_delay_alu instid0(SALU_CYCLE_1)
	s_xor_b32 s13, exec_lo, s13
	s_cbranch_execz .LBB6_7463
; %bb.7460:                             ;   in Loop: Header=BB6_5167 Depth=3
	v_bfe_u32 v4, v6, 2, 5
	s_mov_b32 s72, exec_lo
	s_delay_alu instid0(VALU_DEP_1)
	v_cmpx_eq_u32_e32 0, v4
	s_cbranch_execz .LBB6_7462
; %bb.7461:                             ;   in Loop: Header=BB6_5167 Depth=3
	v_clz_i32_u32_e32 v1, v1
	s_delay_alu instid0(VALU_DEP_1) | instskip(SKIP_1) | instid1(VALU_DEP_2)
	v_min_u32_e32 v4, 32, v1
	v_mov_b32_e32 v1, v21
	v_subrev_nc_u32_e32 v6, 29, v4
	v_sub_nc_u32_e32 v4, 30, v4
	s_delay_alu instid0(VALU_DEP_2) | instskip(NEXT) | instid1(VALU_DEP_1)
	v_lshlrev_b64_e32 v[0:1], v6, v[0:1]
	v_and_b32_e32 v1, 3, v0
.LBB6_7462:                             ;   in Loop: Header=BB6_5167 Depth=3
	s_or_b32 exec_lo, exec_lo, s72
	v_lshlrev_b32_e32 v0, 16, v10
	s_delay_alu instid0(VALU_DEP_1) | instskip(NEXT) | instid1(VALU_DEP_1)
	v_and_b32_e32 v0, 0x80000000, v0
	v_lshl_add_u32 v0, v4, 23, v0
	s_delay_alu instid0(VALU_DEP_1) | instskip(NEXT) | instid1(VALU_DEP_1)
	v_lshl_or_b32 v0, v1, 21, v0
                                        ; implicit-def: $vgpr1
	v_add_nc_u32_e32 v4, 0x38000000, v0
.LBB6_7463:                             ;   in Loop: Header=BB6_5167 Depth=3
	s_and_not1_saveexec_b32 s72, s13
; %bb.7464:                             ;   in Loop: Header=BB6_5167 Depth=3
	v_cmp_lt_i16_e64 s13, -1, v10
	v_mov_b32_e32 v0, 0x7f800000
	v_cmp_eq_u32_e32 vcc_lo, 0, v1
	s_delay_alu instid0(VALU_DEP_2) | instskip(NEXT) | instid1(VALU_DEP_1)
	v_cndmask_b32_e64 v0, 0xff800000, v0, s13
	v_cndmask_b32_e32 v4, 0x7f800001, v0, vcc_lo
; %bb.7465:                             ;   in Loop: Header=BB6_5167 Depth=3
	s_or_b32 exec_lo, exec_lo, s72
.LBB6_7466:                             ;   in Loop: Header=BB6_5167 Depth=3
	s_delay_alu instid0(SALU_CYCLE_1)
	s_or_b32 exec_lo, exec_lo, s43
.LBB6_7467:                             ;   in Loop: Header=BB6_5167 Depth=3
	s_delay_alu instid0(SALU_CYCLE_1) | instskip(NEXT) | instid1(VALU_DEP_1)
	s_or_b32 exec_lo, exec_lo, s42
	v_mul_f32_e32 v4, v5, v4
	v_dual_mov_b32 v7, v21 :: v_dual_mov_b32 v1, v21
                                        ; implicit-def: $vgpr102
	s_mov_b32 s13, exec_lo
	s_delay_alu instid0(VALU_DEP_2) | instskip(SKIP_2) | instid1(VALU_DEP_3)
	v_and_b32_e32 v6, 0x7f800000, v4
	v_and_b32_e32 v0, 0x7fffff, v4
	v_lshrrev_b32_e32 v5, 24, v4
	v_cmpx_ne_u64_e32 0x7f800000, v[6:7]
	s_xor_b32 s42, exec_lo, s13
	s_cbranch_execz .LBB6_7481
; %bb.7468:                             ;   in Loop: Header=BB6_5167 Depth=3
	v_and_b32_e32 v6, 0x7fffffff, v4
	v_mov_b32_e32 v7, v21
                                        ; implicit-def: $vgpr102
	s_delay_alu instid0(VALU_DEP_1) | instskip(SKIP_2) | instid1(SALU_CYCLE_1)
	v_cmp_gt_u64_e32 vcc_lo, 0x47600001, v[6:7]
	v_and_b32_e32 v6, 0x80, v5
	s_and_saveexec_b32 s13, vcc_lo
	s_xor_b32 s43, exec_lo, s13
	s_cbranch_execz .LBB6_7478
; %bb.7469:                             ;   in Loop: Header=BB6_5167 Depth=3
	v_mov_b32_e32 v102, 0
	s_mov_b32 s72, exec_lo
	v_cmpx_ne_u32_e32 0, v4
	s_cbranch_execz .LBB6_7477
; %bb.7470:                             ;   in Loop: Header=BB6_5167 Depth=3
	v_bfe_u32 v7, v4, 23, 8
	v_or_b32_e32 v5, 0x800000, v0
	s_delay_alu instid0(VALU_DEP_2) | instskip(SKIP_2) | instid1(VALU_DEP_2)
	v_cmp_gt_u32_e64 s13, 0x72, v7
	v_sub_nc_u32_e32 v4, 0x71, v7
	v_cmp_eq_u32_e32 vcc_lo, 0, v7
	v_cndmask_b32_e64 v4, 0, v4, s13
	s_delay_alu instid0(VALU_DEP_1) | instskip(NEXT) | instid1(VALU_DEP_1)
	v_cndmask_b32_e64 v102, v4, 0x70, vcc_lo
	v_dual_cndmask_b32 v0, v5, v0, vcc_lo :: v_dual_add_nc_u32 v4, 21, v102
	v_add_nc_u32_e32 v103, 20, v102
	s_delay_alu instid0(VALU_DEP_2) | instskip(NEXT) | instid1(VALU_DEP_2)
	v_lshlrev_b64_e64 v[4:5], v4, -1
	v_lshlrev_b64_e64 v[112:113], v103, 1
	s_delay_alu instid0(VALU_DEP_2) | instskip(SKIP_1) | instid1(VALU_DEP_4)
	v_bfi_b32 v4, v4, 0, v0
	v_lshrrev_b64 v[0:1], v102, v[0:1]
	v_bfi_b32 v5, v5, 0, 0
	s_delay_alu instid0(VALU_DEP_1) | instskip(NEXT) | instid1(VALU_DEP_3)
	v_cmp_eq_u64_e64 s13, v[4:5], v[112:113]
	v_mov_b64_e32 v[4:5], v[0:1]
	s_and_saveexec_b32 s73, s13
; %bb.7471:                             ;   in Loop: Header=BB6_5167 Depth=3
	v_bfe_u32 v4, v0, 21, 1
	v_mov_b32_e32 v5, v21
	s_delay_alu instid0(VALU_DEP_1) | instskip(NEXT) | instid1(VALU_DEP_1)
	v_add_nc_u64_e32 v[4:5], v[0:1], v[4:5]
	v_add_nc_u64_e32 v[4:5], -1, v[4:5]
; %bb.7472:                             ;   in Loop: Header=BB6_5167 Depth=3
	s_or_b32 exec_lo, exec_lo, s73
	v_add_nc_u32_e32 v1, 0xffffff81, v7
	v_lshrrev_b32_e32 v5, 23, v0
	s_mov_b32 s13, exec_lo
	s_delay_alu instid0(VALU_DEP_2) | instskip(NEXT) | instid1(VALU_DEP_1)
	v_cndmask_b32_e64 v1, v1, 0xffffff82, vcc_lo
	v_add3_u32 v7, v102, v1, v5
	v_and_b32_e32 v1, 0x1fffff, v4
                                        ; implicit-def: $vgpr4
	s_delay_alu instid0(VALU_DEP_1) | instskip(SKIP_1) | instid1(VALU_DEP_2)
	v_dual_add_nc_u32 v5, 14, v7 :: v_dual_add_nc_u32 v0, v1, v0
	v_mov_b32_e32 v1, v21
	v_cmpx_ne_u32_e32 0, v5
	s_xor_b32 s13, exec_lo, s13
; %bb.7473:                             ;   in Loop: Header=BB6_5167 Depth=3
	s_delay_alu instid0(VALU_DEP_2) | instskip(SKIP_1) | instid1(VALU_DEP_1)
	v_cmp_lt_u64_e32 vcc_lo, 0xffffff, v[0:1]
	v_add_nc_u32_e32 v4, 15, v7
	v_cndmask_b32_e32 v4, v5, v4, vcc_lo
	v_cndmask_b32_e64 v5, 0, 1, vcc_lo
	s_delay_alu instid0(VALU_DEP_1)
	v_lshrrev_b64 v[0:1], v5, v[0:1]
; %bb.7474:                             ;   in Loop: Header=BB6_5167 Depth=3
	s_and_not1_saveexec_b32 s13, s13
; %bb.7475:                             ;   in Loop: Header=BB6_5167 Depth=3
	s_delay_alu instid0(VALU_DEP_1)
	v_bfe_u32 v4, v0, 23, 1
; %bb.7476:                             ;   in Loop: Header=BB6_5167 Depth=3
	s_or_b32 exec_lo, exec_lo, s13
	s_delay_alu instid0(VALU_DEP_2) | instskip(NEXT) | instid1(VALU_DEP_2)
	v_lshrrev_b64 v[0:1], 21, v[0:1]
	v_cmp_gt_i32_e32 vcc_lo, 32, v4
	v_min_i32_e32 v5, 31, v4
	v_cmp_eq_u32_e64 s13, 0, v4
	s_delay_alu instid0(VALU_DEP_4) | instskip(NEXT) | instid1(VALU_DEP_3)
	v_cndmask_b32_e32 v1, 0, v1, vcc_lo
	v_dual_cndmask_b32 v0, 3, v0 :: v_dual_lshlrev_b32 v5, 2, v5
	s_delay_alu instid0(VALU_DEP_1) | instskip(NEXT) | instid1(VALU_DEP_2)
	v_and_b32_e32 v5, 0xfc, v5
	v_cmp_eq_u64_e32 vcc_lo, 0, v[0:1]
	s_delay_alu instid0(VALU_DEP_2)
	v_and_or_b32 v0, v0, 3, v5
	s_and_b32 s13, s13, vcc_lo
	s_delay_alu instid0(VALU_DEP_1) | instid1(SALU_CYCLE_1)
	v_cndmask_b32_e64 v0, v0, 0, s13
	s_delay_alu instid0(VALU_DEP_1)
	v_or_b32_e32 v102, v0, v6
.LBB6_7477:                             ;   in Loop: Header=BB6_5167 Depth=3
	s_or_b32 exec_lo, exec_lo, s72
                                        ; implicit-def: $vgpr6
.LBB6_7478:                             ;   in Loop: Header=BB6_5167 Depth=3
	s_and_not1_saveexec_b32 s13, s43
; %bb.7479:                             ;   in Loop: Header=BB6_5167 Depth=3
	v_or_b32_e32 v102, 0x7b, v6
; %bb.7480:                             ;   in Loop: Header=BB6_5167 Depth=3
	s_or_b32 exec_lo, exec_lo, s13
                                        ; implicit-def: $vgpr4
                                        ; implicit-def: $vgpr0_vgpr1
                                        ; implicit-def: $vgpr5
.LBB6_7481:                             ;   in Loop: Header=BB6_5167 Depth=3
	s_and_not1_saveexec_b32 s13, s42
	s_cbranch_execz .LBB6_7487
; %bb.7482:                             ;   in Loop: Header=BB6_5167 Depth=3
	s_mov_b32 s42, exec_lo
                                        ; implicit-def: $vgpr102
	v_cmpx_ne_u64_e32 0, v[0:1]
	s_xor_b32 s42, exec_lo, s42
; %bb.7483:                             ;   in Loop: Header=BB6_5167 Depth=3
	v_or_b32_e32 v102, 0x7f, v5
                                        ; implicit-def: $vgpr4
; %bb.7484:                             ;   in Loop: Header=BB6_5167 Depth=3
	s_and_not1_saveexec_b32 s42, s42
; %bb.7485:                             ;   in Loop: Header=BB6_5167 Depth=3
	v_cmp_lt_i32_e32 vcc_lo, -1, v4
	v_mov_b32_e32 v0, 0x7c
	s_delay_alu instid0(VALU_DEP_1)
	v_cndmask_b32_e32 v102, 0xfc, v0, vcc_lo
; %bb.7486:                             ;   in Loop: Header=BB6_5167 Depth=3
	s_or_b32 exec_lo, exec_lo, s42
.LBB6_7487:                             ;   in Loop: Header=BB6_5167 Depth=3
	s_delay_alu instid0(SALU_CYCLE_1) | instskip(SKIP_3) | instid1(VALU_DEP_2)
	s_or_b32 exec_lo, exec_lo, s13
	v_dual_mov_b32 v1, 0 :: v_dual_lshrrev_b32 v0, 16, v2
	v_mov_b32_e32 v4, 0
	s_mov_b32 s42, exec_lo
	v_and_b32_e32 v5, 0xff, v0
	s_delay_alu instid0(VALU_DEP_1)
	v_cmpx_ne_u16_e32 0, v5
	s_cbranch_execz .LBB6_7497
; %bb.7488:                             ;   in Loop: Header=BB6_5167 Depth=3
	v_bfrev_b32_e32 v4, 1
	s_mov_b32 s43, exec_lo
	v_cmpx_ne_u16_e32 0x80, v5
	s_cbranch_execz .LBB6_7496
; %bb.7489:                             ;   in Loop: Header=BB6_5167 Depth=3
	v_and_b32_e32 v4, 0x7c0000, v2
	v_bfe_u32 v5, v2, 16, 2
	s_delay_alu instid0(VALU_DEP_2) | instskip(SKIP_1) | instid1(SALU_CYCLE_1)
	v_cmp_ne_u32_e32 vcc_lo, 0x7c0000, v4
                                        ; implicit-def: $vgpr4
	s_and_saveexec_b32 s13, vcc_lo
	s_xor_b32 s13, exec_lo, s13
	s_cbranch_execz .LBB6_7493
; %bb.7490:                             ;   in Loop: Header=BB6_5167 Depth=3
	v_bfe_u32 v4, v2, 18, 5
	s_mov_b32 s72, exec_lo
	s_delay_alu instid0(VALU_DEP_1)
	v_cmpx_eq_u32_e32 0, v4
; %bb.7491:                             ;   in Loop: Header=BB6_5167 Depth=3
	v_clz_i32_u32_e32 v4, v5
	s_delay_alu instid0(VALU_DEP_1) | instskip(NEXT) | instid1(VALU_DEP_1)
	v_min_u32_e32 v4, 32, v4
	v_subrev_nc_u32_e32 v5, 29, v4
	s_delay_alu instid0(VALU_DEP_1) | instskip(NEXT) | instid1(VALU_DEP_1)
	v_lshlrev_b64_e32 v[6:7], v5, v[0:1]
	v_dual_sub_nc_u32 v4, 30, v4 :: v_dual_bitop2_b32 v5, 3, v6 bitop3:0x40
; %bb.7492:                             ;   in Loop: Header=BB6_5167 Depth=3
	s_or_b32 exec_lo, exec_lo, s72
	v_lshlrev_b32_e32 v0, 24, v0
	s_delay_alu instid0(VALU_DEP_1) | instskip(NEXT) | instid1(VALU_DEP_1)
	v_and_b32_e32 v0, 0x80000000, v0
	v_lshl_add_u32 v0, v4, 23, v0
	s_delay_alu instid0(VALU_DEP_1) | instskip(NEXT) | instid1(VALU_DEP_1)
	v_lshl_or_b32 v0, v5, 21, v0
                                        ; implicit-def: $vgpr5
	v_add_nc_u32_e32 v4, 0x38000000, v0
                                        ; implicit-def: $vgpr0
.LBB6_7493:                             ;   in Loop: Header=BB6_5167 Depth=3
	s_and_not1_saveexec_b32 s72, s13
; %bb.7494:                             ;   in Loop: Header=BB6_5167 Depth=3
	v_bfe_i32 v0, v0, 0, 8
	v_cmp_eq_u32_e32 vcc_lo, 0, v5
	s_delay_alu instid0(VALU_DEP_2) | instskip(SKIP_1) | instid1(VALU_DEP_1)
	v_cmp_lt_i16_e64 s13, -1, v0
	v_mov_b32_e32 v0, 0x7f800000
	v_cndmask_b32_e64 v0, 0xff800000, v0, s13
	s_delay_alu instid0(VALU_DEP_1)
	v_cndmask_b32_e32 v4, 0x7f800001, v0, vcc_lo
; %bb.7495:                             ;   in Loop: Header=BB6_5167 Depth=3
	s_or_b32 exec_lo, exec_lo, s72
.LBB6_7496:                             ;   in Loop: Header=BB6_5167 Depth=3
	s_delay_alu instid0(SALU_CYCLE_1)
	s_or_b32 exec_lo, exec_lo, s43
.LBB6_7497:                             ;   in Loop: Header=BB6_5167 Depth=3
	s_delay_alu instid0(SALU_CYCLE_1) | instskip(SKIP_2) | instid1(VALU_DEP_1)
	s_or_b32 exec_lo, exec_lo, s42
	v_lshrrev_b32_e32 v0, 16, v10
	s_mov_b32 s42, exec_lo
	v_and_b32_e32 v5, 0xff, v0
	s_delay_alu instid0(VALU_DEP_1)
	v_cmpx_ne_u16_e32 0, v5
	s_cbranch_execz .LBB6_7507
; %bb.7498:                             ;   in Loop: Header=BB6_5167 Depth=3
	v_bfrev_b32_e32 v1, 1
	s_mov_b32 s43, exec_lo
	v_cmpx_ne_u16_e32 0x80, v5
	s_cbranch_execz .LBB6_7506
; %bb.7499:                             ;   in Loop: Header=BB6_5167 Depth=3
	v_and_b32_e32 v1, 0x7c0000, v10
	v_bfe_u32 v5, v10, 16, 2
	s_delay_alu instid0(VALU_DEP_2) | instskip(SKIP_1) | instid1(SALU_CYCLE_1)
	v_cmp_ne_u32_e32 vcc_lo, 0x7c0000, v1
                                        ; implicit-def: $vgpr1
	s_and_saveexec_b32 s13, vcc_lo
	s_xor_b32 s13, exec_lo, s13
	s_cbranch_execz .LBB6_7503
; %bb.7500:                             ;   in Loop: Header=BB6_5167 Depth=3
	v_bfe_u32 v1, v10, 18, 5
	s_mov_b32 s72, exec_lo
	s_delay_alu instid0(VALU_DEP_1)
	v_cmpx_eq_u32_e32 0, v1
; %bb.7501:                             ;   in Loop: Header=BB6_5167 Depth=3
	v_clz_i32_u32_e32 v1, v5
	s_delay_alu instid0(VALU_DEP_1) | instskip(NEXT) | instid1(VALU_DEP_1)
	v_min_u32_e32 v1, 32, v1
	v_subrev_nc_u32_e32 v5, 29, v1
	s_delay_alu instid0(VALU_DEP_1) | instskip(NEXT) | instid1(VALU_DEP_1)
	v_lshlrev_b64_e32 v[6:7], v5, v[0:1]
	v_dual_sub_nc_u32 v1, 30, v1 :: v_dual_bitop2_b32 v5, 3, v6 bitop3:0x40
; %bb.7502:                             ;   in Loop: Header=BB6_5167 Depth=3
	s_or_b32 exec_lo, exec_lo, s72
	v_lshlrev_b32_e32 v0, 24, v0
	s_delay_alu instid0(VALU_DEP_1) | instskip(NEXT) | instid1(VALU_DEP_1)
	v_and_b32_e32 v0, 0x80000000, v0
	v_lshl_add_u32 v0, v1, 23, v0
	s_delay_alu instid0(VALU_DEP_1) | instskip(NEXT) | instid1(VALU_DEP_1)
	v_lshl_or_b32 v0, v5, 21, v0
                                        ; implicit-def: $vgpr5
	v_add_nc_u32_e32 v1, 0x38000000, v0
                                        ; implicit-def: $vgpr0
.LBB6_7503:                             ;   in Loop: Header=BB6_5167 Depth=3
	s_and_not1_saveexec_b32 s72, s13
; %bb.7504:                             ;   in Loop: Header=BB6_5167 Depth=3
	v_bfe_i32 v0, v0, 0, 8
	v_cmp_eq_u32_e32 vcc_lo, 0, v5
	s_delay_alu instid0(VALU_DEP_2) | instskip(SKIP_1) | instid1(VALU_DEP_1)
	v_cmp_lt_i16_e64 s13, -1, v0
	v_mov_b32_e32 v0, 0x7f800000
	v_cndmask_b32_e64 v0, 0xff800000, v0, s13
	s_delay_alu instid0(VALU_DEP_1)
	v_cndmask_b32_e32 v1, 0x7f800001, v0, vcc_lo
; %bb.7505:                             ;   in Loop: Header=BB6_5167 Depth=3
	s_or_b32 exec_lo, exec_lo, s72
.LBB6_7506:                             ;   in Loop: Header=BB6_5167 Depth=3
	s_delay_alu instid0(SALU_CYCLE_1)
	s_or_b32 exec_lo, exec_lo, s43
.LBB6_7507:                             ;   in Loop: Header=BB6_5167 Depth=3
	s_delay_alu instid0(SALU_CYCLE_1) | instskip(NEXT) | instid1(VALU_DEP_1)
	s_or_b32 exec_lo, exec_lo, s42
	v_dual_mul_f32 v4, v4, v1 :: v_dual_mov_b32 v7, v21
	v_mov_b32_e32 v1, v21
                                        ; implicit-def: $vgpr103
	s_mov_b32 s13, exec_lo
	s_delay_alu instid0(VALU_DEP_2) | instskip(SKIP_2) | instid1(VALU_DEP_3)
	v_and_b32_e32 v6, 0x7f800000, v4
	v_and_b32_e32 v0, 0x7fffff, v4
	v_lshrrev_b32_e32 v5, 24, v4
	v_cmpx_ne_u64_e32 0x7f800000, v[6:7]
	s_xor_b32 s42, exec_lo, s13
	s_cbranch_execz .LBB6_7521
; %bb.7508:                             ;   in Loop: Header=BB6_5167 Depth=3
	v_and_b32_e32 v6, 0x7fffffff, v4
	v_mov_b32_e32 v7, v21
                                        ; implicit-def: $vgpr103
	s_delay_alu instid0(VALU_DEP_1) | instskip(SKIP_2) | instid1(SALU_CYCLE_1)
	v_cmp_gt_u64_e32 vcc_lo, 0x47600001, v[6:7]
	v_and_b32_e32 v6, 0x80, v5
	s_and_saveexec_b32 s13, vcc_lo
	s_xor_b32 s43, exec_lo, s13
	s_cbranch_execz .LBB6_7518
; %bb.7509:                             ;   in Loop: Header=BB6_5167 Depth=3
	v_mov_b32_e32 v103, 0
	s_mov_b32 s72, exec_lo
	v_cmpx_ne_u32_e32 0, v4
	s_cbranch_execz .LBB6_7517
; %bb.7510:                             ;   in Loop: Header=BB6_5167 Depth=3
	v_bfe_u32 v7, v4, 23, 8
	v_or_b32_e32 v5, 0x800000, v0
	s_delay_alu instid0(VALU_DEP_2) | instskip(SKIP_2) | instid1(VALU_DEP_2)
	v_cmp_gt_u32_e64 s13, 0x72, v7
	v_sub_nc_u32_e32 v4, 0x71, v7
	v_cmp_eq_u32_e32 vcc_lo, 0, v7
	v_cndmask_b32_e64 v4, 0, v4, s13
	s_delay_alu instid0(VALU_DEP_1) | instskip(NEXT) | instid1(VALU_DEP_1)
	v_cndmask_b32_e64 v103, v4, 0x70, vcc_lo
	v_dual_cndmask_b32 v0, v5, v0, vcc_lo :: v_dual_add_nc_u32 v4, 21, v103
	v_add_nc_u32_e32 v112, 20, v103
	s_delay_alu instid0(VALU_DEP_2) | instskip(NEXT) | instid1(VALU_DEP_2)
	v_lshlrev_b64_e64 v[4:5], v4, -1
	v_lshlrev_b64_e64 v[112:113], v112, 1
	s_delay_alu instid0(VALU_DEP_2) | instskip(SKIP_1) | instid1(VALU_DEP_4)
	v_bfi_b32 v4, v4, 0, v0
	v_lshrrev_b64 v[0:1], v103, v[0:1]
	v_bfi_b32 v5, v5, 0, 0
	s_delay_alu instid0(VALU_DEP_1) | instskip(NEXT) | instid1(VALU_DEP_3)
	v_cmp_eq_u64_e64 s13, v[4:5], v[112:113]
	v_mov_b64_e32 v[4:5], v[0:1]
	s_and_saveexec_b32 s73, s13
; %bb.7511:                             ;   in Loop: Header=BB6_5167 Depth=3
	v_bfe_u32 v4, v0, 21, 1
	v_mov_b32_e32 v5, v21
	s_delay_alu instid0(VALU_DEP_1) | instskip(NEXT) | instid1(VALU_DEP_1)
	v_add_nc_u64_e32 v[4:5], v[0:1], v[4:5]
	v_add_nc_u64_e32 v[4:5], -1, v[4:5]
; %bb.7512:                             ;   in Loop: Header=BB6_5167 Depth=3
	s_or_b32 exec_lo, exec_lo, s73
	v_add_nc_u32_e32 v1, 0xffffff81, v7
	v_lshrrev_b32_e32 v5, 23, v0
	s_mov_b32 s13, exec_lo
	s_delay_alu instid0(VALU_DEP_2) | instskip(NEXT) | instid1(VALU_DEP_1)
	v_cndmask_b32_e64 v1, v1, 0xffffff82, vcc_lo
	v_add3_u32 v7, v103, v1, v5
	v_and_b32_e32 v1, 0x1fffff, v4
                                        ; implicit-def: $vgpr4
	s_delay_alu instid0(VALU_DEP_1) | instskip(SKIP_1) | instid1(VALU_DEP_2)
	v_dual_add_nc_u32 v5, 14, v7 :: v_dual_add_nc_u32 v0, v1, v0
	v_mov_b32_e32 v1, v21
	v_cmpx_ne_u32_e32 0, v5
	s_xor_b32 s13, exec_lo, s13
; %bb.7513:                             ;   in Loop: Header=BB6_5167 Depth=3
	s_delay_alu instid0(VALU_DEP_2) | instskip(SKIP_1) | instid1(VALU_DEP_1)
	v_cmp_lt_u64_e32 vcc_lo, 0xffffff, v[0:1]
	v_add_nc_u32_e32 v4, 15, v7
	v_cndmask_b32_e32 v4, v5, v4, vcc_lo
	v_cndmask_b32_e64 v5, 0, 1, vcc_lo
	s_delay_alu instid0(VALU_DEP_1)
	v_lshrrev_b64 v[0:1], v5, v[0:1]
; %bb.7514:                             ;   in Loop: Header=BB6_5167 Depth=3
	s_and_not1_saveexec_b32 s13, s13
; %bb.7515:                             ;   in Loop: Header=BB6_5167 Depth=3
	s_delay_alu instid0(VALU_DEP_1)
	v_bfe_u32 v4, v0, 23, 1
; %bb.7516:                             ;   in Loop: Header=BB6_5167 Depth=3
	s_or_b32 exec_lo, exec_lo, s13
	s_delay_alu instid0(VALU_DEP_2) | instskip(NEXT) | instid1(VALU_DEP_2)
	v_lshrrev_b64 v[0:1], 21, v[0:1]
	v_cmp_gt_i32_e32 vcc_lo, 32, v4
	v_min_i32_e32 v5, 31, v4
	v_cmp_eq_u32_e64 s13, 0, v4
	s_delay_alu instid0(VALU_DEP_4) | instskip(NEXT) | instid1(VALU_DEP_3)
	v_cndmask_b32_e32 v1, 0, v1, vcc_lo
	v_dual_cndmask_b32 v0, 3, v0 :: v_dual_lshlrev_b32 v5, 2, v5
	s_delay_alu instid0(VALU_DEP_1) | instskip(NEXT) | instid1(VALU_DEP_2)
	v_and_b32_e32 v5, 0xfc, v5
	v_cmp_eq_u64_e32 vcc_lo, 0, v[0:1]
	s_delay_alu instid0(VALU_DEP_2)
	v_and_or_b32 v0, v0, 3, v5
	s_and_b32 s13, s13, vcc_lo
	s_delay_alu instid0(VALU_DEP_1) | instid1(SALU_CYCLE_1)
	v_cndmask_b32_e64 v0, v0, 0, s13
	s_delay_alu instid0(VALU_DEP_1)
	v_or_b32_e32 v103, v0, v6
.LBB6_7517:                             ;   in Loop: Header=BB6_5167 Depth=3
	s_or_b32 exec_lo, exec_lo, s72
                                        ; implicit-def: $vgpr6
.LBB6_7518:                             ;   in Loop: Header=BB6_5167 Depth=3
	s_and_not1_saveexec_b32 s13, s43
; %bb.7519:                             ;   in Loop: Header=BB6_5167 Depth=3
	v_or_b32_e32 v103, 0x7b, v6
; %bb.7520:                             ;   in Loop: Header=BB6_5167 Depth=3
	s_or_b32 exec_lo, exec_lo, s13
                                        ; implicit-def: $vgpr4
                                        ; implicit-def: $vgpr0_vgpr1
                                        ; implicit-def: $vgpr5
.LBB6_7521:                             ;   in Loop: Header=BB6_5167 Depth=3
	s_and_not1_saveexec_b32 s13, s42
	s_cbranch_execz .LBB6_7527
; %bb.7522:                             ;   in Loop: Header=BB6_5167 Depth=3
	s_mov_b32 s42, exec_lo
                                        ; implicit-def: $vgpr103
	v_cmpx_ne_u64_e32 0, v[0:1]
	s_xor_b32 s42, exec_lo, s42
; %bb.7523:                             ;   in Loop: Header=BB6_5167 Depth=3
	v_or_b32_e32 v103, 0x7f, v5
                                        ; implicit-def: $vgpr4
; %bb.7524:                             ;   in Loop: Header=BB6_5167 Depth=3
	s_and_not1_saveexec_b32 s42, s42
; %bb.7525:                             ;   in Loop: Header=BB6_5167 Depth=3
	v_cmp_lt_i32_e32 vcc_lo, -1, v4
	v_mov_b32_e32 v0, 0x7c
	s_delay_alu instid0(VALU_DEP_1)
	v_cndmask_b32_e32 v103, 0xfc, v0, vcc_lo
; %bb.7526:                             ;   in Loop: Header=BB6_5167 Depth=3
	s_or_b32 exec_lo, exec_lo, s42
.LBB6_7527:                             ;   in Loop: Header=BB6_5167 Depth=3
	s_delay_alu instid0(SALU_CYCLE_1)
	s_or_b32 exec_lo, exec_lo, s13
	v_dual_mov_b32 v1, 0 :: v_dual_mov_b32 v4, 0
	s_mov_b32 s42, exec_lo
	v_cmpx_lt_u32_e32 0xffffff, v2
	s_cbranch_execz .LBB6_7537
; %bb.7528:                             ;   in Loop: Header=BB6_5167 Depth=3
	v_lshrrev_b32_e32 v0, 24, v2
	v_bfrev_b32_e32 v4, 1
	s_mov_b32 s43, exec_lo
	s_delay_alu instid0(VALU_DEP_2)
	v_cmpx_ne_u32_e32 0x80, v0
	s_cbranch_execz .LBB6_7536
; %bb.7529:                             ;   in Loop: Header=BB6_5167 Depth=3
	v_and_b32_e32 v4, 0x7c000000, v2
	v_bfe_u32 v5, v2, 24, 2
	s_delay_alu instid0(VALU_DEP_2) | instskip(SKIP_1) | instid1(SALU_CYCLE_1)
	v_cmp_ne_u32_e32 vcc_lo, 0x7c000000, v4
                                        ; implicit-def: $vgpr4
	s_and_saveexec_b32 s13, vcc_lo
	s_xor_b32 s13, exec_lo, s13
	s_cbranch_execz .LBB6_7533
; %bb.7530:                             ;   in Loop: Header=BB6_5167 Depth=3
	v_bfe_u32 v4, v2, 26, 5
	s_mov_b32 s72, exec_lo
	s_delay_alu instid0(VALU_DEP_1)
	v_cmpx_eq_u32_e32 0, v4
; %bb.7531:                             ;   in Loop: Header=BB6_5167 Depth=3
	v_clz_i32_u32_e32 v4, v5
	s_delay_alu instid0(VALU_DEP_1) | instskip(NEXT) | instid1(VALU_DEP_1)
	v_min_u32_e32 v4, 32, v4
	v_subrev_nc_u32_e32 v5, 29, v4
	s_delay_alu instid0(VALU_DEP_1) | instskip(NEXT) | instid1(VALU_DEP_1)
	v_lshlrev_b64_e32 v[6:7], v5, v[0:1]
	v_dual_sub_nc_u32 v4, 30, v4 :: v_dual_bitop2_b32 v5, 3, v6 bitop3:0x40
; %bb.7532:                             ;   in Loop: Header=BB6_5167 Depth=3
	s_or_b32 exec_lo, exec_lo, s72
	v_and_b32_e32 v0, 0x80000000, v2
	s_delay_alu instid0(VALU_DEP_1) | instskip(NEXT) | instid1(VALU_DEP_1)
	v_lshl_add_u32 v0, v4, 23, v0
	v_lshl_or_b32 v0, v5, 21, v0
                                        ; implicit-def: $vgpr5
	s_delay_alu instid0(VALU_DEP_1)
	v_add_nc_u32_e32 v4, 0x38000000, v0
.LBB6_7533:                             ;   in Loop: Header=BB6_5167 Depth=3
	s_and_not1_saveexec_b32 s72, s13
; %bb.7534:                             ;   in Loop: Header=BB6_5167 Depth=3
	v_cmp_lt_i32_e64 s13, -1, v2
	v_mov_b32_e32 v0, 0x7f800000
	v_cmp_eq_u32_e32 vcc_lo, 0, v5
	s_delay_alu instid0(VALU_DEP_2) | instskip(NEXT) | instid1(VALU_DEP_1)
	v_cndmask_b32_e64 v0, 0xff800000, v0, s13
	v_cndmask_b32_e32 v4, 0x7f800001, v0, vcc_lo
; %bb.7535:                             ;   in Loop: Header=BB6_5167 Depth=3
	s_or_b32 exec_lo, exec_lo, s72
.LBB6_7536:                             ;   in Loop: Header=BB6_5167 Depth=3
	s_delay_alu instid0(SALU_CYCLE_1)
	s_or_b32 exec_lo, exec_lo, s43
.LBB6_7537:                             ;   in Loop: Header=BB6_5167 Depth=3
	s_delay_alu instid0(SALU_CYCLE_1) | instskip(NEXT) | instid1(SALU_CYCLE_1)
	s_or_b32 exec_lo, exec_lo, s42
	s_mov_b32 s42, exec_lo
	v_cmpx_lt_u32_e32 0xffffff, v10
	s_cbranch_execz .LBB6_7547
; %bb.7538:                             ;   in Loop: Header=BB6_5167 Depth=3
	v_lshrrev_b32_e32 v0, 24, v10
	v_bfrev_b32_e32 v1, 1
	s_mov_b32 s43, exec_lo
	s_delay_alu instid0(VALU_DEP_2)
	v_cmpx_ne_u32_e32 0x80, v0
	s_cbranch_execz .LBB6_7546
; %bb.7539:                             ;   in Loop: Header=BB6_5167 Depth=3
	v_and_b32_e32 v1, 0x7c000000, v10
	v_bfe_u32 v5, v10, 24, 2
	s_delay_alu instid0(VALU_DEP_2) | instskip(SKIP_1) | instid1(SALU_CYCLE_1)
	v_cmp_ne_u32_e32 vcc_lo, 0x7c000000, v1
                                        ; implicit-def: $vgpr1
	s_and_saveexec_b32 s13, vcc_lo
	s_xor_b32 s13, exec_lo, s13
	s_cbranch_execz .LBB6_7543
; %bb.7540:                             ;   in Loop: Header=BB6_5167 Depth=3
	v_bfe_u32 v1, v10, 26, 5
	s_mov_b32 s72, exec_lo
	s_delay_alu instid0(VALU_DEP_1)
	v_cmpx_eq_u32_e32 0, v1
; %bb.7541:                             ;   in Loop: Header=BB6_5167 Depth=3
	v_clz_i32_u32_e32 v1, v5
	s_delay_alu instid0(VALU_DEP_1) | instskip(NEXT) | instid1(VALU_DEP_1)
	v_min_u32_e32 v5, 32, v1
	v_subrev_nc_u32_e32 v1, 29, v5
	s_delay_alu instid0(VALU_DEP_1) | instskip(NEXT) | instid1(VALU_DEP_1)
	v_lshlrev_b64_e32 v[0:1], v1, v[0:1]
	v_dual_sub_nc_u32 v1, 30, v5 :: v_dual_bitop2_b32 v5, 3, v0 bitop3:0x40
; %bb.7542:                             ;   in Loop: Header=BB6_5167 Depth=3
	s_or_b32 exec_lo, exec_lo, s72
	v_and_b32_e32 v0, 0x80000000, v10
	s_delay_alu instid0(VALU_DEP_1) | instskip(NEXT) | instid1(VALU_DEP_1)
	v_lshl_add_u32 v0, v1, 23, v0
	v_lshl_or_b32 v0, v5, 21, v0
                                        ; implicit-def: $vgpr5
	s_delay_alu instid0(VALU_DEP_1)
	v_add_nc_u32_e32 v1, 0x38000000, v0
.LBB6_7543:                             ;   in Loop: Header=BB6_5167 Depth=3
	s_and_not1_saveexec_b32 s72, s13
; %bb.7544:                             ;   in Loop: Header=BB6_5167 Depth=3
	v_cmp_lt_i32_e64 s13, -1, v10
	v_mov_b32_e32 v0, 0x7f800000
	v_cmp_eq_u32_e32 vcc_lo, 0, v5
	s_delay_alu instid0(VALU_DEP_2) | instskip(NEXT) | instid1(VALU_DEP_1)
	v_cndmask_b32_e64 v0, 0xff800000, v0, s13
	v_cndmask_b32_e32 v1, 0x7f800001, v0, vcc_lo
; %bb.7545:                             ;   in Loop: Header=BB6_5167 Depth=3
	s_or_b32 exec_lo, exec_lo, s72
.LBB6_7546:                             ;   in Loop: Header=BB6_5167 Depth=3
	s_delay_alu instid0(SALU_CYCLE_1)
	s_or_b32 exec_lo, exec_lo, s43
.LBB6_7547:                             ;   in Loop: Header=BB6_5167 Depth=3
	s_delay_alu instid0(SALU_CYCLE_1) | instskip(NEXT) | instid1(VALU_DEP_1)
	s_or_b32 exec_lo, exec_lo, s42
	v_dual_mul_f32 v4, v4, v1 :: v_dual_mov_b32 v7, v21
	v_mov_b32_e32 v1, v21
                                        ; implicit-def: $vgpr112
	s_mov_b32 s13, exec_lo
	s_delay_alu instid0(VALU_DEP_2) | instskip(SKIP_2) | instid1(VALU_DEP_3)
	v_and_b32_e32 v6, 0x7f800000, v4
	v_and_b32_e32 v0, 0x7fffff, v4
	v_lshrrev_b32_e32 v5, 24, v4
	v_cmpx_ne_u64_e32 0x7f800000, v[6:7]
	s_xor_b32 s42, exec_lo, s13
	s_cbranch_execz .LBB6_7561
; %bb.7548:                             ;   in Loop: Header=BB6_5167 Depth=3
	v_and_b32_e32 v6, 0x7fffffff, v4
	v_mov_b32_e32 v7, v21
                                        ; implicit-def: $vgpr112
	s_delay_alu instid0(VALU_DEP_1) | instskip(SKIP_2) | instid1(SALU_CYCLE_1)
	v_cmp_gt_u64_e32 vcc_lo, 0x47600001, v[6:7]
	v_and_b32_e32 v6, 0x80, v5
	s_and_saveexec_b32 s13, vcc_lo
	s_xor_b32 s43, exec_lo, s13
	s_cbranch_execz .LBB6_7558
; %bb.7549:                             ;   in Loop: Header=BB6_5167 Depth=3
	v_mov_b32_e32 v112, 0
	s_mov_b32 s72, exec_lo
	v_cmpx_ne_u32_e32 0, v4
	s_cbranch_execz .LBB6_7557
; %bb.7550:                             ;   in Loop: Header=BB6_5167 Depth=3
	v_bfe_u32 v7, v4, 23, 8
	v_or_b32_e32 v5, 0x800000, v0
	s_delay_alu instid0(VALU_DEP_2) | instskip(SKIP_2) | instid1(VALU_DEP_2)
	v_cmp_gt_u32_e64 s13, 0x72, v7
	v_sub_nc_u32_e32 v4, 0x71, v7
	v_cmp_eq_u32_e32 vcc_lo, 0, v7
	v_cndmask_b32_e64 v4, 0, v4, s13
	v_cndmask_b32_e32 v0, v5, v0, vcc_lo
	s_delay_alu instid0(VALU_DEP_2) | instskip(NEXT) | instid1(VALU_DEP_1)
	v_cndmask_b32_e64 v112, v4, 0x70, vcc_lo
	v_dual_add_nc_u32 v4, 21, v112 :: v_dual_add_nc_u32 v113, 20, v112
	s_delay_alu instid0(VALU_DEP_1) | instskip(NEXT) | instid1(VALU_DEP_2)
	v_lshlrev_b64_e64 v[4:5], v4, -1
	v_lshlrev_b64_e64 v[114:115], v113, 1
	s_delay_alu instid0(VALU_DEP_2) | instskip(SKIP_1) | instid1(VALU_DEP_4)
	v_bfi_b32 v4, v4, 0, v0
	v_lshrrev_b64 v[0:1], v112, v[0:1]
	v_bfi_b32 v5, v5, 0, 0
	s_delay_alu instid0(VALU_DEP_1) | instskip(NEXT) | instid1(VALU_DEP_3)
	v_cmp_eq_u64_e64 s13, v[4:5], v[114:115]
	v_mov_b64_e32 v[4:5], v[0:1]
	s_and_saveexec_b32 s73, s13
; %bb.7551:                             ;   in Loop: Header=BB6_5167 Depth=3
	v_bfe_u32 v4, v0, 21, 1
	v_mov_b32_e32 v5, v21
	s_delay_alu instid0(VALU_DEP_1) | instskip(NEXT) | instid1(VALU_DEP_1)
	v_add_nc_u64_e32 v[4:5], v[0:1], v[4:5]
	v_add_nc_u64_e32 v[4:5], -1, v[4:5]
; %bb.7552:                             ;   in Loop: Header=BB6_5167 Depth=3
	s_or_b32 exec_lo, exec_lo, s73
	v_add_nc_u32_e32 v1, 0xffffff81, v7
	v_lshrrev_b32_e32 v5, 23, v0
	s_mov_b32 s13, exec_lo
	s_delay_alu instid0(VALU_DEP_2) | instskip(NEXT) | instid1(VALU_DEP_1)
	v_cndmask_b32_e64 v1, v1, 0xffffff82, vcc_lo
	v_add3_u32 v7, v112, v1, v5
	v_and_b32_e32 v1, 0x1fffff, v4
                                        ; implicit-def: $vgpr4
	s_delay_alu instid0(VALU_DEP_1) | instskip(SKIP_1) | instid1(VALU_DEP_2)
	v_dual_add_nc_u32 v5, 14, v7 :: v_dual_add_nc_u32 v0, v1, v0
	v_mov_b32_e32 v1, v21
	v_cmpx_ne_u32_e32 0, v5
	s_xor_b32 s13, exec_lo, s13
; %bb.7553:                             ;   in Loop: Header=BB6_5167 Depth=3
	s_delay_alu instid0(VALU_DEP_2) | instskip(SKIP_1) | instid1(VALU_DEP_1)
	v_cmp_lt_u64_e32 vcc_lo, 0xffffff, v[0:1]
	v_add_nc_u32_e32 v4, 15, v7
	v_cndmask_b32_e32 v4, v5, v4, vcc_lo
	v_cndmask_b32_e64 v5, 0, 1, vcc_lo
	s_delay_alu instid0(VALU_DEP_1)
	v_lshrrev_b64 v[0:1], v5, v[0:1]
; %bb.7554:                             ;   in Loop: Header=BB6_5167 Depth=3
	s_and_not1_saveexec_b32 s13, s13
; %bb.7555:                             ;   in Loop: Header=BB6_5167 Depth=3
	s_delay_alu instid0(VALU_DEP_1)
	v_bfe_u32 v4, v0, 23, 1
; %bb.7556:                             ;   in Loop: Header=BB6_5167 Depth=3
	s_or_b32 exec_lo, exec_lo, s13
	s_delay_alu instid0(VALU_DEP_2) | instskip(NEXT) | instid1(VALU_DEP_2)
	v_lshrrev_b64 v[0:1], 21, v[0:1]
	v_cmp_gt_i32_e32 vcc_lo, 32, v4
	v_min_i32_e32 v5, 31, v4
	v_cmp_eq_u32_e64 s13, 0, v4
	s_delay_alu instid0(VALU_DEP_4) | instskip(NEXT) | instid1(VALU_DEP_3)
	v_cndmask_b32_e32 v1, 0, v1, vcc_lo
	v_dual_cndmask_b32 v0, 3, v0 :: v_dual_lshlrev_b32 v5, 2, v5
	s_delay_alu instid0(VALU_DEP_1) | instskip(NEXT) | instid1(VALU_DEP_2)
	v_and_b32_e32 v5, 0xfc, v5
	v_cmp_eq_u64_e32 vcc_lo, 0, v[0:1]
	s_delay_alu instid0(VALU_DEP_2)
	v_and_or_b32 v0, v0, 3, v5
	s_and_b32 s13, s13, vcc_lo
	s_delay_alu instid0(VALU_DEP_1) | instid1(SALU_CYCLE_1)
	v_cndmask_b32_e64 v0, v0, 0, s13
	s_delay_alu instid0(VALU_DEP_1)
	v_or_b32_e32 v112, v0, v6
.LBB6_7557:                             ;   in Loop: Header=BB6_5167 Depth=3
	s_or_b32 exec_lo, exec_lo, s72
                                        ; implicit-def: $vgpr6
.LBB6_7558:                             ;   in Loop: Header=BB6_5167 Depth=3
	s_and_not1_saveexec_b32 s13, s43
; %bb.7559:                             ;   in Loop: Header=BB6_5167 Depth=3
	v_or_b32_e32 v112, 0x7b, v6
; %bb.7560:                             ;   in Loop: Header=BB6_5167 Depth=3
	s_or_b32 exec_lo, exec_lo, s13
                                        ; implicit-def: $vgpr4
                                        ; implicit-def: $vgpr0_vgpr1
                                        ; implicit-def: $vgpr5
.LBB6_7561:                             ;   in Loop: Header=BB6_5167 Depth=3
	s_and_not1_saveexec_b32 s13, s42
	s_cbranch_execz .LBB6_7567
; %bb.7562:                             ;   in Loop: Header=BB6_5167 Depth=3
	s_mov_b32 s42, exec_lo
                                        ; implicit-def: $vgpr112
	v_cmpx_ne_u64_e32 0, v[0:1]
	s_xor_b32 s42, exec_lo, s42
; %bb.7563:                             ;   in Loop: Header=BB6_5167 Depth=3
	v_or_b32_e32 v112, 0x7f, v5
                                        ; implicit-def: $vgpr4
; %bb.7564:                             ;   in Loop: Header=BB6_5167 Depth=3
	s_and_not1_saveexec_b32 s42, s42
; %bb.7565:                             ;   in Loop: Header=BB6_5167 Depth=3
	v_cmp_lt_i32_e32 vcc_lo, -1, v4
	v_mov_b32_e32 v0, 0x7c
	s_delay_alu instid0(VALU_DEP_1)
	v_cndmask_b32_e32 v112, 0xfc, v0, vcc_lo
; %bb.7566:                             ;   in Loop: Header=BB6_5167 Depth=3
	s_or_b32 exec_lo, exec_lo, s42
.LBB6_7567:                             ;   in Loop: Header=BB6_5167 Depth=3
	s_delay_alu instid0(SALU_CYCLE_1) | instskip(SKIP_4) | instid1(VALU_DEP_3)
	s_or_b32 exec_lo, exec_lo, s13
	v_and_b32_e32 v6, 0xff, v3
	v_dual_mov_b32 v0, v3 :: v_dual_mov_b32 v1, v21
	v_dual_mov_b32 v5, 0 :: v_dual_mov_b32 v4, 0
	s_mov_b32 s42, exec_lo
	v_cmpx_ne_u16_e32 0, v6
	s_cbranch_execz .LBB6_7577
; %bb.7568:                             ;   in Loop: Header=BB6_5167 Depth=3
	v_bfrev_b32_e32 v4, 1
	s_mov_b32 s43, exec_lo
	v_cmpx_ne_u16_e32 0x80, v6
	s_cbranch_execz .LBB6_7576
; %bb.7569:                             ;   in Loop: Header=BB6_5167 Depth=3
	v_and_b32_e32 v4, 0x7c, v3
	v_and_b32_e32 v6, 3, v3
	s_delay_alu instid0(VALU_DEP_2) | instskip(SKIP_1) | instid1(SALU_CYCLE_1)
	v_cmp_ne_u32_e32 vcc_lo, 0x7c, v4
                                        ; implicit-def: $vgpr4
	s_and_saveexec_b32 s13, vcc_lo
	s_xor_b32 s13, exec_lo, s13
	s_cbranch_execz .LBB6_7573
; %bb.7570:                             ;   in Loop: Header=BB6_5167 Depth=3
	v_bfe_u32 v4, v3, 2, 5
	s_mov_b32 s72, exec_lo
	s_delay_alu instid0(VALU_DEP_1)
	v_cmpx_eq_u32_e32 0, v4
; %bb.7571:                             ;   in Loop: Header=BB6_5167 Depth=3
	v_clz_i32_u32_e32 v4, v6
	s_delay_alu instid0(VALU_DEP_1) | instskip(NEXT) | instid1(VALU_DEP_1)
	v_min_u32_e32 v4, 32, v4
	v_subrev_nc_u32_e32 v6, 29, v4
	s_delay_alu instid0(VALU_DEP_1) | instskip(NEXT) | instid1(VALU_DEP_1)
	v_lshlrev_b64_e32 v[6:7], v6, v[0:1]
	v_dual_sub_nc_u32 v4, 30, v4 :: v_dual_bitop2_b32 v6, 3, v6 bitop3:0x40
; %bb.7572:                             ;   in Loop: Header=BB6_5167 Depth=3
	s_or_b32 exec_lo, exec_lo, s72
	v_lshlrev_b32_e32 v1, 24, v3
	s_delay_alu instid0(VALU_DEP_1) | instskip(NEXT) | instid1(VALU_DEP_1)
	v_and_b32_e32 v1, 0x80000000, v1
	v_lshl_add_u32 v1, v4, 23, v1
	s_delay_alu instid0(VALU_DEP_1) | instskip(NEXT) | instid1(VALU_DEP_1)
	v_lshl_or_b32 v1, v6, 21, v1
                                        ; implicit-def: $vgpr6
	v_add_nc_u32_e32 v4, 0x38000000, v1
.LBB6_7573:                             ;   in Loop: Header=BB6_5167 Depth=3
	s_and_not1_saveexec_b32 s72, s13
; %bb.7574:                             ;   in Loop: Header=BB6_5167 Depth=3
	v_bfe_i32 v1, v3, 0, 8
	v_cmp_eq_u32_e32 vcc_lo, 0, v6
	s_delay_alu instid0(VALU_DEP_2) | instskip(SKIP_1) | instid1(VALU_DEP_1)
	v_cmp_lt_i16_e64 s13, -1, v1
	v_mov_b32_e32 v1, 0x7f800000
	v_cndmask_b32_e64 v1, 0xff800000, v1, s13
	s_delay_alu instid0(VALU_DEP_1)
	v_cndmask_b32_e32 v4, 0x7f800001, v1, vcc_lo
; %bb.7575:                             ;   in Loop: Header=BB6_5167 Depth=3
	s_or_b32 exec_lo, exec_lo, s72
.LBB6_7576:                             ;   in Loop: Header=BB6_5167 Depth=3
	s_delay_alu instid0(SALU_CYCLE_1)
	s_or_b32 exec_lo, exec_lo, s43
.LBB6_7577:                             ;   in Loop: Header=BB6_5167 Depth=3
	s_delay_alu instid0(SALU_CYCLE_1) | instskip(SKIP_2) | instid1(VALU_DEP_1)
	s_or_b32 exec_lo, exec_lo, s42
	v_and_b32_e32 v1, 0xff, v11
	s_mov_b32 s42, exec_lo
	v_cmpx_ne_u16_e32 0, v1
	s_cbranch_execz .LBB6_7587
; %bb.7578:                             ;   in Loop: Header=BB6_5167 Depth=3
	v_bfrev_b32_e32 v5, 1
	s_mov_b32 s43, exec_lo
	v_cmpx_ne_u16_e32 0x80, v1
	s_cbranch_execz .LBB6_7586
; %bb.7579:                             ;   in Loop: Header=BB6_5167 Depth=3
	v_and_b32_e32 v5, 0x7c, v11
	v_and_b32_e32 v1, 3, v11
	s_delay_alu instid0(VALU_DEP_2) | instskip(SKIP_1) | instid1(SALU_CYCLE_1)
	v_cmp_ne_u32_e32 vcc_lo, 0x7c, v5
                                        ; implicit-def: $vgpr5
	s_and_saveexec_b32 s13, vcc_lo
	s_xor_b32 s13, exec_lo, s13
	s_cbranch_execz .LBB6_7583
; %bb.7580:                             ;   in Loop: Header=BB6_5167 Depth=3
	v_bfe_u32 v5, v11, 2, 5
	s_mov_b32 s72, exec_lo
	s_delay_alu instid0(VALU_DEP_1)
	v_cmpx_eq_u32_e32 0, v5
; %bb.7581:                             ;   in Loop: Header=BB6_5167 Depth=3
	v_clz_i32_u32_e32 v1, v1
	v_dual_mov_b32 v6, v11 :: v_dual_mov_b32 v7, v21
	s_delay_alu instid0(VALU_DEP_2) | instskip(NEXT) | instid1(VALU_DEP_1)
	v_min_u32_e32 v1, 32, v1
	v_subrev_nc_u32_e32 v5, 29, v1
	s_delay_alu instid0(VALU_DEP_1) | instskip(NEXT) | instid1(VALU_DEP_1)
	v_lshlrev_b64_e32 v[6:7], v5, v[6:7]
	v_dual_sub_nc_u32 v5, 30, v1 :: v_dual_bitop2_b32 v1, 3, v6 bitop3:0x40
; %bb.7582:                             ;   in Loop: Header=BB6_5167 Depth=3
	s_or_b32 exec_lo, exec_lo, s72
	v_lshlrev_b32_e32 v6, 24, v11
	s_delay_alu instid0(VALU_DEP_1) | instskip(NEXT) | instid1(VALU_DEP_1)
	v_and_b32_e32 v6, 0x80000000, v6
	v_lshl_add_u32 v5, v5, 23, v6
	s_delay_alu instid0(VALU_DEP_1) | instskip(NEXT) | instid1(VALU_DEP_1)
	v_lshl_or_b32 v1, v1, 21, v5
	v_add_nc_u32_e32 v5, 0x38000000, v1
                                        ; implicit-def: $vgpr1
.LBB6_7583:                             ;   in Loop: Header=BB6_5167 Depth=3
	s_and_not1_saveexec_b32 s72, s13
; %bb.7584:                             ;   in Loop: Header=BB6_5167 Depth=3
	v_bfe_i32 v5, v11, 0, 8
	v_cmp_eq_u32_e32 vcc_lo, 0, v1
	v_mov_b32_e32 v1, 0x7f800000
	s_delay_alu instid0(VALU_DEP_3) | instskip(NEXT) | instid1(VALU_DEP_1)
	v_cmp_lt_i16_e64 s13, -1, v5
	v_cndmask_b32_e64 v1, 0xff800000, v1, s13
	s_delay_alu instid0(VALU_DEP_1)
	v_cndmask_b32_e32 v5, 0x7f800001, v1, vcc_lo
; %bb.7585:                             ;   in Loop: Header=BB6_5167 Depth=3
	s_or_b32 exec_lo, exec_lo, s72
.LBB6_7586:                             ;   in Loop: Header=BB6_5167 Depth=3
	s_delay_alu instid0(SALU_CYCLE_1)
	s_or_b32 exec_lo, exec_lo, s43
.LBB6_7587:                             ;   in Loop: Header=BB6_5167 Depth=3
	s_delay_alu instid0(SALU_CYCLE_1) | instskip(NEXT) | instid1(VALU_DEP_1)
	s_or_b32 exec_lo, exec_lo, s42
	v_dual_mul_f32 v7, v4, v5 :: v_dual_mov_b32 v115, v21
	v_mov_b32_e32 v5, v21
                                        ; implicit-def: $vgpr6
	s_mov_b32 s13, exec_lo
	s_delay_alu instid0(VALU_DEP_2) | instskip(SKIP_2) | instid1(VALU_DEP_3)
	v_and_b32_e32 v114, 0x7f800000, v7
	v_and_b32_e32 v4, 0x7fffff, v7
	v_lshrrev_b32_e32 v1, 24, v7
	v_cmpx_ne_u64_e32 0x7f800000, v[114:115]
	s_xor_b32 s42, exec_lo, s13
	s_cbranch_execz .LBB6_7601
; %bb.7588:                             ;   in Loop: Header=BB6_5167 Depth=3
	v_and_b32_e32 v114, 0x7fffffff, v7
	v_mov_b32_e32 v115, v21
	v_and_b32_e32 v1, 0x80, v1
                                        ; implicit-def: $vgpr6
	s_mov_b32 s13, exec_lo
	s_delay_alu instid0(VALU_DEP_2)
	v_cmpx_gt_u64_e32 0x47600001, v[114:115]
	s_xor_b32 s43, exec_lo, s13
	s_cbranch_execz .LBB6_7598
; %bb.7589:                             ;   in Loop: Header=BB6_5167 Depth=3
	v_mov_b32_e32 v6, 0
	s_mov_b32 s72, exec_lo
	v_cmpx_ne_u32_e32 0, v7
	s_cbranch_execz .LBB6_7597
; %bb.7590:                             ;   in Loop: Header=BB6_5167 Depth=3
	v_bfe_u32 v113, v7, 23, 8
	v_or_b32_e32 v7, 0x800000, v4
	s_delay_alu instid0(VALU_DEP_2) | instskip(SKIP_2) | instid1(VALU_DEP_2)
	v_cmp_gt_u32_e64 s13, 0x72, v113
	v_sub_nc_u32_e32 v6, 0x71, v113
	v_cmp_eq_u32_e32 vcc_lo, 0, v113
	v_dual_cndmask_b32 v6, 0, v6, s13 :: v_dual_cndmask_b32 v4, v7, v4, vcc_lo
	s_delay_alu instid0(VALU_DEP_1) | instskip(NEXT) | instid1(VALU_DEP_1)
	v_cndmask_b32_e64 v114, v6, 0x70, vcc_lo
	v_dual_add_nc_u32 v6, 21, v114 :: v_dual_add_nc_u32 v115, 20, v114
	s_delay_alu instid0(VALU_DEP_1) | instskip(NEXT) | instid1(VALU_DEP_2)
	v_lshlrev_b64_e64 v[6:7], v6, -1
	v_lshlrev_b64_e64 v[116:117], v115, 1
	s_delay_alu instid0(VALU_DEP_2) | instskip(SKIP_1) | instid1(VALU_DEP_4)
	v_bfi_b32 v6, v6, 0, v4
	v_lshrrev_b64 v[4:5], v114, v[4:5]
	v_bfi_b32 v7, v7, 0, 0
	s_delay_alu instid0(VALU_DEP_1) | instskip(NEXT) | instid1(VALU_DEP_3)
	v_cmp_eq_u64_e64 s13, v[6:7], v[116:117]
	v_mov_b64_e32 v[6:7], v[4:5]
	s_and_saveexec_b32 s73, s13
; %bb.7591:                             ;   in Loop: Header=BB6_5167 Depth=3
	v_bfe_u32 v6, v4, 21, 1
	v_mov_b32_e32 v7, v21
	s_delay_alu instid0(VALU_DEP_1) | instskip(NEXT) | instid1(VALU_DEP_1)
	v_add_nc_u64_e32 v[6:7], v[4:5], v[6:7]
	v_add_nc_u64_e32 v[6:7], -1, v[6:7]
; %bb.7592:                             ;   in Loop: Header=BB6_5167 Depth=3
	s_or_b32 exec_lo, exec_lo, s73
	v_add_nc_u32_e32 v5, 0xffffff81, v113
	v_lshrrev_b32_e32 v7, 23, v4
	s_mov_b32 s13, exec_lo
	s_delay_alu instid0(VALU_DEP_2) | instskip(NEXT) | instid1(VALU_DEP_1)
	v_cndmask_b32_e64 v5, v5, 0xffffff82, vcc_lo
	v_add3_u32 v113, v114, v5, v7
	v_and_b32_e32 v5, 0x1fffff, v6
                                        ; implicit-def: $vgpr6
	s_delay_alu instid0(VALU_DEP_1) | instskip(SKIP_1) | instid1(VALU_DEP_2)
	v_dual_add_nc_u32 v7, 14, v113 :: v_dual_add_nc_u32 v4, v5, v4
	v_mov_b32_e32 v5, v21
	v_cmpx_ne_u32_e32 0, v7
	s_xor_b32 s13, exec_lo, s13
; %bb.7593:                             ;   in Loop: Header=BB6_5167 Depth=3
	s_delay_alu instid0(VALU_DEP_2) | instskip(SKIP_1) | instid1(VALU_DEP_1)
	v_cmp_lt_u64_e32 vcc_lo, 0xffffff, v[4:5]
	v_add_nc_u32_e32 v6, 15, v113
	v_cndmask_b32_e32 v6, v7, v6, vcc_lo
	v_cndmask_b32_e64 v7, 0, 1, vcc_lo
	s_delay_alu instid0(VALU_DEP_1)
	v_lshrrev_b64 v[4:5], v7, v[4:5]
; %bb.7594:                             ;   in Loop: Header=BB6_5167 Depth=3
	s_and_not1_saveexec_b32 s13, s13
; %bb.7595:                             ;   in Loop: Header=BB6_5167 Depth=3
	s_delay_alu instid0(VALU_DEP_1)
	v_bfe_u32 v6, v4, 23, 1
; %bb.7596:                             ;   in Loop: Header=BB6_5167 Depth=3
	s_or_b32 exec_lo, exec_lo, s13
	s_delay_alu instid0(VALU_DEP_2) | instskip(NEXT) | instid1(VALU_DEP_2)
	v_lshrrev_b64 v[4:5], 21, v[4:5]
	v_cmp_gt_i32_e32 vcc_lo, 32, v6
	v_min_i32_e32 v7, 31, v6
	v_cmp_eq_u32_e64 s13, 0, v6
	s_delay_alu instid0(VALU_DEP_2) | instskip(SKIP_1) | instid1(VALU_DEP_2)
	v_dual_cndmask_b32 v5, 0, v5, vcc_lo :: v_dual_lshlrev_b32 v7, 2, v7
	v_cndmask_b32_e32 v4, 3, v4, vcc_lo
	v_and_b32_e32 v7, 0xfc, v7
	s_delay_alu instid0(VALU_DEP_2) | instskip(NEXT) | instid1(VALU_DEP_2)
	v_cmp_eq_u64_e32 vcc_lo, 0, v[4:5]
	v_and_or_b32 v4, v4, 3, v7
	s_and_b32 s13, s13, vcc_lo
	s_delay_alu instid0(VALU_DEP_1) | instid1(SALU_CYCLE_1)
	v_cndmask_b32_e64 v4, v4, 0, s13
	s_delay_alu instid0(VALU_DEP_1)
	v_or_b32_e32 v6, v4, v1
.LBB6_7597:                             ;   in Loop: Header=BB6_5167 Depth=3
	s_or_b32 exec_lo, exec_lo, s72
                                        ; implicit-def: $vgpr1
.LBB6_7598:                             ;   in Loop: Header=BB6_5167 Depth=3
	s_and_not1_saveexec_b32 s13, s43
; %bb.7599:                             ;   in Loop: Header=BB6_5167 Depth=3
	v_or_b32_e32 v6, 0x7b, v1
; %bb.7600:                             ;   in Loop: Header=BB6_5167 Depth=3
	s_or_b32 exec_lo, exec_lo, s13
                                        ; implicit-def: $vgpr7
                                        ; implicit-def: $vgpr4_vgpr5
                                        ; implicit-def: $vgpr1
.LBB6_7601:                             ;   in Loop: Header=BB6_5167 Depth=3
	s_and_not1_saveexec_b32 s13, s42
	s_cbranch_execz .LBB6_7607
; %bb.7602:                             ;   in Loop: Header=BB6_5167 Depth=3
	s_mov_b32 s42, exec_lo
                                        ; implicit-def: $vgpr6
	v_cmpx_ne_u64_e32 0, v[4:5]
	s_xor_b32 s42, exec_lo, s42
; %bb.7603:                             ;   in Loop: Header=BB6_5167 Depth=3
	v_or_b32_e32 v6, 0x7f, v1
                                        ; implicit-def: $vgpr7
; %bb.7604:                             ;   in Loop: Header=BB6_5167 Depth=3
	s_and_not1_saveexec_b32 s42, s42
; %bb.7605:                             ;   in Loop: Header=BB6_5167 Depth=3
	v_cmp_lt_i32_e32 vcc_lo, -1, v7
	v_mov_b32_e32 v1, 0x7c
	s_delay_alu instid0(VALU_DEP_1)
	v_cndmask_b32_e32 v6, 0xfc, v1, vcc_lo
; %bb.7606:                             ;   in Loop: Header=BB6_5167 Depth=3
	s_or_b32 exec_lo, exec_lo, s42
.LBB6_7607:                             ;   in Loop: Header=BB6_5167 Depth=3
	s_delay_alu instid0(SALU_CYCLE_1) | instskip(SKIP_3) | instid1(VALU_DEP_2)
	s_or_b32 exec_lo, exec_lo, s13
	v_lshrrev_b16 v4, 8, v0
	v_dual_mov_b32 v7, 0 :: v_dual_mov_b32 v5, 0
	s_mov_b32 s42, exec_lo
	v_cmpx_ne_u16_e32 0, v4
	s_cbranch_execz .LBB6_7617
; %bb.7608:                             ;   in Loop: Header=BB6_5167 Depth=3
	v_bfrev_b32_e32 v5, 1
	s_mov_b32 s43, exec_lo
	v_cmpx_ne_u16_e32 0x80, v4
	s_cbranch_execz .LBB6_7616
; %bb.7609:                             ;   in Loop: Header=BB6_5167 Depth=3
	v_and_b32_e32 v1, 0xffff, v4
	s_delay_alu instid0(VALU_DEP_1) | instskip(SKIP_1) | instid1(VALU_DEP_2)
	v_and_b32_e32 v5, 0x7c, v1
	v_and_b32_e32 v113, 3, v1
	v_cmp_ne_u32_e32 vcc_lo, 0x7c, v5
                                        ; implicit-def: $vgpr5
	s_and_saveexec_b32 s13, vcc_lo
	s_delay_alu instid0(SALU_CYCLE_1)
	s_xor_b32 s13, exec_lo, s13
	s_cbranch_execz .LBB6_7613
; %bb.7610:                             ;   in Loop: Header=BB6_5167 Depth=3
	v_bfe_u32 v1, v1, 2, 5
	s_mov_b32 s72, exec_lo
	s_delay_alu instid0(VALU_DEP_1)
	v_cmpx_eq_u32_e32 0, v1
	s_cbranch_execz .LBB6_7612
; %bb.7611:                             ;   in Loop: Header=BB6_5167 Depth=3
	v_clz_i32_u32_e32 v1, v113
	s_delay_alu instid0(VALU_DEP_1) | instskip(SKIP_1) | instid1(VALU_DEP_2)
	v_min_u32_e32 v1, 32, v1
	v_mov_b32_e32 v5, v21
	v_subrev_nc_u32_e32 v113, 29, v1
	v_sub_nc_u32_e32 v1, 30, v1
	s_delay_alu instid0(VALU_DEP_2) | instskip(NEXT) | instid1(VALU_DEP_1)
	v_lshlrev_b64_e32 v[4:5], v113, v[4:5]
	v_and_b32_e32 v113, 3, v4
.LBB6_7612:                             ;   in Loop: Header=BB6_5167 Depth=3
	s_or_b32 exec_lo, exec_lo, s72
	v_lshlrev_b32_e32 v0, 16, v0
	s_delay_alu instid0(VALU_DEP_1) | instskip(NEXT) | instid1(VALU_DEP_1)
	v_and_b32_e32 v0, 0x80000000, v0
	v_lshl_add_u32 v0, v1, 23, v0
	s_delay_alu instid0(VALU_DEP_1) | instskip(NEXT) | instid1(VALU_DEP_1)
	v_lshl_or_b32 v0, v113, 21, v0
                                        ; implicit-def: $vgpr113
	v_add_nc_u32_e32 v5, 0x38000000, v0
                                        ; implicit-def: $vgpr0_vgpr1
.LBB6_7613:                             ;   in Loop: Header=BB6_5167 Depth=3
	s_and_not1_saveexec_b32 s72, s13
; %bb.7614:                             ;   in Loop: Header=BB6_5167 Depth=3
	v_cmp_lt_i16_e64 s13, -1, v0
	v_mov_b32_e32 v0, 0x7f800000
	v_cmp_eq_u32_e32 vcc_lo, 0, v113
	s_delay_alu instid0(VALU_DEP_2) | instskip(NEXT) | instid1(VALU_DEP_1)
	v_cndmask_b32_e64 v0, 0xff800000, v0, s13
	v_cndmask_b32_e32 v5, 0x7f800001, v0, vcc_lo
; %bb.7615:                             ;   in Loop: Header=BB6_5167 Depth=3
	s_or_b32 exec_lo, exec_lo, s72
.LBB6_7616:                             ;   in Loop: Header=BB6_5167 Depth=3
	s_delay_alu instid0(SALU_CYCLE_1)
	s_or_b32 exec_lo, exec_lo, s43
.LBB6_7617:                             ;   in Loop: Header=BB6_5167 Depth=3
	s_delay_alu instid0(SALU_CYCLE_1) | instskip(SKIP_2) | instid1(VALU_DEP_1)
	s_or_b32 exec_lo, exec_lo, s42
	v_lshrrev_b16 v0, 8, v11
	s_mov_b32 s42, exec_lo
	v_cmpx_ne_u16_e32 0, v0
	s_cbranch_execz .LBB6_7627
; %bb.7618:                             ;   in Loop: Header=BB6_5167 Depth=3
	v_bfrev_b32_e32 v7, 1
	s_mov_b32 s43, exec_lo
	v_cmpx_ne_u16_e32 0x80, v0
	s_cbranch_execz .LBB6_7626
; %bb.7619:                             ;   in Loop: Header=BB6_5167 Depth=3
	v_and_b32_e32 v4, 0xffff, v0
	s_delay_alu instid0(VALU_DEP_1) | instskip(SKIP_1) | instid1(VALU_DEP_2)
	v_and_b32_e32 v7, 0x7c, v4
	v_and_b32_e32 v1, 3, v4
	v_cmp_ne_u32_e32 vcc_lo, 0x7c, v7
                                        ; implicit-def: $vgpr7
	s_and_saveexec_b32 s13, vcc_lo
	s_delay_alu instid0(SALU_CYCLE_1)
	s_xor_b32 s13, exec_lo, s13
	s_cbranch_execz .LBB6_7623
; %bb.7620:                             ;   in Loop: Header=BB6_5167 Depth=3
	v_bfe_u32 v4, v4, 2, 5
	s_mov_b32 s72, exec_lo
	s_delay_alu instid0(VALU_DEP_1)
	v_cmpx_eq_u32_e32 0, v4
	s_cbranch_execz .LBB6_7622
; %bb.7621:                             ;   in Loop: Header=BB6_5167 Depth=3
	v_clz_i32_u32_e32 v1, v1
	s_delay_alu instid0(VALU_DEP_1) | instskip(SKIP_1) | instid1(VALU_DEP_2)
	v_min_u32_e32 v4, 32, v1
	v_mov_b32_e32 v1, v21
	v_subrev_nc_u32_e32 v7, 29, v4
	v_sub_nc_u32_e32 v4, 30, v4
	s_delay_alu instid0(VALU_DEP_2) | instskip(NEXT) | instid1(VALU_DEP_1)
	v_lshlrev_b64_e32 v[0:1], v7, v[0:1]
	v_and_b32_e32 v1, 3, v0
.LBB6_7622:                             ;   in Loop: Header=BB6_5167 Depth=3
	s_or_b32 exec_lo, exec_lo, s72
	v_lshlrev_b32_e32 v0, 16, v11
	s_delay_alu instid0(VALU_DEP_1) | instskip(NEXT) | instid1(VALU_DEP_1)
	v_and_b32_e32 v0, 0x80000000, v0
	v_lshl_add_u32 v0, v4, 23, v0
	s_delay_alu instid0(VALU_DEP_1) | instskip(NEXT) | instid1(VALU_DEP_1)
	v_lshl_or_b32 v0, v1, 21, v0
                                        ; implicit-def: $vgpr1
	v_add_nc_u32_e32 v7, 0x38000000, v0
.LBB6_7623:                             ;   in Loop: Header=BB6_5167 Depth=3
	s_and_not1_saveexec_b32 s72, s13
; %bb.7624:                             ;   in Loop: Header=BB6_5167 Depth=3
	v_cmp_lt_i16_e64 s13, -1, v11
	v_mov_b32_e32 v0, 0x7f800000
	v_cmp_eq_u32_e32 vcc_lo, 0, v1
	s_delay_alu instid0(VALU_DEP_2) | instskip(NEXT) | instid1(VALU_DEP_1)
	v_cndmask_b32_e64 v0, 0xff800000, v0, s13
	v_cndmask_b32_e32 v7, 0x7f800001, v0, vcc_lo
; %bb.7625:                             ;   in Loop: Header=BB6_5167 Depth=3
	s_or_b32 exec_lo, exec_lo, s72
.LBB6_7626:                             ;   in Loop: Header=BB6_5167 Depth=3
	s_delay_alu instid0(SALU_CYCLE_1)
	s_or_b32 exec_lo, exec_lo, s43
.LBB6_7627:                             ;   in Loop: Header=BB6_5167 Depth=3
	s_delay_alu instid0(SALU_CYCLE_1) | instskip(NEXT) | instid1(VALU_DEP_1)
	s_or_b32 exec_lo, exec_lo, s42
	v_mul_f32_e32 v4, v5, v7
	v_dual_mov_b32 v115, v21 :: v_dual_mov_b32 v1, v21
                                        ; implicit-def: $vgpr7
	s_mov_b32 s13, exec_lo
	s_delay_alu instid0(VALU_DEP_2) | instskip(SKIP_2) | instid1(VALU_DEP_3)
	v_and_b32_e32 v114, 0x7f800000, v4
	v_and_b32_e32 v0, 0x7fffff, v4
	v_lshrrev_b32_e32 v5, 24, v4
	v_cmpx_ne_u64_e32 0x7f800000, v[114:115]
	s_xor_b32 s42, exec_lo, s13
	s_cbranch_execz .LBB6_7641
; %bb.7628:                             ;   in Loop: Header=BB6_5167 Depth=3
	v_and_b32_e32 v114, 0x7fffffff, v4
	v_mov_b32_e32 v115, v21
	v_and_b32_e32 v113, 0x80, v5
                                        ; implicit-def: $vgpr7
	s_mov_b32 s13, exec_lo
	s_delay_alu instid0(VALU_DEP_2)
	v_cmpx_gt_u64_e32 0x47600001, v[114:115]
	s_xor_b32 s43, exec_lo, s13
	s_cbranch_execz .LBB6_7638
; %bb.7629:                             ;   in Loop: Header=BB6_5167 Depth=3
	v_mov_b32_e32 v7, 0
	s_mov_b32 s72, exec_lo
	v_cmpx_ne_u32_e32 0, v4
	s_cbranch_execz .LBB6_7637
; %bb.7630:                             ;   in Loop: Header=BB6_5167 Depth=3
	v_bfe_u32 v7, v4, 23, 8
	v_or_b32_e32 v5, 0x800000, v0
	s_delay_alu instid0(VALU_DEP_2) | instskip(SKIP_2) | instid1(VALU_DEP_2)
	v_cmp_gt_u32_e64 s13, 0x72, v7
	v_sub_nc_u32_e32 v4, 0x71, v7
	v_cmp_eq_u32_e32 vcc_lo, 0, v7
	v_cndmask_b32_e64 v4, 0, v4, s13
	s_delay_alu instid0(VALU_DEP_1) | instskip(NEXT) | instid1(VALU_DEP_1)
	v_cndmask_b32_e64 v114, v4, 0x70, vcc_lo
	v_dual_cndmask_b32 v0, v5, v0, vcc_lo :: v_dual_add_nc_u32 v4, 21, v114
	v_add_nc_u32_e32 v115, 20, v114
	s_delay_alu instid0(VALU_DEP_2) | instskip(NEXT) | instid1(VALU_DEP_2)
	v_lshlrev_b64_e64 v[4:5], v4, -1
	v_lshlrev_b64_e64 v[116:117], v115, 1
	s_delay_alu instid0(VALU_DEP_2) | instskip(SKIP_1) | instid1(VALU_DEP_4)
	v_bfi_b32 v4, v4, 0, v0
	v_lshrrev_b64 v[0:1], v114, v[0:1]
	v_bfi_b32 v5, v5, 0, 0
	s_delay_alu instid0(VALU_DEP_1) | instskip(NEXT) | instid1(VALU_DEP_3)
	v_cmp_eq_u64_e64 s13, v[4:5], v[116:117]
	v_mov_b64_e32 v[4:5], v[0:1]
	s_and_saveexec_b32 s73, s13
; %bb.7631:                             ;   in Loop: Header=BB6_5167 Depth=3
	v_bfe_u32 v4, v0, 21, 1
	v_mov_b32_e32 v5, v21
	s_delay_alu instid0(VALU_DEP_1) | instskip(NEXT) | instid1(VALU_DEP_1)
	v_add_nc_u64_e32 v[4:5], v[0:1], v[4:5]
	v_add_nc_u64_e32 v[4:5], -1, v[4:5]
; %bb.7632:                             ;   in Loop: Header=BB6_5167 Depth=3
	s_or_b32 exec_lo, exec_lo, s73
	v_add_nc_u32_e32 v1, 0xffffff81, v7
	v_lshrrev_b32_e32 v5, 23, v0
	s_mov_b32 s13, exec_lo
	s_delay_alu instid0(VALU_DEP_2) | instskip(NEXT) | instid1(VALU_DEP_1)
	v_cndmask_b32_e64 v1, v1, 0xffffff82, vcc_lo
	v_add3_u32 v7, v114, v1, v5
	v_and_b32_e32 v1, 0x1fffff, v4
                                        ; implicit-def: $vgpr4
	s_delay_alu instid0(VALU_DEP_1) | instskip(SKIP_1) | instid1(VALU_DEP_2)
	v_dual_add_nc_u32 v5, 14, v7 :: v_dual_add_nc_u32 v0, v1, v0
	v_mov_b32_e32 v1, v21
	v_cmpx_ne_u32_e32 0, v5
	s_xor_b32 s13, exec_lo, s13
; %bb.7633:                             ;   in Loop: Header=BB6_5167 Depth=3
	s_delay_alu instid0(VALU_DEP_2) | instskip(SKIP_1) | instid1(VALU_DEP_1)
	v_cmp_lt_u64_e32 vcc_lo, 0xffffff, v[0:1]
	v_add_nc_u32_e32 v4, 15, v7
	v_cndmask_b32_e32 v4, v5, v4, vcc_lo
	v_cndmask_b32_e64 v5, 0, 1, vcc_lo
	s_delay_alu instid0(VALU_DEP_1)
	v_lshrrev_b64 v[0:1], v5, v[0:1]
; %bb.7634:                             ;   in Loop: Header=BB6_5167 Depth=3
	s_and_not1_saveexec_b32 s13, s13
; %bb.7635:                             ;   in Loop: Header=BB6_5167 Depth=3
	s_delay_alu instid0(VALU_DEP_1)
	v_bfe_u32 v4, v0, 23, 1
; %bb.7636:                             ;   in Loop: Header=BB6_5167 Depth=3
	s_or_b32 exec_lo, exec_lo, s13
	s_delay_alu instid0(VALU_DEP_2) | instskip(NEXT) | instid1(VALU_DEP_2)
	v_lshrrev_b64 v[0:1], 21, v[0:1]
	v_cmp_gt_i32_e32 vcc_lo, 32, v4
	v_min_i32_e32 v5, 31, v4
	v_cmp_eq_u32_e64 s13, 0, v4
	s_delay_alu instid0(VALU_DEP_4) | instskip(NEXT) | instid1(VALU_DEP_3)
	v_cndmask_b32_e32 v1, 0, v1, vcc_lo
	v_dual_cndmask_b32 v0, 3, v0 :: v_dual_lshlrev_b32 v5, 2, v5
	s_delay_alu instid0(VALU_DEP_1) | instskip(NEXT) | instid1(VALU_DEP_2)
	v_and_b32_e32 v5, 0xfc, v5
	v_cmp_eq_u64_e32 vcc_lo, 0, v[0:1]
	s_delay_alu instid0(VALU_DEP_2)
	v_and_or_b32 v0, v0, 3, v5
	s_and_b32 s13, s13, vcc_lo
	s_delay_alu instid0(VALU_DEP_1) | instid1(SALU_CYCLE_1)
	v_cndmask_b32_e64 v0, v0, 0, s13
	s_delay_alu instid0(VALU_DEP_1)
	v_or_b32_e32 v7, v0, v113
.LBB6_7637:                             ;   in Loop: Header=BB6_5167 Depth=3
	s_or_b32 exec_lo, exec_lo, s72
                                        ; implicit-def: $vgpr113
.LBB6_7638:                             ;   in Loop: Header=BB6_5167 Depth=3
	s_and_not1_saveexec_b32 s13, s43
; %bb.7639:                             ;   in Loop: Header=BB6_5167 Depth=3
	v_or_b32_e32 v7, 0x7b, v113
; %bb.7640:                             ;   in Loop: Header=BB6_5167 Depth=3
	s_or_b32 exec_lo, exec_lo, s13
                                        ; implicit-def: $vgpr4
                                        ; implicit-def: $vgpr0_vgpr1
                                        ; implicit-def: $vgpr5
.LBB6_7641:                             ;   in Loop: Header=BB6_5167 Depth=3
	s_and_not1_saveexec_b32 s13, s42
	s_cbranch_execz .LBB6_7647
; %bb.7642:                             ;   in Loop: Header=BB6_5167 Depth=3
	s_mov_b32 s42, exec_lo
                                        ; implicit-def: $vgpr7
	v_cmpx_ne_u64_e32 0, v[0:1]
	s_xor_b32 s42, exec_lo, s42
; %bb.7643:                             ;   in Loop: Header=BB6_5167 Depth=3
	v_or_b32_e32 v7, 0x7f, v5
                                        ; implicit-def: $vgpr4
; %bb.7644:                             ;   in Loop: Header=BB6_5167 Depth=3
	s_and_not1_saveexec_b32 s42, s42
; %bb.7645:                             ;   in Loop: Header=BB6_5167 Depth=3
	v_cmp_lt_i32_e32 vcc_lo, -1, v4
	v_mov_b32_e32 v0, 0x7c
	s_delay_alu instid0(VALU_DEP_1)
	v_cndmask_b32_e32 v7, 0xfc, v0, vcc_lo
; %bb.7646:                             ;   in Loop: Header=BB6_5167 Depth=3
	s_or_b32 exec_lo, exec_lo, s42
.LBB6_7647:                             ;   in Loop: Header=BB6_5167 Depth=3
	s_delay_alu instid0(SALU_CYCLE_1) | instskip(SKIP_3) | instid1(VALU_DEP_2)
	s_or_b32 exec_lo, exec_lo, s13
	v_dual_mov_b32 v1, 0 :: v_dual_lshrrev_b32 v0, 16, v3
	v_mov_b32_e32 v4, 0
	s_mov_b32 s42, exec_lo
	v_and_b32_e32 v5, 0xff, v0
	s_delay_alu instid0(VALU_DEP_1)
	v_cmpx_ne_u16_e32 0, v5
	s_cbranch_execz .LBB6_7657
; %bb.7648:                             ;   in Loop: Header=BB6_5167 Depth=3
	v_bfrev_b32_e32 v4, 1
	s_mov_b32 s43, exec_lo
	v_cmpx_ne_u16_e32 0x80, v5
	s_cbranch_execz .LBB6_7656
; %bb.7649:                             ;   in Loop: Header=BB6_5167 Depth=3
	v_and_b32_e32 v4, 0x7c0000, v3
	v_bfe_u32 v5, v3, 16, 2
	s_delay_alu instid0(VALU_DEP_2) | instskip(SKIP_1) | instid1(SALU_CYCLE_1)
	v_cmp_ne_u32_e32 vcc_lo, 0x7c0000, v4
                                        ; implicit-def: $vgpr4
	s_and_saveexec_b32 s13, vcc_lo
	s_xor_b32 s13, exec_lo, s13
	s_cbranch_execz .LBB6_7653
; %bb.7650:                             ;   in Loop: Header=BB6_5167 Depth=3
	v_bfe_u32 v4, v3, 18, 5
	s_mov_b32 s72, exec_lo
	s_delay_alu instid0(VALU_DEP_1)
	v_cmpx_eq_u32_e32 0, v4
; %bb.7651:                             ;   in Loop: Header=BB6_5167 Depth=3
	v_clz_i32_u32_e32 v4, v5
	s_delay_alu instid0(VALU_DEP_1) | instskip(NEXT) | instid1(VALU_DEP_1)
	v_min_u32_e32 v4, 32, v4
	v_subrev_nc_u32_e32 v5, 29, v4
	s_delay_alu instid0(VALU_DEP_1) | instskip(NEXT) | instid1(VALU_DEP_1)
	v_lshlrev_b64_e32 v[114:115], v5, v[0:1]
	v_dual_sub_nc_u32 v4, 30, v4 :: v_dual_bitop2_b32 v5, 3, v114 bitop3:0x40
; %bb.7652:                             ;   in Loop: Header=BB6_5167 Depth=3
	s_or_b32 exec_lo, exec_lo, s72
	v_lshlrev_b32_e32 v0, 24, v0
	s_delay_alu instid0(VALU_DEP_1) | instskip(NEXT) | instid1(VALU_DEP_1)
	v_and_b32_e32 v0, 0x80000000, v0
	v_lshl_add_u32 v0, v4, 23, v0
	s_delay_alu instid0(VALU_DEP_1) | instskip(NEXT) | instid1(VALU_DEP_1)
	v_lshl_or_b32 v0, v5, 21, v0
                                        ; implicit-def: $vgpr5
	v_add_nc_u32_e32 v4, 0x38000000, v0
                                        ; implicit-def: $vgpr0
.LBB6_7653:                             ;   in Loop: Header=BB6_5167 Depth=3
	s_and_not1_saveexec_b32 s72, s13
; %bb.7654:                             ;   in Loop: Header=BB6_5167 Depth=3
	v_bfe_i32 v0, v0, 0, 8
	v_cmp_eq_u32_e32 vcc_lo, 0, v5
	s_delay_alu instid0(VALU_DEP_2) | instskip(SKIP_1) | instid1(VALU_DEP_1)
	v_cmp_lt_i16_e64 s13, -1, v0
	v_mov_b32_e32 v0, 0x7f800000
	v_cndmask_b32_e64 v0, 0xff800000, v0, s13
	s_delay_alu instid0(VALU_DEP_1)
	v_cndmask_b32_e32 v4, 0x7f800001, v0, vcc_lo
; %bb.7655:                             ;   in Loop: Header=BB6_5167 Depth=3
	s_or_b32 exec_lo, exec_lo, s72
.LBB6_7656:                             ;   in Loop: Header=BB6_5167 Depth=3
	s_delay_alu instid0(SALU_CYCLE_1)
	s_or_b32 exec_lo, exec_lo, s43
.LBB6_7657:                             ;   in Loop: Header=BB6_5167 Depth=3
	s_delay_alu instid0(SALU_CYCLE_1) | instskip(SKIP_2) | instid1(VALU_DEP_1)
	s_or_b32 exec_lo, exec_lo, s42
	v_lshrrev_b32_e32 v0, 16, v11
	s_mov_b32 s42, exec_lo
	v_and_b32_e32 v5, 0xff, v0
	s_delay_alu instid0(VALU_DEP_1)
	v_cmpx_ne_u16_e32 0, v5
	s_cbranch_execz .LBB6_7667
; %bb.7658:                             ;   in Loop: Header=BB6_5167 Depth=3
	v_bfrev_b32_e32 v1, 1
	s_mov_b32 s43, exec_lo
	v_cmpx_ne_u16_e32 0x80, v5
	s_cbranch_execz .LBB6_7666
; %bb.7659:                             ;   in Loop: Header=BB6_5167 Depth=3
	v_and_b32_e32 v1, 0x7c0000, v11
	v_bfe_u32 v5, v11, 16, 2
	s_delay_alu instid0(VALU_DEP_2) | instskip(SKIP_1) | instid1(SALU_CYCLE_1)
	v_cmp_ne_u32_e32 vcc_lo, 0x7c0000, v1
                                        ; implicit-def: $vgpr1
	s_and_saveexec_b32 s13, vcc_lo
	s_xor_b32 s13, exec_lo, s13
	s_cbranch_execz .LBB6_7663
; %bb.7660:                             ;   in Loop: Header=BB6_5167 Depth=3
	v_bfe_u32 v1, v11, 18, 5
	s_mov_b32 s72, exec_lo
	s_delay_alu instid0(VALU_DEP_1)
	v_cmpx_eq_u32_e32 0, v1
; %bb.7661:                             ;   in Loop: Header=BB6_5167 Depth=3
	v_clz_i32_u32_e32 v1, v5
	s_delay_alu instid0(VALU_DEP_1) | instskip(NEXT) | instid1(VALU_DEP_1)
	v_min_u32_e32 v1, 32, v1
	v_subrev_nc_u32_e32 v5, 29, v1
	s_delay_alu instid0(VALU_DEP_1) | instskip(NEXT) | instid1(VALU_DEP_1)
	v_lshlrev_b64_e32 v[114:115], v5, v[0:1]
	v_dual_sub_nc_u32 v1, 30, v1 :: v_dual_bitop2_b32 v5, 3, v114 bitop3:0x40
; %bb.7662:                             ;   in Loop: Header=BB6_5167 Depth=3
	s_or_b32 exec_lo, exec_lo, s72
	v_lshlrev_b32_e32 v0, 24, v0
	s_delay_alu instid0(VALU_DEP_1) | instskip(NEXT) | instid1(VALU_DEP_1)
	v_and_b32_e32 v0, 0x80000000, v0
	v_lshl_add_u32 v0, v1, 23, v0
	s_delay_alu instid0(VALU_DEP_1) | instskip(NEXT) | instid1(VALU_DEP_1)
	v_lshl_or_b32 v0, v5, 21, v0
                                        ; implicit-def: $vgpr5
	v_add_nc_u32_e32 v1, 0x38000000, v0
                                        ; implicit-def: $vgpr0
.LBB6_7663:                             ;   in Loop: Header=BB6_5167 Depth=3
	s_and_not1_saveexec_b32 s72, s13
; %bb.7664:                             ;   in Loop: Header=BB6_5167 Depth=3
	v_bfe_i32 v0, v0, 0, 8
	v_cmp_eq_u32_e32 vcc_lo, 0, v5
	s_delay_alu instid0(VALU_DEP_2) | instskip(SKIP_1) | instid1(VALU_DEP_1)
	v_cmp_lt_i16_e64 s13, -1, v0
	v_mov_b32_e32 v0, 0x7f800000
	v_cndmask_b32_e64 v0, 0xff800000, v0, s13
	s_delay_alu instid0(VALU_DEP_1)
	v_cndmask_b32_e32 v1, 0x7f800001, v0, vcc_lo
; %bb.7665:                             ;   in Loop: Header=BB6_5167 Depth=3
	s_or_b32 exec_lo, exec_lo, s72
.LBB6_7666:                             ;   in Loop: Header=BB6_5167 Depth=3
	s_delay_alu instid0(SALU_CYCLE_1)
	s_or_b32 exec_lo, exec_lo, s43
.LBB6_7667:                             ;   in Loop: Header=BB6_5167 Depth=3
	s_delay_alu instid0(SALU_CYCLE_1) | instskip(NEXT) | instid1(VALU_DEP_1)
	s_or_b32 exec_lo, exec_lo, s42
	v_dual_mul_f32 v5, v4, v1 :: v_dual_mov_b32 v115, v21
	v_mov_b32_e32 v1, v21
                                        ; implicit-def: $vgpr4
	s_mov_b32 s13, exec_lo
	s_delay_alu instid0(VALU_DEP_2) | instskip(SKIP_2) | instid1(VALU_DEP_3)
	v_and_b32_e32 v114, 0x7f800000, v5
	v_and_b32_e32 v0, 0x7fffff, v5
	v_lshrrev_b32_e32 v113, 24, v5
	v_cmpx_ne_u64_e32 0x7f800000, v[114:115]
	s_xor_b32 s42, exec_lo, s13
	s_cbranch_execz .LBB6_7681
; %bb.7668:                             ;   in Loop: Header=BB6_5167 Depth=3
	v_and_b32_e32 v114, 0x7fffffff, v5
	v_mov_b32_e32 v115, v21
	v_and_b32_e32 v113, 0x80, v113
                                        ; implicit-def: $vgpr4
	s_mov_b32 s13, exec_lo
	s_delay_alu instid0(VALU_DEP_2)
	v_cmpx_gt_u64_e32 0x47600001, v[114:115]
	s_xor_b32 s43, exec_lo, s13
	s_cbranch_execz .LBB6_7678
; %bb.7669:                             ;   in Loop: Header=BB6_5167 Depth=3
	v_mov_b32_e32 v4, 0
	s_mov_b32 s72, exec_lo
	v_cmpx_ne_u32_e32 0, v5
	s_cbranch_execz .LBB6_7677
; %bb.7670:                             ;   in Loop: Header=BB6_5167 Depth=3
	v_bfe_u32 v114, v5, 23, 8
	v_or_b32_e32 v5, 0x800000, v0
	s_delay_alu instid0(VALU_DEP_2) | instskip(SKIP_2) | instid1(VALU_DEP_2)
	v_cmp_gt_u32_e64 s13, 0x72, v114
	v_sub_nc_u32_e32 v4, 0x71, v114
	v_cmp_eq_u32_e32 vcc_lo, 0, v114
	v_cndmask_b32_e64 v4, 0, v4, s13
	s_delay_alu instid0(VALU_DEP_1) | instskip(NEXT) | instid1(VALU_DEP_1)
	v_cndmask_b32_e64 v115, v4, 0x70, vcc_lo
	v_dual_cndmask_b32 v0, v5, v0, vcc_lo :: v_dual_add_nc_u32 v4, 21, v115
	v_add_nc_u32_e32 v116, 20, v115
	s_delay_alu instid0(VALU_DEP_2) | instskip(NEXT) | instid1(VALU_DEP_2)
	v_lshlrev_b64_e64 v[4:5], v4, -1
	v_lshlrev_b64_e64 v[116:117], v116, 1
	s_delay_alu instid0(VALU_DEP_2) | instskip(SKIP_1) | instid1(VALU_DEP_4)
	v_bfi_b32 v4, v4, 0, v0
	v_lshrrev_b64 v[0:1], v115, v[0:1]
	v_bfi_b32 v5, v5, 0, 0
	s_delay_alu instid0(VALU_DEP_1) | instskip(NEXT) | instid1(VALU_DEP_3)
	v_cmp_eq_u64_e64 s13, v[4:5], v[116:117]
	v_mov_b64_e32 v[4:5], v[0:1]
	s_and_saveexec_b32 s73, s13
; %bb.7671:                             ;   in Loop: Header=BB6_5167 Depth=3
	v_bfe_u32 v4, v0, 21, 1
	v_mov_b32_e32 v5, v21
	s_delay_alu instid0(VALU_DEP_1) | instskip(NEXT) | instid1(VALU_DEP_1)
	v_add_nc_u64_e32 v[4:5], v[0:1], v[4:5]
	v_add_nc_u64_e32 v[4:5], -1, v[4:5]
; %bb.7672:                             ;   in Loop: Header=BB6_5167 Depth=3
	s_or_b32 exec_lo, exec_lo, s73
	v_add_nc_u32_e32 v1, 0xffffff81, v114
	v_lshrrev_b32_e32 v5, 23, v0
	s_mov_b32 s13, exec_lo
	s_delay_alu instid0(VALU_DEP_2) | instskip(NEXT) | instid1(VALU_DEP_1)
	v_cndmask_b32_e64 v1, v1, 0xffffff82, vcc_lo
	v_add3_u32 v114, v115, v1, v5
	v_and_b32_e32 v1, 0x1fffff, v4
                                        ; implicit-def: $vgpr4
	s_delay_alu instid0(VALU_DEP_1) | instskip(SKIP_1) | instid1(VALU_DEP_2)
	v_dual_add_nc_u32 v5, 14, v114 :: v_dual_add_nc_u32 v0, v1, v0
	v_mov_b32_e32 v1, v21
	v_cmpx_ne_u32_e32 0, v5
	s_xor_b32 s13, exec_lo, s13
; %bb.7673:                             ;   in Loop: Header=BB6_5167 Depth=3
	s_delay_alu instid0(VALU_DEP_2) | instskip(SKIP_1) | instid1(VALU_DEP_1)
	v_cmp_lt_u64_e32 vcc_lo, 0xffffff, v[0:1]
	v_add_nc_u32_e32 v4, 15, v114
	v_cndmask_b32_e32 v4, v5, v4, vcc_lo
	v_cndmask_b32_e64 v5, 0, 1, vcc_lo
	s_delay_alu instid0(VALU_DEP_1)
	v_lshrrev_b64 v[0:1], v5, v[0:1]
; %bb.7674:                             ;   in Loop: Header=BB6_5167 Depth=3
	s_and_not1_saveexec_b32 s13, s13
; %bb.7675:                             ;   in Loop: Header=BB6_5167 Depth=3
	s_delay_alu instid0(VALU_DEP_1)
	v_bfe_u32 v4, v0, 23, 1
; %bb.7676:                             ;   in Loop: Header=BB6_5167 Depth=3
	s_or_b32 exec_lo, exec_lo, s13
	s_delay_alu instid0(VALU_DEP_2) | instskip(NEXT) | instid1(VALU_DEP_2)
	v_lshrrev_b64 v[0:1], 21, v[0:1]
	v_cmp_gt_i32_e32 vcc_lo, 32, v4
	v_min_i32_e32 v5, 31, v4
	v_cmp_eq_u32_e64 s13, 0, v4
	s_delay_alu instid0(VALU_DEP_4) | instskip(NEXT) | instid1(VALU_DEP_3)
	v_cndmask_b32_e32 v1, 0, v1, vcc_lo
	v_dual_cndmask_b32 v0, 3, v0 :: v_dual_lshlrev_b32 v5, 2, v5
	s_delay_alu instid0(VALU_DEP_1) | instskip(NEXT) | instid1(VALU_DEP_2)
	v_and_b32_e32 v5, 0xfc, v5
	v_cmp_eq_u64_e32 vcc_lo, 0, v[0:1]
	s_delay_alu instid0(VALU_DEP_2)
	v_and_or_b32 v0, v0, 3, v5
	s_and_b32 s13, s13, vcc_lo
	s_delay_alu instid0(VALU_DEP_1) | instid1(SALU_CYCLE_1)
	v_cndmask_b32_e64 v0, v0, 0, s13
	s_delay_alu instid0(VALU_DEP_1)
	v_or_b32_e32 v4, v0, v113
.LBB6_7677:                             ;   in Loop: Header=BB6_5167 Depth=3
	s_or_b32 exec_lo, exec_lo, s72
                                        ; implicit-def: $vgpr113
.LBB6_7678:                             ;   in Loop: Header=BB6_5167 Depth=3
	s_and_not1_saveexec_b32 s13, s43
; %bb.7679:                             ;   in Loop: Header=BB6_5167 Depth=3
	v_or_b32_e32 v4, 0x7b, v113
; %bb.7680:                             ;   in Loop: Header=BB6_5167 Depth=3
	s_or_b32 exec_lo, exec_lo, s13
                                        ; implicit-def: $vgpr5
                                        ; implicit-def: $vgpr0_vgpr1
                                        ; implicit-def: $vgpr113
.LBB6_7681:                             ;   in Loop: Header=BB6_5167 Depth=3
	s_and_not1_saveexec_b32 s13, s42
	s_cbranch_execz .LBB6_7687
; %bb.7682:                             ;   in Loop: Header=BB6_5167 Depth=3
	s_mov_b32 s42, exec_lo
                                        ; implicit-def: $vgpr4
	v_cmpx_ne_u64_e32 0, v[0:1]
	s_xor_b32 s42, exec_lo, s42
; %bb.7683:                             ;   in Loop: Header=BB6_5167 Depth=3
	v_or_b32_e32 v4, 0x7f, v113
                                        ; implicit-def: $vgpr5
; %bb.7684:                             ;   in Loop: Header=BB6_5167 Depth=3
	s_and_not1_saveexec_b32 s42, s42
; %bb.7685:                             ;   in Loop: Header=BB6_5167 Depth=3
	v_cmp_lt_i32_e32 vcc_lo, -1, v5
	v_mov_b32_e32 v0, 0x7c
	s_delay_alu instid0(VALU_DEP_1)
	v_cndmask_b32_e32 v4, 0xfc, v0, vcc_lo
; %bb.7686:                             ;   in Loop: Header=BB6_5167 Depth=3
	s_or_b32 exec_lo, exec_lo, s42
.LBB6_7687:                             ;   in Loop: Header=BB6_5167 Depth=3
	s_delay_alu instid0(SALU_CYCLE_1)
	s_or_b32 exec_lo, exec_lo, s13
	v_dual_mov_b32 v1, 0 :: v_dual_mov_b32 v5, 0
	s_mov_b32 s42, exec_lo
	v_cmpx_lt_u64_e64 s[22:23], v[2:3]
	s_cbranch_execz .LBB6_7697
; %bb.7688:                             ;   in Loop: Header=BB6_5167 Depth=3
	v_lshrrev_b32_e32 v0, 24, v3
	v_bfrev_b32_e32 v5, 1
	s_mov_b32 s43, exec_lo
	s_delay_alu instid0(VALU_DEP_2)
	v_cmpx_ne_u32_e32 0x80, v0
	s_cbranch_execz .LBB6_7696
; %bb.7689:                             ;   in Loop: Header=BB6_5167 Depth=3
	v_and_b32_e32 v5, 0x7c000000, v3
	v_bfe_u32 v113, v3, 24, 2
	s_delay_alu instid0(VALU_DEP_2) | instskip(SKIP_1) | instid1(SALU_CYCLE_1)
	v_cmp_ne_u32_e32 vcc_lo, 0x7c000000, v5
                                        ; implicit-def: $vgpr5
	s_and_saveexec_b32 s13, vcc_lo
	s_xor_b32 s13, exec_lo, s13
	s_cbranch_execz .LBB6_7693
; %bb.7690:                             ;   in Loop: Header=BB6_5167 Depth=3
	v_bfe_u32 v2, v3, 26, 5
	s_mov_b32 s72, exec_lo
	s_delay_alu instid0(VALU_DEP_1)
	v_cmpx_eq_u32_e32 0, v2
; %bb.7691:                             ;   in Loop: Header=BB6_5167 Depth=3
	v_clz_i32_u32_e32 v2, v113
	s_delay_alu instid0(VALU_DEP_1) | instskip(NEXT) | instid1(VALU_DEP_1)
	v_min_u32_e32 v2, 32, v2
	v_subrev_nc_u32_e32 v5, 29, v2
	v_sub_nc_u32_e32 v2, 30, v2
	s_delay_alu instid0(VALU_DEP_2) | instskip(NEXT) | instid1(VALU_DEP_1)
	v_lshlrev_b64_e32 v[114:115], v5, v[0:1]
	v_and_b32_e32 v113, 3, v114
; %bb.7692:                             ;   in Loop: Header=BB6_5167 Depth=3
	s_or_b32 exec_lo, exec_lo, s72
	v_and_b32_e32 v0, 0x80000000, v3
	s_delay_alu instid0(VALU_DEP_1) | instskip(NEXT) | instid1(VALU_DEP_1)
	v_lshl_add_u32 v0, v2, 23, v0
                                        ; implicit-def: $vgpr2_vgpr3
	v_lshl_or_b32 v0, v113, 21, v0
                                        ; implicit-def: $vgpr113
	s_delay_alu instid0(VALU_DEP_1)
	v_add_nc_u32_e32 v5, 0x38000000, v0
.LBB6_7693:                             ;   in Loop: Header=BB6_5167 Depth=3
	s_and_not1_saveexec_b32 s72, s13
; %bb.7694:                             ;   in Loop: Header=BB6_5167 Depth=3
	v_cmp_lt_i64_e64 s13, -1, v[2:3]
	v_mov_b32_e32 v0, 0x7f800000
	v_cmp_eq_u32_e32 vcc_lo, 0, v113
	s_delay_alu instid0(VALU_DEP_2) | instskip(NEXT) | instid1(VALU_DEP_1)
	v_cndmask_b32_e64 v0, 0xff800000, v0, s13
	v_cndmask_b32_e32 v5, 0x7f800001, v0, vcc_lo
; %bb.7695:                             ;   in Loop: Header=BB6_5167 Depth=3
	s_or_b32 exec_lo, exec_lo, s72
.LBB6_7696:                             ;   in Loop: Header=BB6_5167 Depth=3
	s_delay_alu instid0(SALU_CYCLE_1)
	s_or_b32 exec_lo, exec_lo, s43
.LBB6_7697:                             ;   in Loop: Header=BB6_5167 Depth=3
	s_delay_alu instid0(SALU_CYCLE_1) | instskip(NEXT) | instid1(SALU_CYCLE_1)
	s_or_b32 exec_lo, exec_lo, s42
	s_mov_b32 s42, exec_lo
	v_cmpx_lt_u64_e64 s[22:23], v[10:11]
	s_cbranch_execz .LBB6_7707
; %bb.7698:                             ;   in Loop: Header=BB6_5167 Depth=3
	v_lshrrev_b32_e32 v0, 24, v11
	v_bfrev_b32_e32 v1, 1
	s_mov_b32 s43, exec_lo
	s_delay_alu instid0(VALU_DEP_2)
	v_cmpx_ne_u32_e32 0x80, v0
	s_cbranch_execz .LBB6_7706
; %bb.7699:                             ;   in Loop: Header=BB6_5167 Depth=3
	v_and_b32_e32 v1, 0x7c000000, v11
	v_bfe_u32 v2, v11, 24, 2
	s_delay_alu instid0(VALU_DEP_2) | instskip(SKIP_1) | instid1(SALU_CYCLE_1)
	v_cmp_ne_u32_e32 vcc_lo, 0x7c000000, v1
                                        ; implicit-def: $vgpr1
	s_and_saveexec_b32 s13, vcc_lo
	s_xor_b32 s13, exec_lo, s13
	s_cbranch_execz .LBB6_7703
; %bb.7700:                             ;   in Loop: Header=BB6_5167 Depth=3
	v_bfe_u32 v1, v11, 26, 5
	s_mov_b32 s72, exec_lo
	s_delay_alu instid0(VALU_DEP_1)
	v_cmpx_eq_u32_e32 0, v1
; %bb.7701:                             ;   in Loop: Header=BB6_5167 Depth=3
	v_clz_i32_u32_e32 v1, v2
	s_delay_alu instid0(VALU_DEP_1) | instskip(NEXT) | instid1(VALU_DEP_1)
	v_min_u32_e32 v2, 32, v1
	v_subrev_nc_u32_e32 v1, 29, v2
	s_delay_alu instid0(VALU_DEP_1) | instskip(NEXT) | instid1(VALU_DEP_1)
	v_lshlrev_b64_e32 v[0:1], v1, v[0:1]
	v_dual_sub_nc_u32 v1, 30, v2 :: v_dual_bitop2_b32 v2, 3, v0 bitop3:0x40
; %bb.7702:                             ;   in Loop: Header=BB6_5167 Depth=3
	s_or_b32 exec_lo, exec_lo, s72
	v_and_b32_e32 v0, 0x80000000, v11
                                        ; implicit-def: $vgpr10_vgpr11
	s_delay_alu instid0(VALU_DEP_1) | instskip(NEXT) | instid1(VALU_DEP_1)
	v_lshl_add_u32 v0, v1, 23, v0
	v_lshl_or_b32 v0, v2, 21, v0
                                        ; implicit-def: $vgpr2
	s_delay_alu instid0(VALU_DEP_1)
	v_add_nc_u32_e32 v1, 0x38000000, v0
.LBB6_7703:                             ;   in Loop: Header=BB6_5167 Depth=3
	s_and_not1_saveexec_b32 s72, s13
; %bb.7704:                             ;   in Loop: Header=BB6_5167 Depth=3
	v_cmp_lt_i64_e64 s13, -1, v[10:11]
	v_mov_b32_e32 v0, 0x7f800000
	v_cmp_eq_u32_e32 vcc_lo, 0, v2
	s_delay_alu instid0(VALU_DEP_2) | instskip(NEXT) | instid1(VALU_DEP_1)
	v_cndmask_b32_e64 v0, 0xff800000, v0, s13
	v_cndmask_b32_e32 v1, 0x7f800001, v0, vcc_lo
; %bb.7705:                             ;   in Loop: Header=BB6_5167 Depth=3
	s_or_b32 exec_lo, exec_lo, s72
.LBB6_7706:                             ;   in Loop: Header=BB6_5167 Depth=3
	s_delay_alu instid0(SALU_CYCLE_1)
	s_or_b32 exec_lo, exec_lo, s43
.LBB6_7707:                             ;   in Loop: Header=BB6_5167 Depth=3
	s_delay_alu instid0(SALU_CYCLE_1) | instskip(NEXT) | instid1(VALU_DEP_1)
	s_or_b32 exec_lo, exec_lo, s42
	v_mul_f32_e32 v3, v5, v1
	v_dual_mov_b32 v11, v21 :: v_dual_mov_b32 v1, v21
                                        ; implicit-def: $vgpr2
	s_mov_b32 s13, exec_lo
	s_delay_alu instid0(VALU_DEP_2) | instskip(SKIP_2) | instid1(VALU_DEP_3)
	v_and_b32_e32 v10, 0x7f800000, v3
	v_and_b32_e32 v0, 0x7fffff, v3
	v_lshrrev_b32_e32 v5, 24, v3
	v_cmpx_ne_u64_e32 0x7f800000, v[10:11]
	s_xor_b32 s42, exec_lo, s13
	s_cbranch_execz .LBB6_7721
; %bb.7708:                             ;   in Loop: Header=BB6_5167 Depth=3
	v_and_b32_e32 v10, 0x7fffffff, v3
	v_mov_b32_e32 v11, v21
	v_and_b32_e32 v5, 0x80, v5
                                        ; implicit-def: $vgpr2
	s_mov_b32 s13, exec_lo
	s_delay_alu instid0(VALU_DEP_2)
	v_cmpx_gt_u64_e32 0x47600001, v[10:11]
	s_xor_b32 s43, exec_lo, s13
	s_cbranch_execz .LBB6_7718
; %bb.7709:                             ;   in Loop: Header=BB6_5167 Depth=3
	v_mov_b32_e32 v2, 0
	s_mov_b32 s72, exec_lo
	v_cmpx_ne_u32_e32 0, v3
	s_cbranch_execz .LBB6_7717
; %bb.7710:                             ;   in Loop: Header=BB6_5167 Depth=3
	v_bfe_u32 v10, v3, 23, 8
	v_or_b32_e32 v3, 0x800000, v0
	s_delay_alu instid0(VALU_DEP_2) | instskip(SKIP_2) | instid1(VALU_DEP_2)
	v_cmp_gt_u32_e64 s13, 0x72, v10
	v_sub_nc_u32_e32 v2, 0x71, v10
	v_cmp_eq_u32_e32 vcc_lo, 0, v10
	v_dual_cndmask_b32 v2, 0, v2, s13 :: v_dual_cndmask_b32 v0, v3, v0, vcc_lo
	s_delay_alu instid0(VALU_DEP_1) | instskip(NEXT) | instid1(VALU_DEP_1)
	v_cndmask_b32_e64 v11, v2, 0x70, vcc_lo
	v_dual_add_nc_u32 v2, 21, v11 :: v_dual_add_nc_u32 v113, 20, v11
	s_delay_alu instid0(VALU_DEP_1) | instskip(NEXT) | instid1(VALU_DEP_2)
	v_lshlrev_b64_e64 v[2:3], v2, -1
	v_lshlrev_b64_e64 v[114:115], v113, 1
	s_delay_alu instid0(VALU_DEP_2) | instskip(SKIP_1) | instid1(VALU_DEP_4)
	v_bfi_b32 v2, v2, 0, v0
	v_lshrrev_b64 v[0:1], v11, v[0:1]
	v_bfi_b32 v3, v3, 0, 0
	s_delay_alu instid0(VALU_DEP_1) | instskip(NEXT) | instid1(VALU_DEP_3)
	v_cmp_eq_u64_e64 s13, v[2:3], v[114:115]
	v_mov_b64_e32 v[2:3], v[0:1]
	s_and_saveexec_b32 s73, s13
; %bb.7711:                             ;   in Loop: Header=BB6_5167 Depth=3
	v_bfe_u32 v2, v0, 21, 1
	v_mov_b32_e32 v3, v21
	s_delay_alu instid0(VALU_DEP_1) | instskip(NEXT) | instid1(VALU_DEP_1)
	v_add_nc_u64_e32 v[2:3], v[0:1], v[2:3]
	v_add_nc_u64_e32 v[2:3], -1, v[2:3]
; %bb.7712:                             ;   in Loop: Header=BB6_5167 Depth=3
	s_or_b32 exec_lo, exec_lo, s73
	v_add_nc_u32_e32 v1, 0xffffff81, v10
	v_lshrrev_b32_e32 v3, 23, v0
	s_mov_b32 s13, exec_lo
	s_delay_alu instid0(VALU_DEP_2) | instskip(NEXT) | instid1(VALU_DEP_1)
	v_cndmask_b32_e64 v1, v1, 0xffffff82, vcc_lo
	v_add3_u32 v10, v11, v1, v3
	v_and_b32_e32 v1, 0x1fffff, v2
                                        ; implicit-def: $vgpr2
	s_delay_alu instid0(VALU_DEP_1) | instskip(SKIP_1) | instid1(VALU_DEP_2)
	v_dual_add_nc_u32 v3, 14, v10 :: v_dual_add_nc_u32 v0, v1, v0
	v_mov_b32_e32 v1, v21
	v_cmpx_ne_u32_e32 0, v3
	s_xor_b32 s13, exec_lo, s13
; %bb.7713:                             ;   in Loop: Header=BB6_5167 Depth=3
	s_delay_alu instid0(VALU_DEP_2) | instskip(SKIP_1) | instid1(VALU_DEP_1)
	v_cmp_lt_u64_e32 vcc_lo, 0xffffff, v[0:1]
	v_add_nc_u32_e32 v2, 15, v10
	v_cndmask_b32_e32 v2, v3, v2, vcc_lo
	v_cndmask_b32_e64 v3, 0, 1, vcc_lo
	s_delay_alu instid0(VALU_DEP_1)
	v_lshrrev_b64 v[0:1], v3, v[0:1]
; %bb.7714:                             ;   in Loop: Header=BB6_5167 Depth=3
	s_and_not1_saveexec_b32 s13, s13
; %bb.7715:                             ;   in Loop: Header=BB6_5167 Depth=3
	s_delay_alu instid0(VALU_DEP_1)
	v_bfe_u32 v2, v0, 23, 1
; %bb.7716:                             ;   in Loop: Header=BB6_5167 Depth=3
	s_or_b32 exec_lo, exec_lo, s13
	s_delay_alu instid0(VALU_DEP_2) | instskip(NEXT) | instid1(VALU_DEP_2)
	v_lshrrev_b64 v[0:1], 21, v[0:1]
	v_cmp_gt_i32_e32 vcc_lo, 32, v2
	v_min_i32_e32 v3, 31, v2
	v_cmp_eq_u32_e64 s13, 0, v2
	s_delay_alu instid0(VALU_DEP_2) | instskip(SKIP_1) | instid1(VALU_DEP_2)
	v_dual_cndmask_b32 v1, 0, v1, vcc_lo :: v_dual_lshlrev_b32 v3, 2, v3
	v_cndmask_b32_e32 v0, 3, v0, vcc_lo
	v_and_b32_e32 v3, 0xfc, v3
	s_delay_alu instid0(VALU_DEP_2) | instskip(NEXT) | instid1(VALU_DEP_2)
	v_cmp_eq_u64_e32 vcc_lo, 0, v[0:1]
	v_and_or_b32 v0, v0, 3, v3
	s_and_b32 s13, s13, vcc_lo
	s_delay_alu instid0(VALU_DEP_1) | instid1(SALU_CYCLE_1)
	v_cndmask_b32_e64 v0, v0, 0, s13
	s_delay_alu instid0(VALU_DEP_1)
	v_or_b32_e32 v2, v0, v5
.LBB6_7717:                             ;   in Loop: Header=BB6_5167 Depth=3
	s_or_b32 exec_lo, exec_lo, s72
                                        ; implicit-def: $vgpr5
.LBB6_7718:                             ;   in Loop: Header=BB6_5167 Depth=3
	s_and_not1_saveexec_b32 s13, s43
; %bb.7719:                             ;   in Loop: Header=BB6_5167 Depth=3
	v_or_b32_e32 v2, 0x7b, v5
; %bb.7720:                             ;   in Loop: Header=BB6_5167 Depth=3
	s_or_b32 exec_lo, exec_lo, s13
                                        ; implicit-def: $vgpr3
                                        ; implicit-def: $vgpr0_vgpr1
                                        ; implicit-def: $vgpr5
.LBB6_7721:                             ;   in Loop: Header=BB6_5167 Depth=3
	s_and_not1_saveexec_b32 s13, s42
	s_cbranch_execz .LBB6_5166
; %bb.7722:                             ;   in Loop: Header=BB6_5167 Depth=3
	s_mov_b32 s42, exec_lo
                                        ; implicit-def: $vgpr2
	v_cmpx_ne_u64_e32 0, v[0:1]
	s_xor_b32 s42, exec_lo, s42
; %bb.7723:                             ;   in Loop: Header=BB6_5167 Depth=3
	v_or_b32_e32 v2, 0x7f, v5
                                        ; implicit-def: $vgpr3
; %bb.7724:                             ;   in Loop: Header=BB6_5167 Depth=3
	s_and_not1_saveexec_b32 s42, s42
	s_cbranch_execz .LBB6_5165
; %bb.7725:                             ;   in Loop: Header=BB6_5167 Depth=3
	v_cmp_lt_i32_e32 vcc_lo, -1, v3
	v_mov_b32_e32 v0, 0x7c
	s_delay_alu instid0(VALU_DEP_1)
	v_cndmask_b32_e32 v2, 0xfc, v0, vcc_lo
	s_branch .LBB6_5165
.LBB6_7726:                             ;   in Loop: Header=BB6_5083 Depth=2
	s_or_b32 exec_lo, exec_lo, s15
	s_clause 0x5
	scratch_load_b32 v80, off, s33 offset:364
	scratch_load_b128 v[82:85], off, s33 offset:368
	scratch_load_b64 v[86:87], off, s33 offset:384
	scratch_load_b64 v[96:97], off, s33 offset:392
	;; [unrolled: 1-line block ×4, first 2 shown]
	s_wait_loadcnt 0x4
	v_mov_b64_e32 v[84:85], v[40:41]
	v_mov_b64_e32 v[102:103], v[42:43]
	s_clause 0xe
	scratch_load_b64 v[114:115], off, s33 offset:416
	scratch_load_b64 v[42:43], off, s33 offset:348
	;; [unrolled: 1-line block ×8, first 2 shown]
	scratch_load_b32 v41, off, s33 offset:464
	scratch_load_b64 v[74:75], off, s33 offset:468
	scratch_load_b64 v[76:77], off, s33 offset:476
	;; [unrolled: 1-line block ×4, first 2 shown]
	scratch_load_b32 v88, off, s33 offset:336
	scratch_load_b64 v[108:109], off, s33 offset:340
	v_mov_b64_e32 v[116:117], 0
	v_mov_b64_e32 v[94:95], v[56:57]
	v_dual_mov_b32 v81, v118 :: v_dual_mov_b32 v118, 1
	v_dual_mov_b32 v119, 0x90 :: v_dual_mov_b32 v106, v110
	v_mov_b32_e32 v40, 0x88
.LBB6_7727:                             ;   in Loop: Header=BB6_5083 Depth=2
	s_wait_xcnt 0x0
	s_or_b32 exec_lo, exec_lo, s14
	scratch_load_b32 v0, off, s33 offset:296 ; 4-byte Folded Reload
	v_dual_lshlrev_b32 v26, 11, v29 :: v_dual_mov_b32 v6, 0
	s_mov_b32 s13, 0
                                        ; implicit-def: $vgpr20
                                        ; implicit-def: $vgpr4
	s_wait_loadcnt 0x0
	s_delay_alu instid0(VALU_DEP_1)
	v_cmp_ne_u32_e32 vcc_lo, v0, v26
                                        ; implicit-def: $vgpr0
	s_wait_xcnt 0x0
	s_and_saveexec_b32 s72, vcc_lo
	s_cbranch_execz .LBB6_8313
; %bb.7728:                             ;   in Loop: Header=BB6_5083 Depth=2
	s_clause 0x1
	scratch_load_b32 v1, off, s33 offset:492
	scratch_load_b32 v2, off, s33 offset:296
	v_lshlrev_b32_e32 v0, 5, v28
	s_mov_b32 s73, exec_lo
	s_wait_loadcnt 0x0
	s_delay_alu instid0(VALU_DEP_1) | instskip(NEXT) | instid1(VALU_DEP_1)
	v_dual_sub_nc_u32 v2, v2, v26 :: v_dual_sub_nc_u32 v0, v1, v0
	v_dual_ashrrev_i32 v3, 31, v2 :: v_dual_ashrrev_i32 v1, 31, v0
	s_delay_alu instid0(VALU_DEP_1) | instskip(NEXT) | instid1(VALU_DEP_1)
	v_dual_lshrrev_b32 v3, 23, v3 :: v_dual_lshrrev_b32 v1, 27, v1
	v_add_nc_u32_e32 v1, v0, v1
	s_delay_alu instid0(VALU_DEP_1) | instskip(NEXT) | instid1(VALU_DEP_1)
	v_and_b32_e32 v4, 0xffffffe0, v1
	v_dual_add_nc_u32 v3, v2, v3 :: v_dual_sub_nc_u32 v28, v0, v4
	s_delay_alu instid0(VALU_DEP_1) | instskip(SKIP_1) | instid1(VALU_DEP_3)
	v_and_b32_e32 v27, 0xfffffe00, v3
	v_dual_ashrrev_i32 v1, 5, v1 :: v_dual_ashrrev_i32 v3, 9, v3
	v_lshlrev_b32_e32 v0, 4, v28
	s_delay_alu instid0(VALU_DEP_1) | instskip(NEXT) | instid1(VALU_DEP_1)
	v_lshl_add_u32 v0, v1, 9, v0
	v_dual_sub_nc_u32 v29, v2, v27 :: v_dual_sub_nc_u32 v20, v2, v0
	s_delay_alu instid0(VALU_DEP_1) | instskip(NEXT) | instid1(VALU_DEP_1)
	v_cmp_lt_i32_e64 s13, 15, v29
	v_add_co_ci_u32_e64 v3, null, 0, v3, s13
	s_delay_alu instid0(VALU_DEP_1)
	v_sub_nc_u32_e32 v30, v3, v1
	s_wait_xcnt 0x0
	v_cmpx_lt_i32_e32 15, v20
	s_cbranch_execz .LBB6_8310
; %bb.7729:                             ;   in Loop: Header=BB6_5083 Depth=2
	s_trap 2
	s_clause 0x1
	scratch_load_b64 v[4:5], off, s33 offset:304
	scratch_load_b64 v[8:9], off, s33 offset:312
	ds_load_b64 v[2:3], v0
	v_add_nc_u32_e32 v0, v0, v26
	s_mov_b32 s74, 0
	s_delay_alu instid0(VALU_DEP_1) | instskip(NEXT) | instid1(VALU_DEP_1)
	v_ashrrev_i32_e32 v1, 31, v0
	v_add_nc_u64_e32 v[6:7], v[0:1], v[92:93]
	s_wait_dscnt 0x0
	v_add_nc_u64_e32 v[18:19], v[2:3], v[0:1]
	s_wait_loadcnt 0x1
	v_add_nc_u64_e32 v[4:5], v[0:1], v[4:5]
	s_wait_loadcnt 0x0
	v_add_nc_u64_e32 v[16:17], v[0:1], v[8:9]
.LBB6_7730:                             ;   Parent Loop BB6_47 Depth=1
                                        ;     Parent Loop BB6_5083 Depth=2
                                        ; =>    This Loop Header: Depth=3
                                        ;         Child Loop BB6_8283 Depth 4
	global_load_b128 v[0:3], v[16:17], off th:TH_LOAD_NT
	global_load_b128 v[8:11], v[18:19], off th:TH_LOAD_NT
	s_wait_loadcnt 0x1
	v_and_b32_e32 v12, 0xff, v0
	s_delay_alu instid0(VALU_DEP_1)
	v_cmp_ne_u16_e32 vcc_lo, 0, v12
	v_mov_b32_e32 v12, 0
	s_wait_xcnt 0x0
	s_and_saveexec_b32 s14, vcc_lo
	s_cbranch_execz .LBB6_7740
; %bb.7731:                             ;   in Loop: Header=BB6_7730 Depth=3
	v_bfe_i32 v14, v0, 0, 8
	v_bfrev_b32_e32 v12, 1
	s_mov_b32 s15, exec_lo
	s_delay_alu instid0(VALU_DEP_2)
	v_cmpx_ne_u16_e32 0xff80, v14
	s_cbranch_execz .LBB6_7739
; %bb.7732:                             ;   in Loop: Header=BB6_7730 Depth=3
	v_and_b32_e32 v12, 0x7c, v0
	v_and_b32_e32 v13, 3, v0
	s_delay_alu instid0(VALU_DEP_2) | instskip(SKIP_1) | instid1(SALU_CYCLE_1)
	v_cmp_ne_u32_e32 vcc_lo, 0x7c, v12
                                        ; implicit-def: $vgpr12
	s_and_saveexec_b32 s42, vcc_lo
	s_xor_b32 s42, exec_lo, s42
	s_cbranch_execz .LBB6_7736
; %bb.7733:                             ;   in Loop: Header=BB6_7730 Depth=3
	v_bfe_u32 v12, v0, 2, 5
	s_mov_b32 s43, exec_lo
	s_delay_alu instid0(VALU_DEP_1)
	v_cmpx_eq_u32_e32 0, v12
; %bb.7734:                             ;   in Loop: Header=BB6_7730 Depth=3
	v_clz_i32_u32_e32 v12, v13
	s_delay_alu instid0(VALU_DEP_1) | instskip(NEXT) | instid1(VALU_DEP_1)
	v_min_u32_e32 v12, 32, v12
	v_subrev_nc_u32_e32 v13, 29, v12
	s_delay_alu instid0(VALU_DEP_1) | instskip(NEXT) | instid1(VALU_DEP_1)
	v_lshlrev_b64_e32 v[14:15], v13, v[0:1]
	v_dual_sub_nc_u32 v12, 30, v12 :: v_dual_bitop2_b32 v13, 3, v14 bitop3:0x40
; %bb.7735:                             ;   in Loop: Header=BB6_7730 Depth=3
	s_or_b32 exec_lo, exec_lo, s43
	v_lshlrev_b32_e32 v14, 24, v0
	s_delay_alu instid0(VALU_DEP_1) | instskip(NEXT) | instid1(VALU_DEP_1)
	v_and_b32_e32 v14, 0x80000000, v14
	v_lshl_add_u32 v12, v12, 23, v14
                                        ; implicit-def: $vgpr14
	s_delay_alu instid0(VALU_DEP_1) | instskip(NEXT) | instid1(VALU_DEP_1)
	v_lshl_or_b32 v12, v13, 21, v12
                                        ; implicit-def: $vgpr13
	v_add_nc_u32_e32 v12, 0x38000000, v12
.LBB6_7736:                             ;   in Loop: Header=BB6_7730 Depth=3
	s_and_not1_saveexec_b32 s42, s42
; %bb.7737:                             ;   in Loop: Header=BB6_7730 Depth=3
	v_cmp_lt_i16_e32 vcc_lo, -1, v14
	v_mov_b32_e32 v12, 0x7f800000
	s_delay_alu instid0(VALU_DEP_1) | instskip(SKIP_1) | instid1(VALU_DEP_2)
	v_cndmask_b32_e32 v12, 0xff800000, v12, vcc_lo
	v_cmp_eq_u32_e32 vcc_lo, 0, v13
	v_cndmask_b32_e32 v12, 0x7f800001, v12, vcc_lo
; %bb.7738:                             ;   in Loop: Header=BB6_7730 Depth=3
	s_or_b32 exec_lo, exec_lo, s42
.LBB6_7739:                             ;   in Loop: Header=BB6_7730 Depth=3
	s_delay_alu instid0(SALU_CYCLE_1)
	s_or_b32 exec_lo, exec_lo, s15
.LBB6_7740:                             ;   in Loop: Header=BB6_7730 Depth=3
	s_delay_alu instid0(SALU_CYCLE_1) | instskip(SKIP_4) | instid1(VALU_DEP_1)
	s_or_b32 exec_lo, exec_lo, s14
	s_wait_loadcnt 0x0
	v_and_b32_e32 v14, 0xff, v8
	s_mov_b32 s15, 0
	s_mov_b32 s14, exec_lo
	v_cmpx_lt_i16_e32 0x7f, v14
	s_xor_b32 s14, exec_lo, s14
	s_cbranch_execz .LBB6_8285
; %bb.7741:                             ;   in Loop: Header=BB6_7730 Depth=3
	s_mov_b32 s15, -1
	s_mov_b32 s42, exec_lo
	v_cmpx_eq_u16_e32 0x80, v14
; %bb.7742:                             ;   in Loop: Header=BB6_7730 Depth=3
	s_xor_b32 s15, exec_lo, -1
; %bb.7743:                             ;   in Loop: Header=BB6_7730 Depth=3
	s_or_b32 exec_lo, exec_lo, s42
	s_delay_alu instid0(SALU_CYCLE_1)
	s_and_b32 s15, s15, exec_lo
                                        ; implicit-def: $vgpr14
	s_or_saveexec_b32 s14, s14
	v_bfrev_b32_e32 v13, 1
	s_xor_b32 exec_lo, exec_lo, s14
	s_cbranch_execnz .LBB6_8286
.LBB6_7744:                             ;   in Loop: Header=BB6_7730 Depth=3
	s_or_b32 exec_lo, exec_lo, s14
	s_and_saveexec_b32 s14, s15
	s_cbranch_execz .LBB6_7746
.LBB6_7745:                             ;   in Loop: Header=BB6_7730 Depth=3
	v_and_b32_e32 v13, 3, v8
	v_bfe_u32 v23, v8, 2, 5
	s_delay_alu instid0(VALU_DEP_2) | instskip(NEXT) | instid1(VALU_DEP_2)
	v_clz_i32_u32_e32 v14, v13
	v_cmp_eq_u32_e32 vcc_lo, 0, v23
	s_delay_alu instid0(VALU_DEP_2) | instskip(NEXT) | instid1(VALU_DEP_1)
	v_min_u32_e32 v22, 32, v14
	v_subrev_nc_u32_e32 v14, 29, v22
	v_sub_nc_u32_e32 v22, 30, v22
	s_delay_alu instid0(VALU_DEP_2) | instskip(NEXT) | instid1(VALU_DEP_2)
	v_lshlrev_b64_e32 v[14:15], v14, v[8:9]
	v_dual_cndmask_b32 v22, v23, v22 :: v_dual_lshlrev_b32 v15, 24, v8
	v_bfe_i32 v23, v8, 0, 8
	s_delay_alu instid0(VALU_DEP_2) | instskip(NEXT) | instid1(VALU_DEP_4)
	v_and_b32_e32 v15, 0x80000000, v15
	v_and_b32_e32 v14, 3, v14
	s_delay_alu instid0(VALU_DEP_2) | instskip(NEXT) | instid1(VALU_DEP_2)
	v_lshl_add_u32 v15, v22, 23, v15
	v_cndmask_b32_e32 v14, v13, v14, vcc_lo
	v_cmp_lt_i16_e32 vcc_lo, -1, v23
	v_mov_b32_e32 v22, 0x7f800000
	s_delay_alu instid0(VALU_DEP_3) | instskip(SKIP_1) | instid1(VALU_DEP_3)
	v_lshl_or_b32 v14, v14, 21, v15
	v_and_b32_e32 v15, 0x7c, v8
	v_cndmask_b32_e32 v22, 0xff800000, v22, vcc_lo
	v_cmp_eq_u32_e32 vcc_lo, 0, v13
	s_delay_alu instid0(VALU_DEP_4) | instskip(NEXT) | instid1(VALU_DEP_3)
	v_add_nc_u32_e32 v14, 0x38000000, v14
	v_cndmask_b32_e32 v13, 0x7f800001, v22, vcc_lo
	v_cmp_eq_u32_e32 vcc_lo, 0x7c, v15
	s_delay_alu instid0(VALU_DEP_2)
	v_cndmask_b32_e32 v13, v14, v13, vcc_lo
.LBB6_7746:                             ;   in Loop: Header=BB6_7730 Depth=3
	s_or_b32 exec_lo, exec_lo, s14
	s_delay_alu instid0(VALU_DEP_1) | instskip(SKIP_2) | instid1(VALU_DEP_2)
	v_dual_mul_f32 v14, v12, v13 :: v_dual_mov_b32 v23, v21
	v_mov_b32_e32 v13, v21
                                        ; implicit-def: $vgpr31
	s_mov_b32 s14, exec_lo
	v_and_b32_e32 v22, 0x7f800000, v14
	v_and_b32_e32 v12, 0x7fffff, v14
	v_lshrrev_b32_e32 v15, 24, v14
	s_delay_alu instid0(VALU_DEP_3)
	v_cmpx_ne_u64_e32 0x7f800000, v[22:23]
	s_xor_b32 s15, exec_lo, s14
	s_cbranch_execz .LBB6_7760
; %bb.7747:                             ;   in Loop: Header=BB6_7730 Depth=3
	v_and_b32_e32 v22, 0x7fffffff, v14
	v_mov_b32_e32 v23, v21
                                        ; implicit-def: $vgpr31
	s_delay_alu instid0(VALU_DEP_1) | instskip(SKIP_2) | instid1(SALU_CYCLE_1)
	v_cmp_gt_u64_e32 vcc_lo, 0x47600001, v[22:23]
	v_and_b32_e32 v22, 0x80, v15
	s_and_saveexec_b32 s14, vcc_lo
	s_xor_b32 s42, exec_lo, s14
	s_cbranch_execz .LBB6_7757
; %bb.7748:                             ;   in Loop: Header=BB6_7730 Depth=3
	v_mov_b32_e32 v31, 0
	s_mov_b32 s43, exec_lo
	v_cmpx_ne_u32_e32 0, v14
	s_cbranch_execz .LBB6_7756
; %bb.7749:                             ;   in Loop: Header=BB6_7730 Depth=3
	v_bfe_u32 v23, v14, 23, 8
	v_or_b32_e32 v25, 0x800000, v12
	s_delay_alu instid0(VALU_DEP_2) | instskip(SKIP_1) | instid1(VALU_DEP_2)
	v_sub_nc_u32_e32 v14, 0x71, v23
	v_cmp_gt_u32_e32 vcc_lo, 0x72, v23
	v_cndmask_b32_e32 v14, 0, v14, vcc_lo
	v_cmp_eq_u32_e32 vcc_lo, 0, v23
	s_delay_alu instid0(VALU_DEP_2) | instskip(SKIP_1) | instid1(VALU_DEP_2)
	v_cndmask_b32_e64 v24, v14, 0x70, vcc_lo
	v_cndmask_b32_e32 v12, v25, v12, vcc_lo
	v_dual_add_nc_u32 v14, 21, v24 :: v_dual_add_nc_u32 v31, 20, v24
	s_delay_alu instid0(VALU_DEP_1) | instskip(NEXT) | instid1(VALU_DEP_2)
	v_lshlrev_b64_e64 v[14:15], v14, -1
	v_lshlrev_b64_e64 v[32:33], v31, 1
	s_delay_alu instid0(VALU_DEP_2) | instskip(SKIP_1) | instid1(VALU_DEP_4)
	v_bfi_b32 v14, v14, 0, v12
	v_lshrrev_b64 v[12:13], v24, v[12:13]
	v_bfi_b32 v15, v15, 0, 0
	s_delay_alu instid0(VALU_DEP_1) | instskip(NEXT) | instid1(VALU_DEP_3)
	v_cmp_eq_u64_e64 s14, v[14:15], v[32:33]
	v_mov_b64_e32 v[14:15], v[12:13]
	s_and_saveexec_b32 s75, s14
; %bb.7750:                             ;   in Loop: Header=BB6_7730 Depth=3
	v_bfe_u32 v14, v12, 21, 1
	v_mov_b32_e32 v15, v21
	s_delay_alu instid0(VALU_DEP_1) | instskip(NEXT) | instid1(VALU_DEP_1)
	v_add_nc_u64_e32 v[14:15], v[12:13], v[14:15]
	v_add_nc_u64_e32 v[14:15], -1, v[14:15]
; %bb.7751:                             ;   in Loop: Header=BB6_7730 Depth=3
	s_or_b32 exec_lo, exec_lo, s75
	v_add_nc_u32_e32 v13, 0xffffff81, v23
	v_lshrrev_b32_e32 v15, 23, v12
	s_mov_b32 s14, exec_lo
	s_delay_alu instid0(VALU_DEP_2) | instskip(NEXT) | instid1(VALU_DEP_1)
	v_cndmask_b32_e64 v13, v13, 0xffffff82, vcc_lo
	v_add3_u32 v15, v24, v13, v15
	v_and_b32_e32 v13, 0x1fffff, v14
                                        ; implicit-def: $vgpr14
	s_delay_alu instid0(VALU_DEP_1) | instskip(SKIP_1) | instid1(VALU_DEP_2)
	v_dual_add_nc_u32 v23, 14, v15 :: v_dual_add_nc_u32 v12, v13, v12
	v_mov_b32_e32 v13, v21
	v_cmpx_ne_u32_e32 0, v23
	s_xor_b32 s14, exec_lo, s14
; %bb.7752:                             ;   in Loop: Header=BB6_7730 Depth=3
	s_delay_alu instid0(VALU_DEP_2) | instskip(SKIP_2) | instid1(VALU_DEP_2)
	v_cmp_lt_u64_e32 vcc_lo, 0xffffff, v[12:13]
	v_add_nc_u32_e32 v14, 15, v15
	v_cndmask_b32_e64 v15, 0, 1, vcc_lo
	v_cndmask_b32_e32 v14, v23, v14, vcc_lo
	s_delay_alu instid0(VALU_DEP_2)
	v_lshrrev_b64 v[12:13], v15, v[12:13]
; %bb.7753:                             ;   in Loop: Header=BB6_7730 Depth=3
	s_and_not1_saveexec_b32 s14, s14
; %bb.7754:                             ;   in Loop: Header=BB6_7730 Depth=3
	s_delay_alu instid0(VALU_DEP_1)
	v_bfe_u32 v14, v12, 23, 1
; %bb.7755:                             ;   in Loop: Header=BB6_7730 Depth=3
	s_or_b32 exec_lo, exec_lo, s14
	s_delay_alu instid0(VALU_DEP_2) | instskip(NEXT) | instid1(VALU_DEP_2)
	v_lshrrev_b64 v[12:13], 21, v[12:13]
	v_cmp_gt_i32_e32 vcc_lo, 32, v14
	v_min_i32_e32 v15, 31, v14
	v_cmp_eq_u32_e64 s14, 0, v14
	s_delay_alu instid0(VALU_DEP_2) | instskip(SKIP_1) | instid1(VALU_DEP_2)
	v_dual_cndmask_b32 v13, 0, v13, vcc_lo :: v_dual_lshlrev_b32 v15, 2, v15
	v_cndmask_b32_e32 v12, 3, v12, vcc_lo
	v_and_b32_e32 v15, 0xfc, v15
	s_delay_alu instid0(VALU_DEP_2) | instskip(NEXT) | instid1(VALU_DEP_2)
	v_cmp_eq_u64_e32 vcc_lo, 0, v[12:13]
	v_and_or_b32 v12, v12, 3, v15
	s_and_b32 s14, s14, vcc_lo
	s_delay_alu instid0(VALU_DEP_1) | instid1(SALU_CYCLE_1)
	v_cndmask_b32_e64 v12, v12, 0, s14
	s_delay_alu instid0(VALU_DEP_1)
	v_or_b32_e32 v31, v12, v22
.LBB6_7756:                             ;   in Loop: Header=BB6_7730 Depth=3
	s_or_b32 exec_lo, exec_lo, s43
                                        ; implicit-def: $vgpr22
.LBB6_7757:                             ;   in Loop: Header=BB6_7730 Depth=3
	s_and_not1_saveexec_b32 s14, s42
; %bb.7758:                             ;   in Loop: Header=BB6_7730 Depth=3
	v_or_b32_e32 v31, 0x7b, v22
; %bb.7759:                             ;   in Loop: Header=BB6_7730 Depth=3
	s_or_b32 exec_lo, exec_lo, s14
                                        ; implicit-def: $vgpr14
                                        ; implicit-def: $vgpr12_vgpr13
                                        ; implicit-def: $vgpr15
.LBB6_7760:                             ;   in Loop: Header=BB6_7730 Depth=3
	s_and_not1_saveexec_b32 s14, s15
	s_cbranch_execz .LBB6_7766
; %bb.7761:                             ;   in Loop: Header=BB6_7730 Depth=3
	s_mov_b32 s15, exec_lo
                                        ; implicit-def: $vgpr31
	v_cmpx_ne_u64_e32 0, v[12:13]
	s_xor_b32 s15, exec_lo, s15
; %bb.7762:                             ;   in Loop: Header=BB6_7730 Depth=3
	v_or_b32_e32 v31, 0x7f, v15
                                        ; implicit-def: $vgpr14
; %bb.7763:                             ;   in Loop: Header=BB6_7730 Depth=3
	s_and_not1_saveexec_b32 s15, s15
; %bb.7764:                             ;   in Loop: Header=BB6_7730 Depth=3
	v_cmp_lt_i32_e32 vcc_lo, -1, v14
	v_mov_b32_e32 v12, 0x7c
	s_delay_alu instid0(VALU_DEP_1)
	v_cndmask_b32_e32 v31, 0xfc, v12, vcc_lo
; %bb.7765:                             ;   in Loop: Header=BB6_7730 Depth=3
	s_or_b32 exec_lo, exec_lo, s15
.LBB6_7766:                             ;   in Loop: Header=BB6_7730 Depth=3
	s_delay_alu instid0(SALU_CYCLE_1) | instskip(SKIP_3) | instid1(VALU_DEP_2)
	s_or_b32 exec_lo, exec_lo, s14
	v_lshrrev_b16 v12, 8, v0
	v_mov_b32_e32 v14, 0
	s_mov_b32 s14, exec_lo
	v_cmpx_ne_u16_e32 0, v12
	s_cbranch_execz .LBB6_7776
; %bb.7767:                             ;   in Loop: Header=BB6_7730 Depth=3
	v_bfrev_b32_e32 v14, 1
	s_mov_b32 s15, exec_lo
	v_cmpx_ne_u16_e32 0x80, v12
	s_cbranch_execz .LBB6_7775
; %bb.7768:                             ;   in Loop: Header=BB6_7730 Depth=3
	v_and_b32_e32 v15, 0xffff, v12
	s_delay_alu instid0(VALU_DEP_1) | instskip(SKIP_1) | instid1(VALU_DEP_2)
	v_and_b32_e32 v14, 0x7c, v15
	v_and_b32_e32 v13, 3, v15
	v_cmp_ne_u32_e32 vcc_lo, 0x7c, v14
                                        ; implicit-def: $vgpr14
	s_and_saveexec_b32 s42, vcc_lo
	s_delay_alu instid0(SALU_CYCLE_1)
	s_xor_b32 s42, exec_lo, s42
	s_cbranch_execz .LBB6_7772
; %bb.7769:                             ;   in Loop: Header=BB6_7730 Depth=3
	v_bfe_u32 v14, v15, 2, 5
	s_mov_b32 s43, exec_lo
	s_delay_alu instid0(VALU_DEP_1)
	v_cmpx_eq_u32_e32 0, v14
	s_cbranch_execz .LBB6_7771
; %bb.7770:                             ;   in Loop: Header=BB6_7730 Depth=3
	v_clz_i32_u32_e32 v13, v13
	s_delay_alu instid0(VALU_DEP_1) | instskip(SKIP_1) | instid1(VALU_DEP_2)
	v_min_u32_e32 v14, 32, v13
	v_mov_b32_e32 v13, v21
	v_subrev_nc_u32_e32 v15, 29, v14
	v_sub_nc_u32_e32 v14, 30, v14
	s_delay_alu instid0(VALU_DEP_2) | instskip(NEXT) | instid1(VALU_DEP_1)
	v_lshlrev_b64_e32 v[12:13], v15, v[12:13]
	v_and_b32_e32 v13, 3, v12
.LBB6_7771:                             ;   in Loop: Header=BB6_7730 Depth=3
	s_or_b32 exec_lo, exec_lo, s43
	v_lshlrev_b32_e32 v12, 16, v0
	s_delay_alu instid0(VALU_DEP_1) | instskip(NEXT) | instid1(VALU_DEP_1)
	v_and_b32_e32 v12, 0x80000000, v12
	v_lshl_add_u32 v12, v14, 23, v12
	s_delay_alu instid0(VALU_DEP_1) | instskip(NEXT) | instid1(VALU_DEP_1)
	v_lshl_or_b32 v12, v13, 21, v12
                                        ; implicit-def: $vgpr13
	v_add_nc_u32_e32 v14, 0x38000000, v12
.LBB6_7772:                             ;   in Loop: Header=BB6_7730 Depth=3
	s_and_not1_saveexec_b32 s42, s42
; %bb.7773:                             ;   in Loop: Header=BB6_7730 Depth=3
	v_cmp_lt_i16_e32 vcc_lo, -1, v0
	v_mov_b32_e32 v12, 0x7f800000
	s_delay_alu instid0(VALU_DEP_1) | instskip(SKIP_1) | instid1(VALU_DEP_2)
	v_cndmask_b32_e32 v12, 0xff800000, v12, vcc_lo
	v_cmp_eq_u32_e32 vcc_lo, 0, v13
	v_cndmask_b32_e32 v14, 0x7f800001, v12, vcc_lo
; %bb.7774:                             ;   in Loop: Header=BB6_7730 Depth=3
	s_or_b32 exec_lo, exec_lo, s42
.LBB6_7775:                             ;   in Loop: Header=BB6_7730 Depth=3
	s_delay_alu instid0(SALU_CYCLE_1)
	s_or_b32 exec_lo, exec_lo, s15
.LBB6_7776:                             ;   in Loop: Header=BB6_7730 Depth=3
	s_delay_alu instid0(SALU_CYCLE_1) | instskip(SKIP_3) | instid1(VALU_DEP_1)
	s_or_b32 exec_lo, exec_lo, s14
	v_lshrrev_b16 v12, 8, v8
	s_mov_b32 s15, 0
	s_mov_b32 s14, exec_lo
	v_cmpx_lt_i16_e32 0x7f, v12
	s_xor_b32 s14, exec_lo, s14
	s_cbranch_execz .LBB6_8287
; %bb.7777:                             ;   in Loop: Header=BB6_7730 Depth=3
	s_mov_b32 s15, -1
	s_mov_b32 s42, exec_lo
	v_cmpx_eq_u16_e32 0x80, v12
; %bb.7778:                             ;   in Loop: Header=BB6_7730 Depth=3
	s_xor_b32 s15, exec_lo, -1
; %bb.7779:                             ;   in Loop: Header=BB6_7730 Depth=3
	s_or_b32 exec_lo, exec_lo, s42
	s_delay_alu instid0(SALU_CYCLE_1)
	s_and_b32 s15, s15, exec_lo
	s_or_saveexec_b32 s14, s14
	v_bfrev_b32_e32 v13, 1
	s_xor_b32 exec_lo, exec_lo, s14
	s_cbranch_execnz .LBB6_8288
.LBB6_7780:                             ;   in Loop: Header=BB6_7730 Depth=3
	s_or_b32 exec_lo, exec_lo, s14
	s_and_saveexec_b32 s14, s15
	s_cbranch_execz .LBB6_7782
.LBB6_7781:                             ;   in Loop: Header=BB6_7730 Depth=3
	v_and_b32_e32 v15, 0xffff, v12
	s_delay_alu instid0(VALU_DEP_1) | instskip(NEXT) | instid1(VALU_DEP_1)
	v_and_b32_e32 v24, 3, v15
	v_clz_i32_u32_e32 v13, v24
	s_delay_alu instid0(VALU_DEP_1) | instskip(SKIP_1) | instid1(VALU_DEP_2)
	v_min_u32_e32 v25, 32, v13
	v_mov_b32_e32 v13, v21
	v_subrev_nc_u32_e32 v22, 29, v25
	s_delay_alu instid0(VALU_DEP_1) | instskip(SKIP_3) | instid1(VALU_DEP_3)
	v_lshlrev_b64_e32 v[22:23], v22, v[12:13]
	v_bfe_u32 v13, v15, 2, 5
	v_dual_lshlrev_b32 v12, 24, v12 :: v_dual_sub_nc_u32 v23, 30, v25
	v_and_b32_e32 v15, 0x7c, v15
	v_cmp_eq_u32_e32 vcc_lo, 0, v13
	s_delay_alu instid0(VALU_DEP_3) | instskip(NEXT) | instid1(VALU_DEP_4)
	v_and_b32_e32 v12, 0x80000000, v12
	v_dual_cndmask_b32 v13, v13, v23, vcc_lo :: v_dual_bitop2_b32 v22, 3, v22 bitop3:0x40
	s_delay_alu instid0(VALU_DEP_1) | instskip(SKIP_1) | instid1(VALU_DEP_3)
	v_cndmask_b32_e32 v22, v24, v22, vcc_lo
	v_cmp_lt_i16_e32 vcc_lo, -1, v8
	v_lshl_add_u32 v12, v13, 23, v12
	v_mov_b32_e32 v13, 0x7f800000
	s_delay_alu instid0(VALU_DEP_2) | instskip(NEXT) | instid1(VALU_DEP_2)
	v_lshl_or_b32 v12, v22, 21, v12
	v_cndmask_b32_e32 v13, 0xff800000, v13, vcc_lo
	v_cmp_eq_u32_e32 vcc_lo, 0, v24
	s_delay_alu instid0(VALU_DEP_3) | instskip(NEXT) | instid1(VALU_DEP_3)
	v_add_nc_u32_e32 v12, 0x38000000, v12
	v_cndmask_b32_e32 v13, 0x7f800001, v13, vcc_lo
	v_cmp_eq_u32_e32 vcc_lo, 0x7c, v15
	s_delay_alu instid0(VALU_DEP_2)
	v_cndmask_b32_e32 v13, v12, v13, vcc_lo
.LBB6_7782:                             ;   in Loop: Header=BB6_7730 Depth=3
	s_or_b32 exec_lo, exec_lo, s14
	s_delay_alu instid0(VALU_DEP_1) | instskip(SKIP_2) | instid1(VALU_DEP_2)
	v_dual_mul_f32 v14, v14, v13 :: v_dual_mov_b32 v23, v21
	v_mov_b32_e32 v13, v21
                                        ; implicit-def: $vgpr32
	s_mov_b32 s14, exec_lo
	v_and_b32_e32 v22, 0x7f800000, v14
	v_and_b32_e32 v12, 0x7fffff, v14
	v_lshrrev_b32_e32 v15, 24, v14
	s_delay_alu instid0(VALU_DEP_3)
	v_cmpx_ne_u64_e32 0x7f800000, v[22:23]
	s_xor_b32 s15, exec_lo, s14
	s_cbranch_execz .LBB6_7796
; %bb.7783:                             ;   in Loop: Header=BB6_7730 Depth=3
	v_and_b32_e32 v22, 0x7fffffff, v14
	v_mov_b32_e32 v23, v21
                                        ; implicit-def: $vgpr32
	s_delay_alu instid0(VALU_DEP_1) | instskip(SKIP_2) | instid1(SALU_CYCLE_1)
	v_cmp_gt_u64_e32 vcc_lo, 0x47600001, v[22:23]
	v_and_b32_e32 v22, 0x80, v15
	s_and_saveexec_b32 s14, vcc_lo
	s_xor_b32 s42, exec_lo, s14
	s_cbranch_execz .LBB6_7793
; %bb.7784:                             ;   in Loop: Header=BB6_7730 Depth=3
	v_mov_b32_e32 v32, 0
	s_mov_b32 s43, exec_lo
	v_cmpx_ne_u32_e32 0, v14
	s_cbranch_execz .LBB6_7792
; %bb.7785:                             ;   in Loop: Header=BB6_7730 Depth=3
	v_bfe_u32 v23, v14, 23, 8
	v_or_b32_e32 v25, 0x800000, v12
	s_delay_alu instid0(VALU_DEP_2) | instskip(SKIP_1) | instid1(VALU_DEP_2)
	v_sub_nc_u32_e32 v14, 0x71, v23
	v_cmp_gt_u32_e32 vcc_lo, 0x72, v23
	v_cndmask_b32_e32 v14, 0, v14, vcc_lo
	v_cmp_eq_u32_e32 vcc_lo, 0, v23
	s_delay_alu instid0(VALU_DEP_2) | instskip(SKIP_1) | instid1(VALU_DEP_2)
	v_cndmask_b32_e64 v24, v14, 0x70, vcc_lo
	v_cndmask_b32_e32 v12, v25, v12, vcc_lo
	v_dual_add_nc_u32 v14, 21, v24 :: v_dual_add_nc_u32 v32, 20, v24
	s_delay_alu instid0(VALU_DEP_1) | instskip(NEXT) | instid1(VALU_DEP_2)
	v_lshlrev_b64_e64 v[14:15], v14, -1
	v_lshlrev_b64_e64 v[32:33], v32, 1
	s_delay_alu instid0(VALU_DEP_2) | instskip(SKIP_1) | instid1(VALU_DEP_4)
	v_bfi_b32 v14, v14, 0, v12
	v_lshrrev_b64 v[12:13], v24, v[12:13]
	v_bfi_b32 v15, v15, 0, 0
	s_delay_alu instid0(VALU_DEP_1) | instskip(NEXT) | instid1(VALU_DEP_3)
	v_cmp_eq_u64_e64 s14, v[14:15], v[32:33]
	v_mov_b64_e32 v[14:15], v[12:13]
	s_and_saveexec_b32 s75, s14
; %bb.7786:                             ;   in Loop: Header=BB6_7730 Depth=3
	v_bfe_u32 v14, v12, 21, 1
	v_mov_b32_e32 v15, v21
	s_delay_alu instid0(VALU_DEP_1) | instskip(NEXT) | instid1(VALU_DEP_1)
	v_add_nc_u64_e32 v[14:15], v[12:13], v[14:15]
	v_add_nc_u64_e32 v[14:15], -1, v[14:15]
; %bb.7787:                             ;   in Loop: Header=BB6_7730 Depth=3
	s_or_b32 exec_lo, exec_lo, s75
	v_add_nc_u32_e32 v13, 0xffffff81, v23
	v_lshrrev_b32_e32 v15, 23, v12
	s_mov_b32 s14, exec_lo
	s_delay_alu instid0(VALU_DEP_2) | instskip(NEXT) | instid1(VALU_DEP_1)
	v_cndmask_b32_e64 v13, v13, 0xffffff82, vcc_lo
	v_add3_u32 v15, v24, v13, v15
	v_and_b32_e32 v13, 0x1fffff, v14
                                        ; implicit-def: $vgpr14
	s_delay_alu instid0(VALU_DEP_1) | instskip(SKIP_1) | instid1(VALU_DEP_2)
	v_dual_add_nc_u32 v23, 14, v15 :: v_dual_add_nc_u32 v12, v13, v12
	v_mov_b32_e32 v13, v21
	v_cmpx_ne_u32_e32 0, v23
	s_xor_b32 s14, exec_lo, s14
; %bb.7788:                             ;   in Loop: Header=BB6_7730 Depth=3
	s_delay_alu instid0(VALU_DEP_2) | instskip(SKIP_2) | instid1(VALU_DEP_2)
	v_cmp_lt_u64_e32 vcc_lo, 0xffffff, v[12:13]
	v_add_nc_u32_e32 v14, 15, v15
	v_cndmask_b32_e64 v15, 0, 1, vcc_lo
	v_cndmask_b32_e32 v14, v23, v14, vcc_lo
	s_delay_alu instid0(VALU_DEP_2)
	v_lshrrev_b64 v[12:13], v15, v[12:13]
; %bb.7789:                             ;   in Loop: Header=BB6_7730 Depth=3
	s_and_not1_saveexec_b32 s14, s14
; %bb.7790:                             ;   in Loop: Header=BB6_7730 Depth=3
	s_delay_alu instid0(VALU_DEP_1)
	v_bfe_u32 v14, v12, 23, 1
; %bb.7791:                             ;   in Loop: Header=BB6_7730 Depth=3
	s_or_b32 exec_lo, exec_lo, s14
	s_delay_alu instid0(VALU_DEP_2) | instskip(NEXT) | instid1(VALU_DEP_2)
	v_lshrrev_b64 v[12:13], 21, v[12:13]
	v_cmp_gt_i32_e32 vcc_lo, 32, v14
	v_min_i32_e32 v15, 31, v14
	v_cmp_eq_u32_e64 s14, 0, v14
	s_delay_alu instid0(VALU_DEP_2) | instskip(SKIP_1) | instid1(VALU_DEP_2)
	v_dual_cndmask_b32 v13, 0, v13, vcc_lo :: v_dual_lshlrev_b32 v15, 2, v15
	v_cndmask_b32_e32 v12, 3, v12, vcc_lo
	v_and_b32_e32 v15, 0xfc, v15
	s_delay_alu instid0(VALU_DEP_2) | instskip(NEXT) | instid1(VALU_DEP_2)
	v_cmp_eq_u64_e32 vcc_lo, 0, v[12:13]
	v_and_or_b32 v12, v12, 3, v15
	s_and_b32 s14, s14, vcc_lo
	s_delay_alu instid0(VALU_DEP_1) | instid1(SALU_CYCLE_1)
	v_cndmask_b32_e64 v12, v12, 0, s14
	s_delay_alu instid0(VALU_DEP_1)
	v_or_b32_e32 v32, v12, v22
.LBB6_7792:                             ;   in Loop: Header=BB6_7730 Depth=3
	s_or_b32 exec_lo, exec_lo, s43
                                        ; implicit-def: $vgpr22
.LBB6_7793:                             ;   in Loop: Header=BB6_7730 Depth=3
	s_and_not1_saveexec_b32 s14, s42
; %bb.7794:                             ;   in Loop: Header=BB6_7730 Depth=3
	v_or_b32_e32 v32, 0x7b, v22
; %bb.7795:                             ;   in Loop: Header=BB6_7730 Depth=3
	s_or_b32 exec_lo, exec_lo, s14
                                        ; implicit-def: $vgpr14
                                        ; implicit-def: $vgpr12_vgpr13
                                        ; implicit-def: $vgpr15
.LBB6_7796:                             ;   in Loop: Header=BB6_7730 Depth=3
	s_and_not1_saveexec_b32 s14, s15
	s_cbranch_execz .LBB6_7802
; %bb.7797:                             ;   in Loop: Header=BB6_7730 Depth=3
	s_mov_b32 s15, exec_lo
                                        ; implicit-def: $vgpr32
	v_cmpx_ne_u64_e32 0, v[12:13]
	s_xor_b32 s15, exec_lo, s15
; %bb.7798:                             ;   in Loop: Header=BB6_7730 Depth=3
	v_or_b32_e32 v32, 0x7f, v15
                                        ; implicit-def: $vgpr14
; %bb.7799:                             ;   in Loop: Header=BB6_7730 Depth=3
	s_and_not1_saveexec_b32 s15, s15
; %bb.7800:                             ;   in Loop: Header=BB6_7730 Depth=3
	v_cmp_lt_i32_e32 vcc_lo, -1, v14
	v_mov_b32_e32 v12, 0x7c
	s_delay_alu instid0(VALU_DEP_1)
	v_cndmask_b32_e32 v32, 0xfc, v12, vcc_lo
; %bb.7801:                             ;   in Loop: Header=BB6_7730 Depth=3
	s_or_b32 exec_lo, exec_lo, s15
.LBB6_7802:                             ;   in Loop: Header=BB6_7730 Depth=3
	s_delay_alu instid0(SALU_CYCLE_1) | instskip(SKIP_2) | instid1(VALU_DEP_1)
	s_or_b32 exec_lo, exec_lo, s14
	v_dual_mov_b32 v13, 0 :: v_dual_lshrrev_b32 v12, 16, v0
	s_mov_b32 s14, exec_lo
	v_and_b32_e32 v14, 0xff, v12
	s_delay_alu instid0(VALU_DEP_1)
	v_cmpx_ne_u16_e32 0, v14
	s_cbranch_execz .LBB6_7812
; %bb.7803:                             ;   in Loop: Header=BB6_7730 Depth=3
	v_bfrev_b32_e32 v13, 1
	s_mov_b32 s15, exec_lo
	v_cmpx_ne_u16_e32 0x80, v14
	s_cbranch_execz .LBB6_7811
; %bb.7804:                             ;   in Loop: Header=BB6_7730 Depth=3
	v_and_b32_e32 v13, 0x7c0000, v0
	v_bfe_u32 v14, v0, 16, 2
	s_delay_alu instid0(VALU_DEP_2) | instskip(SKIP_1) | instid1(SALU_CYCLE_1)
	v_cmp_ne_u32_e32 vcc_lo, 0x7c0000, v13
                                        ; implicit-def: $vgpr13
	s_and_saveexec_b32 s42, vcc_lo
	s_xor_b32 s42, exec_lo, s42
	s_cbranch_execz .LBB6_7808
; %bb.7805:                             ;   in Loop: Header=BB6_7730 Depth=3
	v_bfe_u32 v13, v0, 18, 5
	s_mov_b32 s43, exec_lo
	s_delay_alu instid0(VALU_DEP_1)
	v_cmpx_eq_u32_e32 0, v13
; %bb.7806:                             ;   in Loop: Header=BB6_7730 Depth=3
	v_clz_i32_u32_e32 v13, v14
	s_delay_alu instid0(VALU_DEP_1) | instskip(NEXT) | instid1(VALU_DEP_1)
	v_min_u32_e32 v13, 32, v13
	v_subrev_nc_u32_e32 v14, 29, v13
	s_delay_alu instid0(VALU_DEP_1) | instskip(NEXT) | instid1(VALU_DEP_1)
	v_lshlrev_b64_e32 v[14:15], v14, v[12:13]
	v_dual_sub_nc_u32 v13, 30, v13 :: v_dual_bitop2_b32 v14, 3, v14 bitop3:0x40
; %bb.7807:                             ;   in Loop: Header=BB6_7730 Depth=3
	s_or_b32 exec_lo, exec_lo, s43
	v_lshlrev_b32_e32 v12, 24, v12
	s_delay_alu instid0(VALU_DEP_1) | instskip(NEXT) | instid1(VALU_DEP_1)
	v_and_b32_e32 v12, 0x80000000, v12
	v_lshl_add_u32 v12, v13, 23, v12
	s_delay_alu instid0(VALU_DEP_1) | instskip(NEXT) | instid1(VALU_DEP_1)
	v_lshl_or_b32 v12, v14, 21, v12
                                        ; implicit-def: $vgpr14
	v_add_nc_u32_e32 v13, 0x38000000, v12
                                        ; implicit-def: $vgpr12
.LBB6_7808:                             ;   in Loop: Header=BB6_7730 Depth=3
	s_and_not1_saveexec_b32 s42, s42
; %bb.7809:                             ;   in Loop: Header=BB6_7730 Depth=3
	v_bfe_i32 v12, v12, 0, 8
	s_delay_alu instid0(VALU_DEP_1) | instskip(SKIP_1) | instid1(VALU_DEP_1)
	v_cmp_lt_i16_e32 vcc_lo, -1, v12
	v_mov_b32_e32 v12, 0x7f800000
	v_cndmask_b32_e32 v12, 0xff800000, v12, vcc_lo
	v_cmp_eq_u32_e32 vcc_lo, 0, v14
	s_delay_alu instid0(VALU_DEP_2)
	v_cndmask_b32_e32 v13, 0x7f800001, v12, vcc_lo
; %bb.7810:                             ;   in Loop: Header=BB6_7730 Depth=3
	s_or_b32 exec_lo, exec_lo, s42
.LBB6_7811:                             ;   in Loop: Header=BB6_7730 Depth=3
	s_delay_alu instid0(SALU_CYCLE_1)
	s_or_b32 exec_lo, exec_lo, s15
.LBB6_7812:                             ;   in Loop: Header=BB6_7730 Depth=3
	s_delay_alu instid0(SALU_CYCLE_1) | instskip(SKIP_3) | instid1(VALU_DEP_1)
	s_or_b32 exec_lo, exec_lo, s14
	v_lshrrev_b32_e32 v12, 16, v8
	s_mov_b32 s15, 0
	s_mov_b32 s14, exec_lo
	v_and_b32_e32 v15, 0xff, v12
	s_delay_alu instid0(VALU_DEP_1)
	v_cmpx_lt_i16_e32 0x7f, v15
	s_xor_b32 s14, exec_lo, s14
	s_cbranch_execz .LBB6_8289
; %bb.7813:                             ;   in Loop: Header=BB6_7730 Depth=3
	s_mov_b32 s15, -1
	s_mov_b32 s42, exec_lo
	v_cmpx_eq_u16_e32 0x80, v15
; %bb.7814:                             ;   in Loop: Header=BB6_7730 Depth=3
	s_xor_b32 s15, exec_lo, -1
; %bb.7815:                             ;   in Loop: Header=BB6_7730 Depth=3
	s_or_b32 exec_lo, exec_lo, s42
	s_delay_alu instid0(SALU_CYCLE_1)
	s_and_b32 s15, s15, exec_lo
                                        ; implicit-def: $vgpr15
	s_or_saveexec_b32 s14, s14
	v_bfrev_b32_e32 v14, 1
	s_xor_b32 exec_lo, exec_lo, s14
	s_cbranch_execnz .LBB6_8290
.LBB6_7816:                             ;   in Loop: Header=BB6_7730 Depth=3
	s_or_b32 exec_lo, exec_lo, s14
	s_and_saveexec_b32 s14, s15
	s_cbranch_execz .LBB6_7818
.LBB6_7817:                             ;   in Loop: Header=BB6_7730 Depth=3
	v_and_b32_e32 v22, 3, v12
	v_bfe_u32 v24, v8, 18, 5
	s_delay_alu instid0(VALU_DEP_2) | instskip(NEXT) | instid1(VALU_DEP_2)
	v_clz_i32_u32_e32 v14, v22
	v_cmp_eq_u32_e32 vcc_lo, 0, v24
	s_delay_alu instid0(VALU_DEP_2) | instskip(NEXT) | instid1(VALU_DEP_1)
	v_min_u32_e32 v23, 32, v14
	v_subrev_nc_u32_e32 v14, 29, v23
	s_delay_alu instid0(VALU_DEP_1) | instskip(SKIP_2) | instid1(VALU_DEP_2)
	v_lshlrev_b64_e32 v[14:15], v14, v[12:13]
	v_dual_lshlrev_b32 v15, 24, v12 :: v_dual_sub_nc_u32 v23, 30, v23
	v_bfe_i32 v12, v12, 0, 8
	v_and_b32_e32 v15, 0x80000000, v15
	s_delay_alu instid0(VALU_DEP_3) | instskip(NEXT) | instid1(VALU_DEP_1)
	v_dual_cndmask_b32 v23, v24, v23, vcc_lo :: v_dual_bitop2_b32 v14, 3, v14 bitop3:0x40
	v_cndmask_b32_e32 v14, v22, v14, vcc_lo
	s_delay_alu instid0(VALU_DEP_2) | instskip(SKIP_2) | instid1(VALU_DEP_3)
	v_lshl_add_u32 v15, v23, 23, v15
	v_cmp_lt_i16_e32 vcc_lo, -1, v12
	v_mov_b32_e32 v12, 0x7f800000
	v_lshl_or_b32 v14, v14, 21, v15
	v_and_b32_e32 v15, 0x7c0000, v8
	s_delay_alu instid0(VALU_DEP_3) | instskip(SKIP_1) | instid1(VALU_DEP_4)
	v_cndmask_b32_e32 v12, 0xff800000, v12, vcc_lo
	v_cmp_eq_u32_e32 vcc_lo, 0, v22
	v_add_nc_u32_e32 v14, 0x38000000, v14
	s_delay_alu instid0(VALU_DEP_3) | instskip(SKIP_1) | instid1(VALU_DEP_2)
	v_cndmask_b32_e32 v12, 0x7f800001, v12, vcc_lo
	v_cmp_eq_u32_e32 vcc_lo, 0x7c0000, v15
	v_cndmask_b32_e32 v14, v14, v12, vcc_lo
.LBB6_7818:                             ;   in Loop: Header=BB6_7730 Depth=3
	s_or_b32 exec_lo, exec_lo, s14
	s_delay_alu instid0(VALU_DEP_1) | instskip(SKIP_2) | instid1(VALU_DEP_2)
	v_mul_f32_e32 v14, v13, v14
	v_dual_mov_b32 v23, v21 :: v_dual_mov_b32 v13, v21
                                        ; implicit-def: $vgpr33
	s_mov_b32 s14, exec_lo
	v_and_b32_e32 v22, 0x7f800000, v14
	v_and_b32_e32 v12, 0x7fffff, v14
	v_lshrrev_b32_e32 v15, 24, v14
	s_delay_alu instid0(VALU_DEP_3)
	v_cmpx_ne_u64_e32 0x7f800000, v[22:23]
	s_xor_b32 s15, exec_lo, s14
	s_cbranch_execz .LBB6_7832
; %bb.7819:                             ;   in Loop: Header=BB6_7730 Depth=3
	v_and_b32_e32 v22, 0x7fffffff, v14
	v_mov_b32_e32 v23, v21
                                        ; implicit-def: $vgpr33
	s_delay_alu instid0(VALU_DEP_1) | instskip(SKIP_2) | instid1(SALU_CYCLE_1)
	v_cmp_gt_u64_e32 vcc_lo, 0x47600001, v[22:23]
	v_and_b32_e32 v22, 0x80, v15
	s_and_saveexec_b32 s14, vcc_lo
	s_xor_b32 s42, exec_lo, s14
	s_cbranch_execz .LBB6_7829
; %bb.7820:                             ;   in Loop: Header=BB6_7730 Depth=3
	v_mov_b32_e32 v33, 0
	s_mov_b32 s43, exec_lo
	v_cmpx_ne_u32_e32 0, v14
	s_cbranch_execz .LBB6_7828
; %bb.7821:                             ;   in Loop: Header=BB6_7730 Depth=3
	v_bfe_u32 v23, v14, 23, 8
	v_or_b32_e32 v25, 0x800000, v12
	s_delay_alu instid0(VALU_DEP_2) | instskip(SKIP_1) | instid1(VALU_DEP_2)
	v_sub_nc_u32_e32 v14, 0x71, v23
	v_cmp_gt_u32_e32 vcc_lo, 0x72, v23
	v_cndmask_b32_e32 v14, 0, v14, vcc_lo
	v_cmp_eq_u32_e32 vcc_lo, 0, v23
	s_delay_alu instid0(VALU_DEP_2) | instskip(SKIP_1) | instid1(VALU_DEP_2)
	v_cndmask_b32_e64 v24, v14, 0x70, vcc_lo
	v_cndmask_b32_e32 v12, v25, v12, vcc_lo
	v_dual_add_nc_u32 v14, 21, v24 :: v_dual_add_nc_u32 v33, 20, v24
	s_delay_alu instid0(VALU_DEP_1) | instskip(NEXT) | instid1(VALU_DEP_2)
	v_lshlrev_b64_e64 v[14:15], v14, -1
	v_lshlrev_b64_e64 v[34:35], v33, 1
	s_delay_alu instid0(VALU_DEP_2) | instskip(SKIP_1) | instid1(VALU_DEP_4)
	v_bfi_b32 v14, v14, 0, v12
	v_lshrrev_b64 v[12:13], v24, v[12:13]
	v_bfi_b32 v15, v15, 0, 0
	s_delay_alu instid0(VALU_DEP_1) | instskip(NEXT) | instid1(VALU_DEP_3)
	v_cmp_eq_u64_e64 s14, v[14:15], v[34:35]
	v_mov_b64_e32 v[14:15], v[12:13]
	s_and_saveexec_b32 s75, s14
; %bb.7822:                             ;   in Loop: Header=BB6_7730 Depth=3
	v_bfe_u32 v14, v12, 21, 1
	v_mov_b32_e32 v15, v21
	s_delay_alu instid0(VALU_DEP_1) | instskip(NEXT) | instid1(VALU_DEP_1)
	v_add_nc_u64_e32 v[14:15], v[12:13], v[14:15]
	v_add_nc_u64_e32 v[14:15], -1, v[14:15]
; %bb.7823:                             ;   in Loop: Header=BB6_7730 Depth=3
	s_or_b32 exec_lo, exec_lo, s75
	v_add_nc_u32_e32 v13, 0xffffff81, v23
	v_lshrrev_b32_e32 v15, 23, v12
	s_mov_b32 s14, exec_lo
	s_delay_alu instid0(VALU_DEP_2) | instskip(NEXT) | instid1(VALU_DEP_1)
	v_cndmask_b32_e64 v13, v13, 0xffffff82, vcc_lo
	v_add3_u32 v15, v24, v13, v15
	v_and_b32_e32 v13, 0x1fffff, v14
                                        ; implicit-def: $vgpr14
	s_delay_alu instid0(VALU_DEP_1) | instskip(SKIP_1) | instid1(VALU_DEP_2)
	v_dual_add_nc_u32 v23, 14, v15 :: v_dual_add_nc_u32 v12, v13, v12
	v_mov_b32_e32 v13, v21
	v_cmpx_ne_u32_e32 0, v23
	s_xor_b32 s14, exec_lo, s14
; %bb.7824:                             ;   in Loop: Header=BB6_7730 Depth=3
	s_delay_alu instid0(VALU_DEP_2) | instskip(SKIP_2) | instid1(VALU_DEP_2)
	v_cmp_lt_u64_e32 vcc_lo, 0xffffff, v[12:13]
	v_add_nc_u32_e32 v14, 15, v15
	v_cndmask_b32_e64 v15, 0, 1, vcc_lo
	v_cndmask_b32_e32 v14, v23, v14, vcc_lo
	s_delay_alu instid0(VALU_DEP_2)
	v_lshrrev_b64 v[12:13], v15, v[12:13]
; %bb.7825:                             ;   in Loop: Header=BB6_7730 Depth=3
	s_and_not1_saveexec_b32 s14, s14
; %bb.7826:                             ;   in Loop: Header=BB6_7730 Depth=3
	s_delay_alu instid0(VALU_DEP_1)
	v_bfe_u32 v14, v12, 23, 1
; %bb.7827:                             ;   in Loop: Header=BB6_7730 Depth=3
	s_or_b32 exec_lo, exec_lo, s14
	s_delay_alu instid0(VALU_DEP_2) | instskip(NEXT) | instid1(VALU_DEP_2)
	v_lshrrev_b64 v[12:13], 21, v[12:13]
	v_cmp_gt_i32_e32 vcc_lo, 32, v14
	v_min_i32_e32 v15, 31, v14
	v_cmp_eq_u32_e64 s14, 0, v14
	s_delay_alu instid0(VALU_DEP_2) | instskip(SKIP_1) | instid1(VALU_DEP_2)
	v_dual_cndmask_b32 v13, 0, v13, vcc_lo :: v_dual_lshlrev_b32 v15, 2, v15
	v_cndmask_b32_e32 v12, 3, v12, vcc_lo
	v_and_b32_e32 v15, 0xfc, v15
	s_delay_alu instid0(VALU_DEP_2) | instskip(NEXT) | instid1(VALU_DEP_2)
	v_cmp_eq_u64_e32 vcc_lo, 0, v[12:13]
	v_and_or_b32 v12, v12, 3, v15
	s_and_b32 s14, s14, vcc_lo
	s_delay_alu instid0(VALU_DEP_1) | instid1(SALU_CYCLE_1)
	v_cndmask_b32_e64 v12, v12, 0, s14
	s_delay_alu instid0(VALU_DEP_1)
	v_or_b32_e32 v33, v12, v22
.LBB6_7828:                             ;   in Loop: Header=BB6_7730 Depth=3
	s_or_b32 exec_lo, exec_lo, s43
                                        ; implicit-def: $vgpr22
.LBB6_7829:                             ;   in Loop: Header=BB6_7730 Depth=3
	s_and_not1_saveexec_b32 s14, s42
; %bb.7830:                             ;   in Loop: Header=BB6_7730 Depth=3
	v_or_b32_e32 v33, 0x7b, v22
; %bb.7831:                             ;   in Loop: Header=BB6_7730 Depth=3
	s_or_b32 exec_lo, exec_lo, s14
                                        ; implicit-def: $vgpr14
                                        ; implicit-def: $vgpr12_vgpr13
                                        ; implicit-def: $vgpr15
.LBB6_7832:                             ;   in Loop: Header=BB6_7730 Depth=3
	s_and_not1_saveexec_b32 s14, s15
	s_cbranch_execz .LBB6_7838
; %bb.7833:                             ;   in Loop: Header=BB6_7730 Depth=3
	s_mov_b32 s15, exec_lo
                                        ; implicit-def: $vgpr33
	v_cmpx_ne_u64_e32 0, v[12:13]
	s_xor_b32 s15, exec_lo, s15
; %bb.7834:                             ;   in Loop: Header=BB6_7730 Depth=3
	v_or_b32_e32 v33, 0x7f, v15
                                        ; implicit-def: $vgpr14
; %bb.7835:                             ;   in Loop: Header=BB6_7730 Depth=3
	s_and_not1_saveexec_b32 s15, s15
; %bb.7836:                             ;   in Loop: Header=BB6_7730 Depth=3
	v_cmp_lt_i32_e32 vcc_lo, -1, v14
	v_mov_b32_e32 v12, 0x7c
	s_delay_alu instid0(VALU_DEP_1)
	v_cndmask_b32_e32 v33, 0xfc, v12, vcc_lo
; %bb.7837:                             ;   in Loop: Header=BB6_7730 Depth=3
	s_or_b32 exec_lo, exec_lo, s15
.LBB6_7838:                             ;   in Loop: Header=BB6_7730 Depth=3
	s_delay_alu instid0(SALU_CYCLE_1)
	s_or_b32 exec_lo, exec_lo, s14
	v_mov_b32_e32 v13, 0
	s_mov_b32 s14, exec_lo
	v_cmpx_lt_u32_e32 0xffffff, v0
	s_cbranch_execz .LBB6_7848
; %bb.7839:                             ;   in Loop: Header=BB6_7730 Depth=3
	v_lshrrev_b32_e32 v12, 24, v0
	v_bfrev_b32_e32 v13, 1
	s_mov_b32 s15, exec_lo
	s_delay_alu instid0(VALU_DEP_2)
	v_cmpx_ne_u32_e32 0x80, v12
	s_cbranch_execz .LBB6_7847
; %bb.7840:                             ;   in Loop: Header=BB6_7730 Depth=3
	v_and_b32_e32 v13, 0x7c000000, v0
	v_bfe_u32 v14, v0, 24, 2
	s_delay_alu instid0(VALU_DEP_2) | instskip(SKIP_1) | instid1(SALU_CYCLE_1)
	v_cmp_ne_u32_e32 vcc_lo, 0x7c000000, v13
                                        ; implicit-def: $vgpr13
	s_and_saveexec_b32 s42, vcc_lo
	s_xor_b32 s42, exec_lo, s42
	s_cbranch_execz .LBB6_7844
; %bb.7841:                             ;   in Loop: Header=BB6_7730 Depth=3
	v_bfe_u32 v13, v0, 26, 5
	s_mov_b32 s43, exec_lo
	s_delay_alu instid0(VALU_DEP_1)
	v_cmpx_eq_u32_e32 0, v13
; %bb.7842:                             ;   in Loop: Header=BB6_7730 Depth=3
	v_clz_i32_u32_e32 v13, v14
	s_delay_alu instid0(VALU_DEP_1) | instskip(NEXT) | instid1(VALU_DEP_1)
	v_min_u32_e32 v14, 32, v13
	v_subrev_nc_u32_e32 v13, 29, v14
	s_delay_alu instid0(VALU_DEP_1) | instskip(NEXT) | instid1(VALU_DEP_1)
	v_lshlrev_b64_e32 v[12:13], v13, v[12:13]
	v_dual_sub_nc_u32 v13, 30, v14 :: v_dual_bitop2_b32 v14, 3, v12 bitop3:0x40
; %bb.7843:                             ;   in Loop: Header=BB6_7730 Depth=3
	s_or_b32 exec_lo, exec_lo, s43
	v_and_b32_e32 v12, 0x80000000, v0
	s_delay_alu instid0(VALU_DEP_1) | instskip(NEXT) | instid1(VALU_DEP_1)
	v_lshl_add_u32 v12, v13, 23, v12
	v_lshl_or_b32 v12, v14, 21, v12
                                        ; implicit-def: $vgpr14
	s_delay_alu instid0(VALU_DEP_1)
	v_add_nc_u32_e32 v13, 0x38000000, v12
.LBB6_7844:                             ;   in Loop: Header=BB6_7730 Depth=3
	s_and_not1_saveexec_b32 s42, s42
; %bb.7845:                             ;   in Loop: Header=BB6_7730 Depth=3
	v_cmp_lt_i32_e32 vcc_lo, -1, v0
	v_mov_b32_e32 v12, 0x7f800000
	s_delay_alu instid0(VALU_DEP_1) | instskip(SKIP_1) | instid1(VALU_DEP_2)
	v_cndmask_b32_e32 v12, 0xff800000, v12, vcc_lo
	v_cmp_eq_u32_e32 vcc_lo, 0, v14
	v_cndmask_b32_e32 v13, 0x7f800001, v12, vcc_lo
; %bb.7846:                             ;   in Loop: Header=BB6_7730 Depth=3
	s_or_b32 exec_lo, exec_lo, s42
.LBB6_7847:                             ;   in Loop: Header=BB6_7730 Depth=3
	s_delay_alu instid0(SALU_CYCLE_1)
	s_or_b32 exec_lo, exec_lo, s15
.LBB6_7848:                             ;   in Loop: Header=BB6_7730 Depth=3
	s_delay_alu instid0(SALU_CYCLE_1) | instskip(SKIP_3) | instid1(VALU_DEP_2)
	s_or_b32 exec_lo, exec_lo, s14
	v_bfe_u32 v22, v8, 24, 2
	v_bfe_u32 v24, v8, 26, 5
                                        ; implicit-def: $vgpr34
	s_mov_b32 s14, exec_lo
	v_clz_i32_u32_e32 v12, v22
	s_delay_alu instid0(VALU_DEP_2) | instskip(NEXT) | instid1(VALU_DEP_2)
	v_cmp_eq_u32_e32 vcc_lo, 0, v24
	v_min_u32_e32 v23, 32, v12
	v_lshrrev_b32_e32 v12, 24, v8
	s_delay_alu instid0(VALU_DEP_2) | instskip(NEXT) | instid1(VALU_DEP_1)
	v_subrev_nc_u32_e32 v14, 29, v23
	v_lshlrev_b64_e32 v[14:15], v14, v[12:13]
	v_sub_nc_u32_e32 v15, 30, v23
	v_and_b32_e32 v23, 0x80000000, v8
	s_delay_alu instid0(VALU_DEP_2) | instskip(NEXT) | instid1(VALU_DEP_1)
	v_dual_cndmask_b32 v15, v24, v15, vcc_lo :: v_dual_bitop2_b32 v14, 3, v14 bitop3:0x40
	v_lshl_add_u32 v15, v15, 23, v23
	s_delay_alu instid0(VALU_DEP_2) | instskip(SKIP_1) | instid1(VALU_DEP_2)
	v_dual_cndmask_b32 v14, v22, v14 :: v_dual_mov_b32 v23, 0x7f800000
	v_cmp_lt_i32_e32 vcc_lo, -1, v8
	v_lshl_or_b32 v14, v14, 21, v15
	v_and_b32_e32 v15, 0x7c000000, v8
	s_delay_alu instid0(VALU_DEP_4) | instskip(SKIP_1) | instid1(VALU_DEP_4)
	v_cndmask_b32_e32 v23, 0xff800000, v23, vcc_lo
	v_cmp_eq_u32_e32 vcc_lo, 0, v22
	v_add_nc_u32_e32 v14, 0x38000000, v14
	s_delay_alu instid0(VALU_DEP_3) | instskip(SKIP_1) | instid1(VALU_DEP_2)
	v_dual_cndmask_b32 v22, 0x7f800001, v23 :: v_dual_mov_b32 v23, v21
	v_cmp_eq_u32_e32 vcc_lo, 0x7c000000, v15
	v_cndmask_b32_e32 v14, v14, v22, vcc_lo
	v_cmp_ne_u32_e32 vcc_lo, 0x80, v12
	s_delay_alu instid0(VALU_DEP_2) | instskip(SKIP_1) | instid1(VALU_DEP_2)
	v_cndmask_b32_e32 v12, 0x80000000, v14, vcc_lo
	v_cmp_lt_u32_e32 vcc_lo, 0xffffff, v8
	v_cndmask_b32_e32 v12, 0, v12, vcc_lo
	s_delay_alu instid0(VALU_DEP_1) | instskip(NEXT) | instid1(VALU_DEP_1)
	v_dual_mul_f32 v14, v12, v13 :: v_dual_mov_b32 v13, v21
	v_and_b32_e32 v22, 0x7f800000, v14
	v_and_b32_e32 v12, 0x7fffff, v14
	v_lshrrev_b32_e32 v15, 24, v14
	s_delay_alu instid0(VALU_DEP_3)
	v_cmpx_ne_u64_e32 0x7f800000, v[22:23]
	s_xor_b32 s15, exec_lo, s14
	s_cbranch_execz .LBB6_7862
; %bb.7849:                             ;   in Loop: Header=BB6_7730 Depth=3
	v_and_b32_e32 v22, 0x7fffffff, v14
	v_mov_b32_e32 v23, v21
                                        ; implicit-def: $vgpr34
	s_delay_alu instid0(VALU_DEP_1) | instskip(SKIP_2) | instid1(SALU_CYCLE_1)
	v_cmp_gt_u64_e32 vcc_lo, 0x47600001, v[22:23]
	v_and_b32_e32 v22, 0x80, v15
	s_and_saveexec_b32 s14, vcc_lo
	s_xor_b32 s42, exec_lo, s14
	s_cbranch_execz .LBB6_7859
; %bb.7850:                             ;   in Loop: Header=BB6_7730 Depth=3
	v_mov_b32_e32 v34, 0
	s_mov_b32 s43, exec_lo
	v_cmpx_ne_u32_e32 0, v14
	s_cbranch_execz .LBB6_7858
; %bb.7851:                             ;   in Loop: Header=BB6_7730 Depth=3
	v_bfe_u32 v23, v14, 23, 8
	v_or_b32_e32 v25, 0x800000, v12
	s_delay_alu instid0(VALU_DEP_2) | instskip(SKIP_1) | instid1(VALU_DEP_2)
	v_sub_nc_u32_e32 v14, 0x71, v23
	v_cmp_gt_u32_e32 vcc_lo, 0x72, v23
	v_cndmask_b32_e32 v14, 0, v14, vcc_lo
	v_cmp_eq_u32_e32 vcc_lo, 0, v23
	s_delay_alu instid0(VALU_DEP_2) | instskip(SKIP_1) | instid1(VALU_DEP_2)
	v_cndmask_b32_e64 v24, v14, 0x70, vcc_lo
	v_cndmask_b32_e32 v12, v25, v12, vcc_lo
	v_dual_add_nc_u32 v14, 21, v24 :: v_dual_add_nc_u32 v34, 20, v24
	s_delay_alu instid0(VALU_DEP_1) | instskip(NEXT) | instid1(VALU_DEP_2)
	v_lshlrev_b64_e64 v[14:15], v14, -1
	v_lshlrev_b64_e64 v[34:35], v34, 1
	s_delay_alu instid0(VALU_DEP_2) | instskip(SKIP_1) | instid1(VALU_DEP_4)
	v_bfi_b32 v14, v14, 0, v12
	v_lshrrev_b64 v[12:13], v24, v[12:13]
	v_bfi_b32 v15, v15, 0, 0
	s_delay_alu instid0(VALU_DEP_1) | instskip(NEXT) | instid1(VALU_DEP_3)
	v_cmp_eq_u64_e64 s14, v[14:15], v[34:35]
	v_mov_b64_e32 v[14:15], v[12:13]
	s_and_saveexec_b32 s75, s14
; %bb.7852:                             ;   in Loop: Header=BB6_7730 Depth=3
	v_bfe_u32 v14, v12, 21, 1
	v_mov_b32_e32 v15, v21
	s_delay_alu instid0(VALU_DEP_1) | instskip(NEXT) | instid1(VALU_DEP_1)
	v_add_nc_u64_e32 v[14:15], v[12:13], v[14:15]
	v_add_nc_u64_e32 v[14:15], -1, v[14:15]
; %bb.7853:                             ;   in Loop: Header=BB6_7730 Depth=3
	s_or_b32 exec_lo, exec_lo, s75
	v_add_nc_u32_e32 v13, 0xffffff81, v23
	v_lshrrev_b32_e32 v15, 23, v12
	s_mov_b32 s14, exec_lo
	s_delay_alu instid0(VALU_DEP_2) | instskip(NEXT) | instid1(VALU_DEP_1)
	v_cndmask_b32_e64 v13, v13, 0xffffff82, vcc_lo
	v_add3_u32 v15, v24, v13, v15
	v_and_b32_e32 v13, 0x1fffff, v14
                                        ; implicit-def: $vgpr14
	s_delay_alu instid0(VALU_DEP_1) | instskip(SKIP_1) | instid1(VALU_DEP_2)
	v_dual_add_nc_u32 v23, 14, v15 :: v_dual_add_nc_u32 v12, v13, v12
	v_mov_b32_e32 v13, v21
	v_cmpx_ne_u32_e32 0, v23
	s_xor_b32 s14, exec_lo, s14
; %bb.7854:                             ;   in Loop: Header=BB6_7730 Depth=3
	s_delay_alu instid0(VALU_DEP_2) | instskip(SKIP_2) | instid1(VALU_DEP_2)
	v_cmp_lt_u64_e32 vcc_lo, 0xffffff, v[12:13]
	v_add_nc_u32_e32 v14, 15, v15
	v_cndmask_b32_e64 v15, 0, 1, vcc_lo
	v_cndmask_b32_e32 v14, v23, v14, vcc_lo
	s_delay_alu instid0(VALU_DEP_2)
	v_lshrrev_b64 v[12:13], v15, v[12:13]
; %bb.7855:                             ;   in Loop: Header=BB6_7730 Depth=3
	s_and_not1_saveexec_b32 s14, s14
; %bb.7856:                             ;   in Loop: Header=BB6_7730 Depth=3
	s_delay_alu instid0(VALU_DEP_1)
	v_bfe_u32 v14, v12, 23, 1
; %bb.7857:                             ;   in Loop: Header=BB6_7730 Depth=3
	s_or_b32 exec_lo, exec_lo, s14
	s_delay_alu instid0(VALU_DEP_2) | instskip(NEXT) | instid1(VALU_DEP_2)
	v_lshrrev_b64 v[12:13], 21, v[12:13]
	v_cmp_gt_i32_e32 vcc_lo, 32, v14
	v_min_i32_e32 v15, 31, v14
	v_cmp_eq_u32_e64 s14, 0, v14
	s_delay_alu instid0(VALU_DEP_2) | instskip(SKIP_1) | instid1(VALU_DEP_2)
	v_dual_cndmask_b32 v13, 0, v13, vcc_lo :: v_dual_lshlrev_b32 v15, 2, v15
	v_cndmask_b32_e32 v12, 3, v12, vcc_lo
	v_and_b32_e32 v15, 0xfc, v15
	s_delay_alu instid0(VALU_DEP_2) | instskip(NEXT) | instid1(VALU_DEP_2)
	v_cmp_eq_u64_e32 vcc_lo, 0, v[12:13]
	v_and_or_b32 v12, v12, 3, v15
	s_and_b32 s14, s14, vcc_lo
	s_delay_alu instid0(VALU_DEP_1) | instid1(SALU_CYCLE_1)
	v_cndmask_b32_e64 v12, v12, 0, s14
	s_delay_alu instid0(VALU_DEP_1)
	v_or_b32_e32 v34, v12, v22
.LBB6_7858:                             ;   in Loop: Header=BB6_7730 Depth=3
	s_or_b32 exec_lo, exec_lo, s43
                                        ; implicit-def: $vgpr22
.LBB6_7859:                             ;   in Loop: Header=BB6_7730 Depth=3
	s_and_not1_saveexec_b32 s14, s42
; %bb.7860:                             ;   in Loop: Header=BB6_7730 Depth=3
	v_or_b32_e32 v34, 0x7b, v22
; %bb.7861:                             ;   in Loop: Header=BB6_7730 Depth=3
	s_or_b32 exec_lo, exec_lo, s14
                                        ; implicit-def: $vgpr14
                                        ; implicit-def: $vgpr12_vgpr13
                                        ; implicit-def: $vgpr15
.LBB6_7862:                             ;   in Loop: Header=BB6_7730 Depth=3
	s_and_not1_saveexec_b32 s14, s15
	s_cbranch_execz .LBB6_7868
; %bb.7863:                             ;   in Loop: Header=BB6_7730 Depth=3
	s_mov_b32 s15, exec_lo
                                        ; implicit-def: $vgpr34
	v_cmpx_ne_u64_e32 0, v[12:13]
	s_xor_b32 s15, exec_lo, s15
; %bb.7864:                             ;   in Loop: Header=BB6_7730 Depth=3
	v_or_b32_e32 v34, 0x7f, v15
                                        ; implicit-def: $vgpr14
; %bb.7865:                             ;   in Loop: Header=BB6_7730 Depth=3
	s_and_not1_saveexec_b32 s15, s15
; %bb.7866:                             ;   in Loop: Header=BB6_7730 Depth=3
	v_cmp_lt_i32_e32 vcc_lo, -1, v14
	v_mov_b32_e32 v12, 0x7c
	s_delay_alu instid0(VALU_DEP_1)
	v_cndmask_b32_e32 v34, 0xfc, v12, vcc_lo
; %bb.7867:                             ;   in Loop: Header=BB6_7730 Depth=3
	s_or_b32 exec_lo, exec_lo, s15
.LBB6_7868:                             ;   in Loop: Header=BB6_7730 Depth=3
	s_delay_alu instid0(SALU_CYCLE_1) | instskip(SKIP_4) | instid1(VALU_DEP_3)
	s_or_b32 exec_lo, exec_lo, s14
	v_and_b32_e32 v12, 0xff, v1
	v_dual_mov_b32 v14, v1 :: v_dual_mov_b32 v15, v21
	v_mov_b32_e32 v22, 0
	s_mov_b32 s14, exec_lo
	v_cmpx_ne_u16_e32 0, v12
	s_cbranch_execz .LBB6_7878
; %bb.7869:                             ;   in Loop: Header=BB6_7730 Depth=3
	v_bfrev_b32_e32 v22, 1
	s_mov_b32 s15, exec_lo
	v_cmpx_ne_u16_e32 0x80, v12
	s_cbranch_execz .LBB6_7877
; %bb.7870:                             ;   in Loop: Header=BB6_7730 Depth=3
	v_and_b32_e32 v13, 0x7c, v1
	v_and_b32_e32 v12, 3, v1
	s_mov_b32 s42, exec_lo
                                        ; implicit-def: $vgpr22
	s_delay_alu instid0(VALU_DEP_2)
	v_cmpx_ne_u32_e32 0x7c, v13
	s_xor_b32 s42, exec_lo, s42
	s_cbranch_execz .LBB6_7874
; %bb.7871:                             ;   in Loop: Header=BB6_7730 Depth=3
	v_bfe_u32 v13, v1, 2, 5
	s_mov_b32 s43, exec_lo
	s_delay_alu instid0(VALU_DEP_1)
	v_cmpx_eq_u32_e32 0, v13
; %bb.7872:                             ;   in Loop: Header=BB6_7730 Depth=3
	v_clz_i32_u32_e32 v12, v12
	s_delay_alu instid0(VALU_DEP_1) | instskip(NEXT) | instid1(VALU_DEP_1)
	v_min_u32_e32 v22, 32, v12
	v_subrev_nc_u32_e32 v12, 29, v22
	s_delay_alu instid0(VALU_DEP_1) | instskip(NEXT) | instid1(VALU_DEP_1)
	v_lshlrev_b64_e32 v[12:13], v12, v[14:15]
	v_dual_sub_nc_u32 v13, 30, v22 :: v_dual_bitop2_b32 v12, 3, v12 bitop3:0x40
; %bb.7873:                             ;   in Loop: Header=BB6_7730 Depth=3
	s_or_b32 exec_lo, exec_lo, s43
	v_lshlrev_b32_e32 v15, 24, v1
	s_delay_alu instid0(VALU_DEP_1) | instskip(NEXT) | instid1(VALU_DEP_1)
	v_and_b32_e32 v15, 0x80000000, v15
	v_lshl_add_u32 v13, v13, 23, v15
	s_delay_alu instid0(VALU_DEP_1) | instskip(NEXT) | instid1(VALU_DEP_1)
	v_lshl_or_b32 v12, v12, 21, v13
	v_add_nc_u32_e32 v22, 0x38000000, v12
                                        ; implicit-def: $vgpr12
.LBB6_7874:                             ;   in Loop: Header=BB6_7730 Depth=3
	s_and_not1_saveexec_b32 s42, s42
; %bb.7875:                             ;   in Loop: Header=BB6_7730 Depth=3
	v_bfe_i32 v13, v1, 0, 8
	s_delay_alu instid0(VALU_DEP_1) | instskip(SKIP_1) | instid1(VALU_DEP_1)
	v_cmp_lt_i16_e32 vcc_lo, -1, v13
	v_mov_b32_e32 v13, 0x7f800000
	v_cndmask_b32_e32 v13, 0xff800000, v13, vcc_lo
	v_cmp_eq_u32_e32 vcc_lo, 0, v12
	s_delay_alu instid0(VALU_DEP_2)
	v_cndmask_b32_e32 v22, 0x7f800001, v13, vcc_lo
; %bb.7876:                             ;   in Loop: Header=BB6_7730 Depth=3
	s_or_b32 exec_lo, exec_lo, s42
.LBB6_7877:                             ;   in Loop: Header=BB6_7730 Depth=3
	s_delay_alu instid0(SALU_CYCLE_1)
	s_or_b32 exec_lo, exec_lo, s15
.LBB6_7878:                             ;   in Loop: Header=BB6_7730 Depth=3
	s_delay_alu instid0(SALU_CYCLE_1) | instskip(SKIP_4) | instid1(VALU_DEP_2)
	s_or_b32 exec_lo, exec_lo, s14
	v_and_b32_e32 v13, 0xff, v9
	v_mov_b32_e32 v12, v9
	s_mov_b32 s15, 0
	s_mov_b32 s14, exec_lo
	v_cmpx_lt_i16_e32 0x7f, v13
	s_xor_b32 s14, exec_lo, s14
	s_cbranch_execz .LBB6_8291
; %bb.7879:                             ;   in Loop: Header=BB6_7730 Depth=3
	s_mov_b32 s15, -1
	s_mov_b32 s42, exec_lo
	v_cmpx_eq_u16_e32 0x80, v13
; %bb.7880:                             ;   in Loop: Header=BB6_7730 Depth=3
	s_xor_b32 s15, exec_lo, -1
; %bb.7881:                             ;   in Loop: Header=BB6_7730 Depth=3
	s_or_b32 exec_lo, exec_lo, s42
	s_delay_alu instid0(SALU_CYCLE_1)
	s_and_b32 s15, s15, exec_lo
                                        ; implicit-def: $vgpr13
	s_or_saveexec_b32 s14, s14
	v_bfrev_b32_e32 v15, 1
	s_xor_b32 exec_lo, exec_lo, s14
	s_cbranch_execnz .LBB6_8292
.LBB6_7882:                             ;   in Loop: Header=BB6_7730 Depth=3
	s_or_b32 exec_lo, exec_lo, s14
	v_mov_b32_e32 v13, v21
	s_and_saveexec_b32 s14, s15
	s_cbranch_execz .LBB6_7884
.LBB6_7883:                             ;   in Loop: Header=BB6_7730 Depth=3
	v_and_b32_e32 v15, 3, v9
	s_delay_alu instid0(VALU_DEP_1) | instskip(NEXT) | instid1(VALU_DEP_1)
	v_clz_i32_u32_e32 v23, v15
	v_min_u32_e32 v23, 32, v23
	s_delay_alu instid0(VALU_DEP_1) | instskip(NEXT) | instid1(VALU_DEP_1)
	v_subrev_nc_u32_e32 v24, 29, v23
	v_lshlrev_b64_e32 v[24:25], v24, v[12:13]
	v_bfe_u32 v25, v9, 2, 5
	v_dual_lshlrev_b32 v13, 24, v9 :: v_dual_sub_nc_u32 v23, 30, v23
	s_delay_alu instid0(VALU_DEP_2) | instskip(NEXT) | instid1(VALU_DEP_2)
	v_cmp_eq_u32_e32 vcc_lo, 0, v25
	v_and_b32_e32 v13, 0x80000000, v13
	s_delay_alu instid0(VALU_DEP_3) | instskip(SKIP_1) | instid1(VALU_DEP_2)
	v_dual_cndmask_b32 v23, v25, v23, vcc_lo :: v_dual_bitop2_b32 v24, 3, v24 bitop3:0x40
	v_bfe_i32 v25, v9, 0, 8
	v_cndmask_b32_e32 v24, v15, v24, vcc_lo
	s_delay_alu instid0(VALU_DEP_3) | instskip(NEXT) | instid1(VALU_DEP_3)
	v_lshl_add_u32 v13, v23, 23, v13
	v_cmp_lt_i16_e32 vcc_lo, -1, v25
	v_mov_b32_e32 v23, 0x7f800000
	s_delay_alu instid0(VALU_DEP_3) | instskip(SKIP_1) | instid1(VALU_DEP_3)
	v_lshl_or_b32 v13, v24, 21, v13
	v_and_b32_e32 v24, 0x7c, v9
	v_cndmask_b32_e32 v23, 0xff800000, v23, vcc_lo
	v_cmp_eq_u32_e32 vcc_lo, 0, v15
	s_delay_alu instid0(VALU_DEP_4) | instskip(NEXT) | instid1(VALU_DEP_3)
	v_add_nc_u32_e32 v13, 0x38000000, v13
	v_cndmask_b32_e32 v15, 0x7f800001, v23, vcc_lo
	v_cmp_eq_u32_e32 vcc_lo, 0x7c, v24
	s_delay_alu instid0(VALU_DEP_2)
	v_cndmask_b32_e32 v15, v13, v15, vcc_lo
.LBB6_7884:                             ;   in Loop: Header=BB6_7730 Depth=3
	s_or_b32 exec_lo, exec_lo, s14
	s_delay_alu instid0(VALU_DEP_1) | instskip(NEXT) | instid1(VALU_DEP_1)
	v_dual_mul_f32 v15, v22, v15 :: v_dual_mov_b32 v25, v21
	v_dual_mov_b32 v23, v21 :: v_dual_lshrrev_b32 v13, 24, v15
	v_and_b32_e32 v24, 0x7f800000, v15
	v_and_b32_e32 v22, 0x7fffff, v15
	s_delay_alu instid0(VALU_DEP_2) | instskip(SKIP_1) | instid1(SALU_CYCLE_1)
	v_cmp_ne_u64_e32 vcc_lo, 0x7f800000, v[24:25]
                                        ; implicit-def: $vgpr24
	s_and_saveexec_b32 s14, vcc_lo
	s_xor_b32 s15, exec_lo, s14
	s_cbranch_execz .LBB6_7898
; %bb.7885:                             ;   in Loop: Header=BB6_7730 Depth=3
	v_and_b32_e32 v24, 0x7fffffff, v15
	v_mov_b32_e32 v25, v21
	v_and_b32_e32 v13, 0x80, v13
	s_delay_alu instid0(VALU_DEP_2) | instskip(SKIP_1) | instid1(SALU_CYCLE_1)
	v_cmp_gt_u64_e32 vcc_lo, 0x47600001, v[24:25]
                                        ; implicit-def: $vgpr24
	s_and_saveexec_b32 s14, vcc_lo
	s_xor_b32 s42, exec_lo, s14
	s_cbranch_execz .LBB6_7895
; %bb.7886:                             ;   in Loop: Header=BB6_7730 Depth=3
	v_mov_b32_e32 v24, 0
	s_mov_b32 s43, exec_lo
	v_cmpx_ne_u32_e32 0, v15
	s_cbranch_execz .LBB6_7894
; %bb.7887:                             ;   in Loop: Header=BB6_7730 Depth=3
	v_bfe_u32 v15, v15, 23, 8
	v_or_b32_e32 v36, 0x800000, v22
	s_delay_alu instid0(VALU_DEP_2) | instskip(SKIP_1) | instid1(VALU_DEP_2)
	v_sub_nc_u32_e32 v24, 0x71, v15
	v_cmp_gt_u32_e32 vcc_lo, 0x72, v15
	v_cndmask_b32_e32 v24, 0, v24, vcc_lo
	v_cmp_eq_u32_e32 vcc_lo, 0, v15
	s_delay_alu instid0(VALU_DEP_2) | instskip(NEXT) | instid1(VALU_DEP_1)
	v_cndmask_b32_e64 v35, v24, 0x70, vcc_lo
	v_dual_cndmask_b32 v22, v36, v22, vcc_lo :: v_dual_add_nc_u32 v24, 21, v35
	v_add_nc_u32_e32 v37, 20, v35
	s_delay_alu instid0(VALU_DEP_2) | instskip(NEXT) | instid1(VALU_DEP_2)
	v_lshlrev_b64_e64 v[24:25], v24, -1
	v_lshlrev_b64_e64 v[36:37], v37, 1
	s_delay_alu instid0(VALU_DEP_2) | instskip(SKIP_1) | instid1(VALU_DEP_4)
	v_bfi_b32 v24, v24, 0, v22
	v_lshrrev_b64 v[22:23], v35, v[22:23]
	v_bfi_b32 v25, v25, 0, 0
	s_delay_alu instid0(VALU_DEP_1) | instskip(NEXT) | instid1(VALU_DEP_3)
	v_cmp_eq_u64_e64 s14, v[24:25], v[36:37]
	v_mov_b64_e32 v[24:25], v[22:23]
	s_and_saveexec_b32 s75, s14
; %bb.7888:                             ;   in Loop: Header=BB6_7730 Depth=3
	v_bfe_u32 v24, v22, 21, 1
	v_mov_b32_e32 v25, v21
	s_delay_alu instid0(VALU_DEP_1) | instskip(NEXT) | instid1(VALU_DEP_1)
	v_add_nc_u64_e32 v[24:25], v[22:23], v[24:25]
	v_add_nc_u64_e32 v[24:25], -1, v[24:25]
; %bb.7889:                             ;   in Loop: Header=BB6_7730 Depth=3
	s_or_b32 exec_lo, exec_lo, s75
	v_add_nc_u32_e32 v15, 0xffffff81, v15
	v_lshrrev_b32_e32 v23, 23, v22
	s_mov_b32 s14, exec_lo
	s_delay_alu instid0(VALU_DEP_2) | instskip(NEXT) | instid1(VALU_DEP_1)
	v_cndmask_b32_e64 v15, v15, 0xffffff82, vcc_lo
	v_add3_u32 v25, v35, v15, v23
	v_and_b32_e32 v15, 0x1fffff, v24
	s_delay_alu instid0(VALU_DEP_2) | instskip(NEXT) | instid1(VALU_DEP_2)
	v_dual_mov_b32 v23, v21 :: v_dual_add_nc_u32 v24, 14, v25
	v_add_nc_u32_e32 v22, v15, v22
                                        ; implicit-def: $vgpr15
	s_delay_alu instid0(VALU_DEP_2)
	v_cmpx_ne_u32_e32 0, v24
	s_xor_b32 s14, exec_lo, s14
; %bb.7890:                             ;   in Loop: Header=BB6_7730 Depth=3
	s_delay_alu instid0(VALU_DEP_2) | instskip(SKIP_1) | instid1(VALU_DEP_1)
	v_cmp_lt_u64_e32 vcc_lo, 0xffffff, v[22:23]
	v_add_nc_u32_e32 v15, 15, v25
	v_cndmask_b32_e32 v15, v24, v15, vcc_lo
	v_cndmask_b32_e64 v24, 0, 1, vcc_lo
	s_delay_alu instid0(VALU_DEP_1)
	v_lshrrev_b64 v[22:23], v24, v[22:23]
; %bb.7891:                             ;   in Loop: Header=BB6_7730 Depth=3
	s_and_not1_saveexec_b32 s14, s14
; %bb.7892:                             ;   in Loop: Header=BB6_7730 Depth=3
	s_delay_alu instid0(VALU_DEP_1)
	v_bfe_u32 v15, v22, 23, 1
; %bb.7893:                             ;   in Loop: Header=BB6_7730 Depth=3
	s_or_b32 exec_lo, exec_lo, s14
	s_delay_alu instid0(VALU_DEP_2) | instskip(NEXT) | instid1(VALU_DEP_2)
	v_lshrrev_b64 v[22:23], 21, v[22:23]
	v_cmp_gt_i32_e32 vcc_lo, 32, v15
	v_min_i32_e32 v24, 31, v15
	v_cmp_eq_u32_e64 s14, 0, v15
	s_delay_alu instid0(VALU_DEP_2) | instskip(SKIP_1) | instid1(VALU_DEP_2)
	v_dual_cndmask_b32 v22, 3, v22, vcc_lo :: v_dual_lshlrev_b32 v24, 2, v24
	v_cndmask_b32_e32 v23, 0, v23, vcc_lo
	v_and_b32_e32 v24, 0xfc, v24
	s_delay_alu instid0(VALU_DEP_2) | instskip(NEXT) | instid1(VALU_DEP_2)
	v_cmp_eq_u64_e32 vcc_lo, 0, v[22:23]
	v_and_or_b32 v15, v22, 3, v24
	s_and_b32 s14, s14, vcc_lo
	s_delay_alu instid0(VALU_DEP_1) | instid1(SALU_CYCLE_1)
	v_cndmask_b32_e64 v15, v15, 0, s14
	s_delay_alu instid0(VALU_DEP_1)
	v_or_b32_e32 v24, v15, v13
.LBB6_7894:                             ;   in Loop: Header=BB6_7730 Depth=3
	s_or_b32 exec_lo, exec_lo, s43
                                        ; implicit-def: $vgpr13
.LBB6_7895:                             ;   in Loop: Header=BB6_7730 Depth=3
	s_and_not1_saveexec_b32 s14, s42
; %bb.7896:                             ;   in Loop: Header=BB6_7730 Depth=3
	v_or_b32_e32 v24, 0x7b, v13
; %bb.7897:                             ;   in Loop: Header=BB6_7730 Depth=3
	s_or_b32 exec_lo, exec_lo, s14
                                        ; implicit-def: $vgpr15
                                        ; implicit-def: $vgpr22_vgpr23
                                        ; implicit-def: $vgpr13
.LBB6_7898:                             ;   in Loop: Header=BB6_7730 Depth=3
	s_and_not1_saveexec_b32 s14, s15
	s_cbranch_execz .LBB6_7904
; %bb.7899:                             ;   in Loop: Header=BB6_7730 Depth=3
	s_mov_b32 s15, exec_lo
                                        ; implicit-def: $vgpr24
	v_cmpx_ne_u64_e32 0, v[22:23]
	s_xor_b32 s15, exec_lo, s15
; %bb.7900:                             ;   in Loop: Header=BB6_7730 Depth=3
	v_or_b32_e32 v24, 0x7f, v13
                                        ; implicit-def: $vgpr15
; %bb.7901:                             ;   in Loop: Header=BB6_7730 Depth=3
	s_and_not1_saveexec_b32 s15, s15
; %bb.7902:                             ;   in Loop: Header=BB6_7730 Depth=3
	v_cmp_lt_i32_e32 vcc_lo, -1, v15
	v_mov_b32_e32 v13, 0x7c
	s_delay_alu instid0(VALU_DEP_1)
	v_cndmask_b32_e32 v24, 0xfc, v13, vcc_lo
; %bb.7903:                             ;   in Loop: Header=BB6_7730 Depth=3
	s_or_b32 exec_lo, exec_lo, s15
.LBB6_7904:                             ;   in Loop: Header=BB6_7730 Depth=3
	s_delay_alu instid0(SALU_CYCLE_1) | instskip(SKIP_3) | instid1(VALU_DEP_2)
	s_or_b32 exec_lo, exec_lo, s14
	v_lshrrev_b16 v22, 8, v14
	v_mov_b32_e32 v13, 0
	s_mov_b32 s14, exec_lo
	v_cmpx_ne_u16_e32 0, v22
	s_cbranch_execz .LBB6_7914
; %bb.7905:                             ;   in Loop: Header=BB6_7730 Depth=3
	v_bfrev_b32_e32 v13, 1
	s_mov_b32 s15, exec_lo
	v_cmpx_ne_u16_e32 0x80, v22
	s_cbranch_execz .LBB6_7913
; %bb.7906:                             ;   in Loop: Header=BB6_7730 Depth=3
	v_and_b32_e32 v15, 0xffff, v22
	s_delay_alu instid0(VALU_DEP_1) | instskip(SKIP_1) | instid1(VALU_DEP_2)
	v_and_b32_e32 v13, 0x7c, v15
	v_and_b32_e32 v23, 3, v15
	v_cmp_ne_u32_e32 vcc_lo, 0x7c, v13
                                        ; implicit-def: $vgpr13
	s_and_saveexec_b32 s42, vcc_lo
	s_delay_alu instid0(SALU_CYCLE_1)
	s_xor_b32 s42, exec_lo, s42
	s_cbranch_execz .LBB6_7910
; %bb.7907:                             ;   in Loop: Header=BB6_7730 Depth=3
	v_bfe_u32 v13, v15, 2, 5
	s_mov_b32 s43, exec_lo
	s_delay_alu instid0(VALU_DEP_1)
	v_cmpx_eq_u32_e32 0, v13
	s_cbranch_execz .LBB6_7909
; %bb.7908:                             ;   in Loop: Header=BB6_7730 Depth=3
	v_clz_i32_u32_e32 v13, v23
	s_delay_alu instid0(VALU_DEP_1) | instskip(SKIP_1) | instid1(VALU_DEP_2)
	v_min_u32_e32 v13, 32, v13
	v_mov_b32_e32 v23, v21
	v_subrev_nc_u32_e32 v15, 29, v13
	v_sub_nc_u32_e32 v13, 30, v13
	s_delay_alu instid0(VALU_DEP_2) | instskip(NEXT) | instid1(VALU_DEP_1)
	v_lshlrev_b64_e32 v[22:23], v15, v[22:23]
	v_and_b32_e32 v23, 3, v22
.LBB6_7909:                             ;   in Loop: Header=BB6_7730 Depth=3
	s_or_b32 exec_lo, exec_lo, s43
	v_lshlrev_b32_e32 v14, 16, v14
	s_delay_alu instid0(VALU_DEP_1) | instskip(NEXT) | instid1(VALU_DEP_1)
	v_and_b32_e32 v14, 0x80000000, v14
	v_lshl_add_u32 v13, v13, 23, v14
                                        ; implicit-def: $vgpr14_vgpr15
	s_delay_alu instid0(VALU_DEP_1) | instskip(NEXT) | instid1(VALU_DEP_1)
	v_lshl_or_b32 v13, v23, 21, v13
                                        ; implicit-def: $vgpr23
	v_add_nc_u32_e32 v13, 0x38000000, v13
.LBB6_7910:                             ;   in Loop: Header=BB6_7730 Depth=3
	s_and_not1_saveexec_b32 s42, s42
; %bb.7911:                             ;   in Loop: Header=BB6_7730 Depth=3
	v_cmp_lt_i16_e32 vcc_lo, -1, v14
	v_mov_b32_e32 v13, 0x7f800000
	s_delay_alu instid0(VALU_DEP_1) | instskip(SKIP_1) | instid1(VALU_DEP_2)
	v_cndmask_b32_e32 v13, 0xff800000, v13, vcc_lo
	v_cmp_eq_u32_e32 vcc_lo, 0, v23
	v_cndmask_b32_e32 v13, 0x7f800001, v13, vcc_lo
; %bb.7912:                             ;   in Loop: Header=BB6_7730 Depth=3
	s_or_b32 exec_lo, exec_lo, s42
.LBB6_7913:                             ;   in Loop: Header=BB6_7730 Depth=3
	s_delay_alu instid0(SALU_CYCLE_1)
	s_or_b32 exec_lo, exec_lo, s15
.LBB6_7914:                             ;   in Loop: Header=BB6_7730 Depth=3
	s_delay_alu instid0(SALU_CYCLE_1) | instskip(SKIP_3) | instid1(VALU_DEP_1)
	s_or_b32 exec_lo, exec_lo, s14
	v_lshrrev_b16 v14, 8, v12
	s_mov_b32 s15, 0
	s_mov_b32 s14, exec_lo
	v_cmpx_lt_i16_e32 0x7f, v14
	s_xor_b32 s14, exec_lo, s14
	s_cbranch_execz .LBB6_8293
; %bb.7915:                             ;   in Loop: Header=BB6_7730 Depth=3
	s_mov_b32 s15, -1
	s_mov_b32 s42, exec_lo
	v_cmpx_eq_u16_e32 0x80, v14
; %bb.7916:                             ;   in Loop: Header=BB6_7730 Depth=3
	s_xor_b32 s15, exec_lo, -1
; %bb.7917:                             ;   in Loop: Header=BB6_7730 Depth=3
	s_or_b32 exec_lo, exec_lo, s42
	s_delay_alu instid0(SALU_CYCLE_1)
	s_and_b32 s15, s15, exec_lo
	s_or_saveexec_b32 s14, s14
	v_bfrev_b32_e32 v15, 1
	s_xor_b32 exec_lo, exec_lo, s14
	s_cbranch_execnz .LBB6_8294
.LBB6_7918:                             ;   in Loop: Header=BB6_7730 Depth=3
	s_or_b32 exec_lo, exec_lo, s14
	s_and_saveexec_b32 s14, s15
	s_cbranch_execz .LBB6_7920
.LBB6_7919:                             ;   in Loop: Header=BB6_7730 Depth=3
	v_and_b32_e32 v25, 0xffff, v14
	s_delay_alu instid0(VALU_DEP_1) | instskip(NEXT) | instid1(VALU_DEP_1)
	v_and_b32_e32 v35, 3, v25
	v_clz_i32_u32_e32 v15, v35
	s_delay_alu instid0(VALU_DEP_1) | instskip(SKIP_1) | instid1(VALU_DEP_2)
	v_min_u32_e32 v36, 32, v15
	v_mov_b32_e32 v15, v21
	v_subrev_nc_u32_e32 v22, 29, v36
	s_delay_alu instid0(VALU_DEP_1) | instskip(SKIP_2) | instid1(VALU_DEP_2)
	v_lshlrev_b64_e32 v[22:23], v22, v[14:15]
	v_bfe_u32 v15, v25, 2, 5
	v_dual_lshlrev_b32 v14, 24, v14 :: v_dual_sub_nc_u32 v23, 30, v36
	v_cmp_eq_u32_e32 vcc_lo, 0, v15
	s_delay_alu instid0(VALU_DEP_2) | instskip(NEXT) | instid1(VALU_DEP_3)
	v_and_b32_e32 v14, 0x80000000, v14
	v_dual_cndmask_b32 v15, v15, v23, vcc_lo :: v_dual_bitop2_b32 v22, 3, v22 bitop3:0x40
	s_delay_alu instid0(VALU_DEP_1) | instskip(SKIP_2) | instid1(VALU_DEP_4)
	v_cndmask_b32_e32 v22, v35, v22, vcc_lo
	v_cmp_lt_i16_e32 vcc_lo, -1, v12
	v_mov_b32_e32 v12, 0x7f800000
	v_lshl_add_u32 v14, v15, 23, v14
	v_and_b32_e32 v15, 0x7c, v25
	s_delay_alu instid0(VALU_DEP_3) | instskip(NEXT) | instid1(VALU_DEP_3)
	v_cndmask_b32_e32 v12, 0xff800000, v12, vcc_lo
	v_lshl_or_b32 v14, v22, 21, v14
	v_cmp_eq_u32_e32 vcc_lo, 0, v35
	s_delay_alu instid0(VALU_DEP_2) | instskip(NEXT) | instid1(VALU_DEP_4)
	v_add_nc_u32_e32 v14, 0x38000000, v14
	v_cndmask_b32_e32 v12, 0x7f800001, v12, vcc_lo
	v_cmp_eq_u32_e32 vcc_lo, 0x7c, v15
	s_delay_alu instid0(VALU_DEP_2)
	v_cndmask_b32_e32 v15, v14, v12, vcc_lo
.LBB6_7920:                             ;   in Loop: Header=BB6_7730 Depth=3
	s_or_b32 exec_lo, exec_lo, s14
	s_delay_alu instid0(VALU_DEP_1) | instskip(SKIP_1) | instid1(VALU_DEP_2)
	v_mul_f32_e32 v14, v13, v15
	v_dual_mov_b32 v23, v21 :: v_dual_mov_b32 v13, v21
	v_and_b32_e32 v22, 0x7f800000, v14
	v_and_b32_e32 v12, 0x7fffff, v14
	v_lshrrev_b32_e32 v15, 24, v14
	s_delay_alu instid0(VALU_DEP_3) | instskip(SKIP_1) | instid1(SALU_CYCLE_1)
	v_cmp_ne_u64_e32 vcc_lo, 0x7f800000, v[22:23]
                                        ; implicit-def: $vgpr22
	s_and_saveexec_b32 s14, vcc_lo
	s_xor_b32 s15, exec_lo, s14
	s_cbranch_execz .LBB6_7934
; %bb.7921:                             ;   in Loop: Header=BB6_7730 Depth=3
	v_and_b32_e32 v22, 0x7fffffff, v14
	v_mov_b32_e32 v23, v21
	s_delay_alu instid0(VALU_DEP_1) | instskip(SKIP_2) | instid1(SALU_CYCLE_1)
	v_cmp_gt_u64_e32 vcc_lo, 0x47600001, v[22:23]
	v_and_b32_e32 v23, 0x80, v15
                                        ; implicit-def: $vgpr22
	s_and_saveexec_b32 s14, vcc_lo
	s_xor_b32 s42, exec_lo, s14
	s_cbranch_execz .LBB6_7931
; %bb.7922:                             ;   in Loop: Header=BB6_7730 Depth=3
	v_mov_b32_e32 v22, 0
	s_mov_b32 s43, exec_lo
	v_cmpx_ne_u32_e32 0, v14
	s_cbranch_execz .LBB6_7930
; %bb.7923:                             ;   in Loop: Header=BB6_7730 Depth=3
	v_bfe_u32 v22, v14, 23, 8
	v_or_b32_e32 v35, 0x800000, v12
	s_delay_alu instid0(VALU_DEP_2) | instskip(SKIP_1) | instid1(VALU_DEP_2)
	v_sub_nc_u32_e32 v14, 0x71, v22
	v_cmp_gt_u32_e32 vcc_lo, 0x72, v22
	v_cndmask_b32_e32 v14, 0, v14, vcc_lo
	v_cmp_eq_u32_e32 vcc_lo, 0, v22
	s_delay_alu instid0(VALU_DEP_2) | instskip(NEXT) | instid1(VALU_DEP_1)
	v_cndmask_b32_e64 v25, v14, 0x70, vcc_lo
	v_dual_cndmask_b32 v12, v35, v12, vcc_lo :: v_dual_add_nc_u32 v14, 21, v25
	v_add_nc_u32_e32 v36, 20, v25
	s_delay_alu instid0(VALU_DEP_2) | instskip(NEXT) | instid1(VALU_DEP_2)
	v_lshlrev_b64_e64 v[14:15], v14, -1
	v_lshlrev_b64_e64 v[36:37], v36, 1
	s_delay_alu instid0(VALU_DEP_2) | instskip(SKIP_1) | instid1(VALU_DEP_4)
	v_bfi_b32 v14, v14, 0, v12
	v_lshrrev_b64 v[12:13], v25, v[12:13]
	v_bfi_b32 v15, v15, 0, 0
	s_delay_alu instid0(VALU_DEP_1) | instskip(NEXT) | instid1(VALU_DEP_3)
	v_cmp_eq_u64_e64 s14, v[14:15], v[36:37]
	v_mov_b64_e32 v[14:15], v[12:13]
	s_and_saveexec_b32 s75, s14
; %bb.7924:                             ;   in Loop: Header=BB6_7730 Depth=3
	v_bfe_u32 v14, v12, 21, 1
	v_mov_b32_e32 v15, v21
	s_delay_alu instid0(VALU_DEP_1) | instskip(NEXT) | instid1(VALU_DEP_1)
	v_add_nc_u64_e32 v[14:15], v[12:13], v[14:15]
	v_add_nc_u64_e32 v[14:15], -1, v[14:15]
; %bb.7925:                             ;   in Loop: Header=BB6_7730 Depth=3
	s_or_b32 exec_lo, exec_lo, s75
	v_add_nc_u32_e32 v13, 0xffffff81, v22
	v_lshrrev_b32_e32 v15, 23, v12
	s_mov_b32 s14, exec_lo
	s_delay_alu instid0(VALU_DEP_2) | instskip(NEXT) | instid1(VALU_DEP_1)
	v_cndmask_b32_e64 v13, v13, 0xffffff82, vcc_lo
	v_add3_u32 v15, v25, v13, v15
	v_and_b32_e32 v13, 0x1fffff, v14
                                        ; implicit-def: $vgpr14
	s_delay_alu instid0(VALU_DEP_1) | instskip(SKIP_1) | instid1(VALU_DEP_2)
	v_dual_add_nc_u32 v22, 14, v15 :: v_dual_add_nc_u32 v12, v13, v12
	v_mov_b32_e32 v13, v21
	v_cmpx_ne_u32_e32 0, v22
	s_xor_b32 s14, exec_lo, s14
; %bb.7926:                             ;   in Loop: Header=BB6_7730 Depth=3
	s_delay_alu instid0(VALU_DEP_2) | instskip(SKIP_2) | instid1(VALU_DEP_2)
	v_cmp_lt_u64_e32 vcc_lo, 0xffffff, v[12:13]
	v_add_nc_u32_e32 v14, 15, v15
	v_cndmask_b32_e64 v15, 0, 1, vcc_lo
	v_cndmask_b32_e32 v14, v22, v14, vcc_lo
	s_delay_alu instid0(VALU_DEP_2)
	v_lshrrev_b64 v[12:13], v15, v[12:13]
; %bb.7927:                             ;   in Loop: Header=BB6_7730 Depth=3
	s_and_not1_saveexec_b32 s14, s14
; %bb.7928:                             ;   in Loop: Header=BB6_7730 Depth=3
	s_delay_alu instid0(VALU_DEP_1)
	v_bfe_u32 v14, v12, 23, 1
; %bb.7929:                             ;   in Loop: Header=BB6_7730 Depth=3
	s_or_b32 exec_lo, exec_lo, s14
	s_delay_alu instid0(VALU_DEP_2) | instskip(NEXT) | instid1(VALU_DEP_2)
	v_lshrrev_b64 v[12:13], 21, v[12:13]
	v_cmp_gt_i32_e32 vcc_lo, 32, v14
	v_min_i32_e32 v15, 31, v14
	v_cmp_eq_u32_e64 s14, 0, v14
	s_delay_alu instid0(VALU_DEP_2) | instskip(SKIP_1) | instid1(VALU_DEP_2)
	v_dual_cndmask_b32 v13, 0, v13, vcc_lo :: v_dual_lshlrev_b32 v15, 2, v15
	v_cndmask_b32_e32 v12, 3, v12, vcc_lo
	v_and_b32_e32 v15, 0xfc, v15
	s_delay_alu instid0(VALU_DEP_2) | instskip(NEXT) | instid1(VALU_DEP_2)
	v_cmp_eq_u64_e32 vcc_lo, 0, v[12:13]
	v_and_or_b32 v12, v12, 3, v15
	s_and_b32 s14, s14, vcc_lo
	s_delay_alu instid0(VALU_DEP_1) | instid1(SALU_CYCLE_1)
	v_cndmask_b32_e64 v12, v12, 0, s14
	s_delay_alu instid0(VALU_DEP_1)
	v_or_b32_e32 v22, v12, v23
.LBB6_7930:                             ;   in Loop: Header=BB6_7730 Depth=3
	s_or_b32 exec_lo, exec_lo, s43
                                        ; implicit-def: $vgpr23
.LBB6_7931:                             ;   in Loop: Header=BB6_7730 Depth=3
	s_and_not1_saveexec_b32 s14, s42
; %bb.7932:                             ;   in Loop: Header=BB6_7730 Depth=3
	v_or_b32_e32 v22, 0x7b, v23
; %bb.7933:                             ;   in Loop: Header=BB6_7730 Depth=3
	s_or_b32 exec_lo, exec_lo, s14
                                        ; implicit-def: $vgpr14
                                        ; implicit-def: $vgpr12_vgpr13
                                        ; implicit-def: $vgpr15
.LBB6_7934:                             ;   in Loop: Header=BB6_7730 Depth=3
	s_and_not1_saveexec_b32 s14, s15
	s_cbranch_execz .LBB6_7940
; %bb.7935:                             ;   in Loop: Header=BB6_7730 Depth=3
	s_mov_b32 s15, exec_lo
                                        ; implicit-def: $vgpr22
	v_cmpx_ne_u64_e32 0, v[12:13]
	s_xor_b32 s15, exec_lo, s15
; %bb.7936:                             ;   in Loop: Header=BB6_7730 Depth=3
	v_or_b32_e32 v22, 0x7f, v15
                                        ; implicit-def: $vgpr14
; %bb.7937:                             ;   in Loop: Header=BB6_7730 Depth=3
	s_and_not1_saveexec_b32 s15, s15
; %bb.7938:                             ;   in Loop: Header=BB6_7730 Depth=3
	v_cmp_lt_i32_e32 vcc_lo, -1, v14
	v_mov_b32_e32 v12, 0x7c
	s_delay_alu instid0(VALU_DEP_1)
	v_cndmask_b32_e32 v22, 0xfc, v12, vcc_lo
; %bb.7939:                             ;   in Loop: Header=BB6_7730 Depth=3
	s_or_b32 exec_lo, exec_lo, s15
.LBB6_7940:                             ;   in Loop: Header=BB6_7730 Depth=3
	s_delay_alu instid0(SALU_CYCLE_1) | instskip(SKIP_2) | instid1(VALU_DEP_1)
	s_or_b32 exec_lo, exec_lo, s14
	v_dual_mov_b32 v13, 0 :: v_dual_lshrrev_b32 v12, 16, v1
	s_mov_b32 s14, exec_lo
	v_and_b32_e32 v14, 0xff, v12
	s_delay_alu instid0(VALU_DEP_1)
	v_cmpx_ne_u16_e32 0, v14
	s_cbranch_execz .LBB6_7950
; %bb.7941:                             ;   in Loop: Header=BB6_7730 Depth=3
	v_bfrev_b32_e32 v13, 1
	s_mov_b32 s15, exec_lo
	v_cmpx_ne_u16_e32 0x80, v14
	s_cbranch_execz .LBB6_7949
; %bb.7942:                             ;   in Loop: Header=BB6_7730 Depth=3
	v_and_b32_e32 v13, 0x7c0000, v1
	v_bfe_u32 v14, v1, 16, 2
	s_delay_alu instid0(VALU_DEP_2) | instskip(SKIP_1) | instid1(SALU_CYCLE_1)
	v_cmp_ne_u32_e32 vcc_lo, 0x7c0000, v13
                                        ; implicit-def: $vgpr13
	s_and_saveexec_b32 s42, vcc_lo
	s_xor_b32 s42, exec_lo, s42
	s_cbranch_execz .LBB6_7946
; %bb.7943:                             ;   in Loop: Header=BB6_7730 Depth=3
	v_bfe_u32 v13, v1, 18, 5
	s_mov_b32 s43, exec_lo
	s_delay_alu instid0(VALU_DEP_1)
	v_cmpx_eq_u32_e32 0, v13
; %bb.7944:                             ;   in Loop: Header=BB6_7730 Depth=3
	v_clz_i32_u32_e32 v13, v14
	s_delay_alu instid0(VALU_DEP_1) | instskip(NEXT) | instid1(VALU_DEP_1)
	v_min_u32_e32 v13, 32, v13
	v_subrev_nc_u32_e32 v14, 29, v13
	s_delay_alu instid0(VALU_DEP_1) | instskip(NEXT) | instid1(VALU_DEP_1)
	v_lshlrev_b64_e32 v[14:15], v14, v[12:13]
	v_dual_sub_nc_u32 v13, 30, v13 :: v_dual_bitop2_b32 v14, 3, v14 bitop3:0x40
; %bb.7945:                             ;   in Loop: Header=BB6_7730 Depth=3
	s_or_b32 exec_lo, exec_lo, s43
	v_lshlrev_b32_e32 v12, 24, v12
	s_delay_alu instid0(VALU_DEP_1) | instskip(NEXT) | instid1(VALU_DEP_1)
	v_and_b32_e32 v12, 0x80000000, v12
	v_lshl_add_u32 v12, v13, 23, v12
	s_delay_alu instid0(VALU_DEP_1) | instskip(NEXT) | instid1(VALU_DEP_1)
	v_lshl_or_b32 v12, v14, 21, v12
                                        ; implicit-def: $vgpr14
	v_add_nc_u32_e32 v13, 0x38000000, v12
                                        ; implicit-def: $vgpr12
.LBB6_7946:                             ;   in Loop: Header=BB6_7730 Depth=3
	s_and_not1_saveexec_b32 s42, s42
; %bb.7947:                             ;   in Loop: Header=BB6_7730 Depth=3
	v_bfe_i32 v12, v12, 0, 8
	s_delay_alu instid0(VALU_DEP_1) | instskip(SKIP_1) | instid1(VALU_DEP_1)
	v_cmp_lt_i16_e32 vcc_lo, -1, v12
	v_mov_b32_e32 v12, 0x7f800000
	v_cndmask_b32_e32 v12, 0xff800000, v12, vcc_lo
	v_cmp_eq_u32_e32 vcc_lo, 0, v14
	s_delay_alu instid0(VALU_DEP_2)
	v_cndmask_b32_e32 v13, 0x7f800001, v12, vcc_lo
; %bb.7948:                             ;   in Loop: Header=BB6_7730 Depth=3
	s_or_b32 exec_lo, exec_lo, s42
.LBB6_7949:                             ;   in Loop: Header=BB6_7730 Depth=3
	s_delay_alu instid0(SALU_CYCLE_1)
	s_or_b32 exec_lo, exec_lo, s15
.LBB6_7950:                             ;   in Loop: Header=BB6_7730 Depth=3
	s_delay_alu instid0(SALU_CYCLE_1) | instskip(SKIP_3) | instid1(VALU_DEP_1)
	s_or_b32 exec_lo, exec_lo, s14
	v_lshrrev_b32_e32 v12, 16, v9
	s_mov_b32 s15, 0
	s_mov_b32 s14, exec_lo
	v_and_b32_e32 v15, 0xff, v12
	s_delay_alu instid0(VALU_DEP_1)
	v_cmpx_lt_i16_e32 0x7f, v15
	s_xor_b32 s14, exec_lo, s14
	s_cbranch_execz .LBB6_8295
; %bb.7951:                             ;   in Loop: Header=BB6_7730 Depth=3
	s_mov_b32 s15, -1
	s_mov_b32 s42, exec_lo
	v_cmpx_eq_u16_e32 0x80, v15
; %bb.7952:                             ;   in Loop: Header=BB6_7730 Depth=3
	s_xor_b32 s15, exec_lo, -1
; %bb.7953:                             ;   in Loop: Header=BB6_7730 Depth=3
	s_or_b32 exec_lo, exec_lo, s42
	s_delay_alu instid0(SALU_CYCLE_1)
	s_and_b32 s15, s15, exec_lo
                                        ; implicit-def: $vgpr15
	s_or_saveexec_b32 s14, s14
	v_bfrev_b32_e32 v14, 1
	s_xor_b32 exec_lo, exec_lo, s14
	s_cbranch_execnz .LBB6_8296
.LBB6_7954:                             ;   in Loop: Header=BB6_7730 Depth=3
	s_or_b32 exec_lo, exec_lo, s14
	s_and_saveexec_b32 s14, s15
	s_cbranch_execz .LBB6_7956
.LBB6_7955:                             ;   in Loop: Header=BB6_7730 Depth=3
	v_and_b32_e32 v23, 3, v12
	v_bfe_u32 v35, v9, 18, 5
	s_delay_alu instid0(VALU_DEP_2) | instskip(NEXT) | instid1(VALU_DEP_2)
	v_clz_i32_u32_e32 v14, v23
	v_cmp_eq_u32_e32 vcc_lo, 0, v35
	s_delay_alu instid0(VALU_DEP_2) | instskip(NEXT) | instid1(VALU_DEP_1)
	v_min_u32_e32 v25, 32, v14
	v_subrev_nc_u32_e32 v14, 29, v25
	s_delay_alu instid0(VALU_DEP_1) | instskip(SKIP_2) | instid1(VALU_DEP_2)
	v_lshlrev_b64_e32 v[14:15], v14, v[12:13]
	v_dual_lshlrev_b32 v15, 24, v12 :: v_dual_sub_nc_u32 v25, 30, v25
	v_bfe_i32 v12, v12, 0, 8
	v_and_b32_e32 v15, 0x80000000, v15
	s_delay_alu instid0(VALU_DEP_3) | instskip(NEXT) | instid1(VALU_DEP_1)
	v_dual_cndmask_b32 v25, v35, v25, vcc_lo :: v_dual_bitop2_b32 v14, 3, v14 bitop3:0x40
	v_cndmask_b32_e32 v14, v23, v14, vcc_lo
	s_delay_alu instid0(VALU_DEP_4) | instskip(SKIP_1) | instid1(VALU_DEP_4)
	v_cmp_lt_i16_e32 vcc_lo, -1, v12
	v_mov_b32_e32 v12, 0x7f800000
	v_lshl_add_u32 v15, v25, 23, v15
	s_delay_alu instid0(VALU_DEP_2) | instskip(NEXT) | instid1(VALU_DEP_2)
	v_cndmask_b32_e32 v12, 0xff800000, v12, vcc_lo
	v_lshl_or_b32 v14, v14, 21, v15
	v_and_b32_e32 v15, 0x7c0000, v9
	v_cmp_eq_u32_e32 vcc_lo, 0, v23
	s_delay_alu instid0(VALU_DEP_3) | instskip(SKIP_1) | instid1(VALU_DEP_4)
	v_add_nc_u32_e32 v14, 0x38000000, v14
	v_cndmask_b32_e32 v12, 0x7f800001, v12, vcc_lo
	v_cmp_eq_u32_e32 vcc_lo, 0x7c0000, v15
	s_delay_alu instid0(VALU_DEP_2)
	v_cndmask_b32_e32 v14, v14, v12, vcc_lo
.LBB6_7956:                             ;   in Loop: Header=BB6_7730 Depth=3
	s_or_b32 exec_lo, exec_lo, s14
	s_delay_alu instid0(VALU_DEP_1) | instskip(SKIP_2) | instid1(VALU_DEP_2)
	v_mul_f32_e32 v14, v13, v14
	v_dual_mov_b32 v37, v21 :: v_dual_mov_b32 v13, v21
                                        ; implicit-def: $vgpr23
	s_mov_b32 s14, exec_lo
	v_and_b32_e32 v36, 0x7f800000, v14
	v_and_b32_e32 v12, 0x7fffff, v14
	v_lshrrev_b32_e32 v15, 24, v14
	s_delay_alu instid0(VALU_DEP_3)
	v_cmpx_ne_u64_e32 0x7f800000, v[36:37]
	s_xor_b32 s15, exec_lo, s14
	s_cbranch_execz .LBB6_7970
; %bb.7957:                             ;   in Loop: Header=BB6_7730 Depth=3
	v_and_b32_e32 v36, 0x7fffffff, v14
	v_mov_b32_e32 v37, v21
	v_and_b32_e32 v25, 0x80, v15
                                        ; implicit-def: $vgpr23
	s_mov_b32 s14, exec_lo
	s_delay_alu instid0(VALU_DEP_2)
	v_cmpx_gt_u64_e32 0x47600001, v[36:37]
	s_xor_b32 s42, exec_lo, s14
	s_cbranch_execz .LBB6_7967
; %bb.7958:                             ;   in Loop: Header=BB6_7730 Depth=3
	v_mov_b32_e32 v23, 0
	s_mov_b32 s43, exec_lo
	v_cmpx_ne_u32_e32 0, v14
	s_cbranch_execz .LBB6_7966
; %bb.7959:                             ;   in Loop: Header=BB6_7730 Depth=3
	v_bfe_u32 v23, v14, 23, 8
	v_or_b32_e32 v36, 0x800000, v12
	s_delay_alu instid0(VALU_DEP_2) | instskip(SKIP_1) | instid1(VALU_DEP_2)
	v_sub_nc_u32_e32 v14, 0x71, v23
	v_cmp_gt_u32_e32 vcc_lo, 0x72, v23
	v_cndmask_b32_e32 v14, 0, v14, vcc_lo
	v_cmp_eq_u32_e32 vcc_lo, 0, v23
	s_delay_alu instid0(VALU_DEP_2) | instskip(NEXT) | instid1(VALU_DEP_1)
	v_cndmask_b32_e64 v35, v14, 0x70, vcc_lo
	v_dual_cndmask_b32 v12, v36, v12, vcc_lo :: v_dual_add_nc_u32 v14, 21, v35
	v_add_nc_u32_e32 v37, 20, v35
	s_delay_alu instid0(VALU_DEP_2) | instskip(NEXT) | instid1(VALU_DEP_2)
	v_lshlrev_b64_e64 v[14:15], v14, -1
	v_lshlrev_b64_e64 v[36:37], v37, 1
	s_delay_alu instid0(VALU_DEP_2) | instskip(SKIP_1) | instid1(VALU_DEP_4)
	v_bfi_b32 v14, v14, 0, v12
	v_lshrrev_b64 v[12:13], v35, v[12:13]
	v_bfi_b32 v15, v15, 0, 0
	s_delay_alu instid0(VALU_DEP_1) | instskip(NEXT) | instid1(VALU_DEP_3)
	v_cmp_eq_u64_e64 s14, v[14:15], v[36:37]
	v_mov_b64_e32 v[14:15], v[12:13]
	s_and_saveexec_b32 s75, s14
; %bb.7960:                             ;   in Loop: Header=BB6_7730 Depth=3
	v_bfe_u32 v14, v12, 21, 1
	v_mov_b32_e32 v15, v21
	s_delay_alu instid0(VALU_DEP_1) | instskip(NEXT) | instid1(VALU_DEP_1)
	v_add_nc_u64_e32 v[14:15], v[12:13], v[14:15]
	v_add_nc_u64_e32 v[14:15], -1, v[14:15]
; %bb.7961:                             ;   in Loop: Header=BB6_7730 Depth=3
	s_or_b32 exec_lo, exec_lo, s75
	v_add_nc_u32_e32 v13, 0xffffff81, v23
	v_lshrrev_b32_e32 v15, 23, v12
	s_mov_b32 s14, exec_lo
	s_delay_alu instid0(VALU_DEP_2) | instskip(NEXT) | instid1(VALU_DEP_1)
	v_cndmask_b32_e64 v13, v13, 0xffffff82, vcc_lo
	v_add3_u32 v15, v35, v13, v15
	v_and_b32_e32 v13, 0x1fffff, v14
                                        ; implicit-def: $vgpr14
	s_delay_alu instid0(VALU_DEP_1) | instskip(SKIP_1) | instid1(VALU_DEP_2)
	v_dual_add_nc_u32 v23, 14, v15 :: v_dual_add_nc_u32 v12, v13, v12
	v_mov_b32_e32 v13, v21
	v_cmpx_ne_u32_e32 0, v23
	s_xor_b32 s14, exec_lo, s14
; %bb.7962:                             ;   in Loop: Header=BB6_7730 Depth=3
	s_delay_alu instid0(VALU_DEP_2) | instskip(SKIP_2) | instid1(VALU_DEP_2)
	v_cmp_lt_u64_e32 vcc_lo, 0xffffff, v[12:13]
	v_add_nc_u32_e32 v14, 15, v15
	v_cndmask_b32_e64 v15, 0, 1, vcc_lo
	v_cndmask_b32_e32 v14, v23, v14, vcc_lo
	s_delay_alu instid0(VALU_DEP_2)
	v_lshrrev_b64 v[12:13], v15, v[12:13]
; %bb.7963:                             ;   in Loop: Header=BB6_7730 Depth=3
	s_and_not1_saveexec_b32 s14, s14
; %bb.7964:                             ;   in Loop: Header=BB6_7730 Depth=3
	s_delay_alu instid0(VALU_DEP_1)
	v_bfe_u32 v14, v12, 23, 1
; %bb.7965:                             ;   in Loop: Header=BB6_7730 Depth=3
	s_or_b32 exec_lo, exec_lo, s14
	s_delay_alu instid0(VALU_DEP_2) | instskip(NEXT) | instid1(VALU_DEP_2)
	v_lshrrev_b64 v[12:13], 21, v[12:13]
	v_cmp_gt_i32_e32 vcc_lo, 32, v14
	v_min_i32_e32 v15, 31, v14
	v_cmp_eq_u32_e64 s14, 0, v14
	s_delay_alu instid0(VALU_DEP_2) | instskip(SKIP_1) | instid1(VALU_DEP_2)
	v_dual_cndmask_b32 v13, 0, v13, vcc_lo :: v_dual_lshlrev_b32 v15, 2, v15
	v_cndmask_b32_e32 v12, 3, v12, vcc_lo
	v_and_b32_e32 v15, 0xfc, v15
	s_delay_alu instid0(VALU_DEP_2) | instskip(NEXT) | instid1(VALU_DEP_2)
	v_cmp_eq_u64_e32 vcc_lo, 0, v[12:13]
	v_and_or_b32 v12, v12, 3, v15
	s_and_b32 s14, s14, vcc_lo
	s_delay_alu instid0(VALU_DEP_1) | instid1(SALU_CYCLE_1)
	v_cndmask_b32_e64 v12, v12, 0, s14
	s_delay_alu instid0(VALU_DEP_1)
	v_or_b32_e32 v23, v12, v25
.LBB6_7966:                             ;   in Loop: Header=BB6_7730 Depth=3
	s_or_b32 exec_lo, exec_lo, s43
                                        ; implicit-def: $vgpr25
.LBB6_7967:                             ;   in Loop: Header=BB6_7730 Depth=3
	s_and_not1_saveexec_b32 s14, s42
; %bb.7968:                             ;   in Loop: Header=BB6_7730 Depth=3
	v_or_b32_e32 v23, 0x7b, v25
; %bb.7969:                             ;   in Loop: Header=BB6_7730 Depth=3
	s_or_b32 exec_lo, exec_lo, s14
                                        ; implicit-def: $vgpr14
                                        ; implicit-def: $vgpr12_vgpr13
                                        ; implicit-def: $vgpr15
.LBB6_7970:                             ;   in Loop: Header=BB6_7730 Depth=3
	s_and_not1_saveexec_b32 s14, s15
	s_cbranch_execz .LBB6_7976
; %bb.7971:                             ;   in Loop: Header=BB6_7730 Depth=3
	s_mov_b32 s15, exec_lo
                                        ; implicit-def: $vgpr23
	v_cmpx_ne_u64_e32 0, v[12:13]
	s_xor_b32 s15, exec_lo, s15
; %bb.7972:                             ;   in Loop: Header=BB6_7730 Depth=3
	v_or_b32_e32 v23, 0x7f, v15
                                        ; implicit-def: $vgpr14
; %bb.7973:                             ;   in Loop: Header=BB6_7730 Depth=3
	s_and_not1_saveexec_b32 s15, s15
; %bb.7974:                             ;   in Loop: Header=BB6_7730 Depth=3
	v_cmp_lt_i32_e32 vcc_lo, -1, v14
	v_mov_b32_e32 v12, 0x7c
	s_delay_alu instid0(VALU_DEP_1)
	v_cndmask_b32_e32 v23, 0xfc, v12, vcc_lo
; %bb.7975:                             ;   in Loop: Header=BB6_7730 Depth=3
	s_or_b32 exec_lo, exec_lo, s15
.LBB6_7976:                             ;   in Loop: Header=BB6_7730 Depth=3
	s_delay_alu instid0(SALU_CYCLE_1)
	s_or_b32 exec_lo, exec_lo, s14
	v_mov_b32_e32 v13, 0
	s_mov_b32 s14, exec_lo
	v_cmpx_lt_u64_e64 s[22:23], v[0:1]
	s_cbranch_execz .LBB6_7986
; %bb.7977:                             ;   in Loop: Header=BB6_7730 Depth=3
	v_lshrrev_b32_e32 v12, 24, v1
	v_bfrev_b32_e32 v13, 1
	s_mov_b32 s15, exec_lo
	s_delay_alu instid0(VALU_DEP_2)
	v_cmpx_ne_u32_e32 0x80, v12
	s_cbranch_execz .LBB6_7985
; %bb.7978:                             ;   in Loop: Header=BB6_7730 Depth=3
	v_and_b32_e32 v13, 0x7c000000, v1
	v_bfe_u32 v14, v1, 24, 2
	s_delay_alu instid0(VALU_DEP_2) | instskip(SKIP_1) | instid1(SALU_CYCLE_1)
	v_cmp_ne_u32_e32 vcc_lo, 0x7c000000, v13
                                        ; implicit-def: $vgpr13
	s_and_saveexec_b32 s42, vcc_lo
	s_xor_b32 s42, exec_lo, s42
	s_cbranch_execz .LBB6_7982
; %bb.7979:                             ;   in Loop: Header=BB6_7730 Depth=3
	v_bfe_u32 v13, v1, 26, 5
	s_mov_b32 s43, exec_lo
	s_delay_alu instid0(VALU_DEP_1)
	v_cmpx_eq_u32_e32 0, v13
; %bb.7980:                             ;   in Loop: Header=BB6_7730 Depth=3
	v_clz_i32_u32_e32 v13, v14
	s_delay_alu instid0(VALU_DEP_1) | instskip(NEXT) | instid1(VALU_DEP_1)
	v_min_u32_e32 v14, 32, v13
	v_subrev_nc_u32_e32 v13, 29, v14
	s_delay_alu instid0(VALU_DEP_1) | instskip(NEXT) | instid1(VALU_DEP_1)
	v_lshlrev_b64_e32 v[12:13], v13, v[12:13]
	v_dual_sub_nc_u32 v13, 30, v14 :: v_dual_bitop2_b32 v14, 3, v12 bitop3:0x40
; %bb.7981:                             ;   in Loop: Header=BB6_7730 Depth=3
	s_or_b32 exec_lo, exec_lo, s43
	v_and_b32_e32 v12, 0x80000000, v1
	s_delay_alu instid0(VALU_DEP_1) | instskip(NEXT) | instid1(VALU_DEP_1)
	v_lshl_add_u32 v12, v13, 23, v12
	v_lshl_or_b32 v12, v14, 21, v12
                                        ; implicit-def: $vgpr14
	s_delay_alu instid0(VALU_DEP_1)
	v_add_nc_u32_e32 v13, 0x38000000, v12
.LBB6_7982:                             ;   in Loop: Header=BB6_7730 Depth=3
	s_and_not1_saveexec_b32 s42, s42
; %bb.7983:                             ;   in Loop: Header=BB6_7730 Depth=3
	v_cmp_lt_i64_e32 vcc_lo, -1, v[0:1]
	v_mov_b32_e32 v0, 0x7f800000
	s_delay_alu instid0(VALU_DEP_1) | instskip(SKIP_1) | instid1(VALU_DEP_2)
	v_cndmask_b32_e32 v0, 0xff800000, v0, vcc_lo
	v_cmp_eq_u32_e32 vcc_lo, 0, v14
	v_cndmask_b32_e32 v13, 0x7f800001, v0, vcc_lo
; %bb.7984:                             ;   in Loop: Header=BB6_7730 Depth=3
	s_or_b32 exec_lo, exec_lo, s42
.LBB6_7985:                             ;   in Loop: Header=BB6_7730 Depth=3
	s_delay_alu instid0(SALU_CYCLE_1)
	s_or_b32 exec_lo, exec_lo, s15
.LBB6_7986:                             ;   in Loop: Header=BB6_7730 Depth=3
	s_delay_alu instid0(SALU_CYCLE_1) | instskip(SKIP_3) | instid1(VALU_DEP_2)
	s_or_b32 exec_lo, exec_lo, s14
	v_bfe_u32 v1, v9, 24, 2
	v_bfe_u32 v25, v9, 26, 5
	s_mov_b32 s14, exec_lo
	v_clz_i32_u32_e32 v0, v1
	s_delay_alu instid0(VALU_DEP_2) | instskip(NEXT) | instid1(VALU_DEP_2)
	v_cmp_eq_u32_e32 vcc_lo, 0, v25
	v_min_u32_e32 v12, 32, v0
	v_lshrrev_b32_e32 v0, 24, v9
	s_delay_alu instid0(VALU_DEP_2) | instskip(SKIP_1) | instid1(VALU_DEP_2)
	v_subrev_nc_u32_e32 v14, 29, v12
	v_sub_nc_u32_e32 v12, 30, v12
	v_lshlrev_b64_e32 v[14:15], v14, v[0:1]
	s_delay_alu instid0(VALU_DEP_2) | instskip(SKIP_1) | instid1(VALU_DEP_3)
	v_cndmask_b32_e32 v12, v25, v12, vcc_lo
	v_and_b32_e32 v15, 0x80000000, v9
                                        ; implicit-def: $vgpr25
	v_and_b32_e32 v14, 3, v14
	s_delay_alu instid0(VALU_DEP_2) | instskip(NEXT) | instid1(VALU_DEP_2)
	v_lshl_add_u32 v12, v12, 23, v15
	v_dual_mov_b32 v15, 0x7f800000 :: v_dual_cndmask_b32 v14, v1, v14
	v_cmp_lt_i64_e32 vcc_lo, -1, v[8:9]
	s_delay_alu instid0(VALU_DEP_2) | instskip(SKIP_1) | instid1(VALU_DEP_4)
	v_lshl_or_b32 v12, v14, 21, v12
	v_and_b32_e32 v14, 0x7c000000, v9
	v_cndmask_b32_e32 v15, 0xff800000, v15, vcc_lo
	v_cmp_eq_u32_e32 vcc_lo, 0, v1
	s_delay_alu instid0(VALU_DEP_4) | instskip(NEXT) | instid1(VALU_DEP_3)
	v_add_nc_u32_e32 v12, 0x38000000, v12
	v_cndmask_b32_e32 v1, 0x7f800001, v15, vcc_lo
	v_cmp_eq_u32_e32 vcc_lo, 0x7c000000, v14
	s_delay_alu instid0(VALU_DEP_2) | instskip(SKIP_1) | instid1(VALU_DEP_2)
	v_cndmask_b32_e32 v1, v12, v1, vcc_lo
	v_cmp_ne_u32_e32 vcc_lo, 0x80, v0
	v_dual_cndmask_b32 v0, 0x80000000, v1 :: v_dual_mov_b32 v1, v21
	v_cmp_lt_u64_e32 vcc_lo, s[22:23], v[8:9]
	s_delay_alu instid0(VALU_DEP_2) | instskip(NEXT) | instid1(VALU_DEP_1)
	v_cndmask_b32_e32 v0, 0, v0, vcc_lo
	v_dual_mul_f32 v8, v0, v13 :: v_dual_mov_b32 v13, v21
	s_delay_alu instid0(VALU_DEP_1) | instskip(SKIP_2) | instid1(VALU_DEP_3)
	v_and_b32_e32 v12, 0x7f800000, v8
	v_and_b32_e32 v0, 0x7fffff, v8
	v_lshrrev_b32_e32 v9, 24, v8
	v_cmpx_ne_u64_e32 0x7f800000, v[12:13]
	s_xor_b32 s15, exec_lo, s14
	s_cbranch_execz .LBB6_8000
; %bb.7987:                             ;   in Loop: Header=BB6_7730 Depth=3
	v_and_b32_e32 v12, 0x7fffffff, v8
	v_mov_b32_e32 v13, v21
                                        ; implicit-def: $vgpr25
	s_delay_alu instid0(VALU_DEP_1) | instskip(SKIP_2) | instid1(SALU_CYCLE_1)
	v_cmp_gt_u64_e32 vcc_lo, 0x47600001, v[12:13]
	v_and_b32_e32 v12, 0x80, v9
	s_and_saveexec_b32 s14, vcc_lo
	s_xor_b32 s42, exec_lo, s14
	s_cbranch_execz .LBB6_7997
; %bb.7988:                             ;   in Loop: Header=BB6_7730 Depth=3
	v_mov_b32_e32 v25, 0
	s_mov_b32 s43, exec_lo
	v_cmpx_ne_u32_e32 0, v8
	s_cbranch_execz .LBB6_7996
; %bb.7989:                             ;   in Loop: Header=BB6_7730 Depth=3
	v_bfe_u32 v13, v8, 23, 8
	v_or_b32_e32 v15, 0x800000, v0
	s_delay_alu instid0(VALU_DEP_2) | instskip(SKIP_1) | instid1(VALU_DEP_2)
	v_sub_nc_u32_e32 v8, 0x71, v13
	v_cmp_gt_u32_e32 vcc_lo, 0x72, v13
	v_cndmask_b32_e32 v8, 0, v8, vcc_lo
	v_cmp_eq_u32_e32 vcc_lo, 0, v13
	s_delay_alu instid0(VALU_DEP_2) | instskip(NEXT) | instid1(VALU_DEP_1)
	v_cndmask_b32_e64 v14, v8, 0x70, vcc_lo
	v_dual_cndmask_b32 v0, v15, v0, vcc_lo :: v_dual_add_nc_u32 v8, 21, v14
	v_add_nc_u32_e32 v25, 20, v14
	s_delay_alu instid0(VALU_DEP_2) | instskip(NEXT) | instid1(VALU_DEP_2)
	v_lshlrev_b64_e64 v[8:9], v8, -1
	v_lshlrev_b64_e64 v[36:37], v25, 1
	s_delay_alu instid0(VALU_DEP_2) | instskip(SKIP_1) | instid1(VALU_DEP_4)
	v_bfi_b32 v8, v8, 0, v0
	v_lshrrev_b64 v[0:1], v14, v[0:1]
	v_bfi_b32 v9, v9, 0, 0
	s_delay_alu instid0(VALU_DEP_1) | instskip(NEXT) | instid1(VALU_DEP_3)
	v_cmp_eq_u64_e64 s14, v[8:9], v[36:37]
	v_mov_b64_e32 v[8:9], v[0:1]
	s_and_saveexec_b32 s75, s14
; %bb.7990:                             ;   in Loop: Header=BB6_7730 Depth=3
	v_bfe_u32 v8, v0, 21, 1
	v_mov_b32_e32 v9, v21
	s_delay_alu instid0(VALU_DEP_1) | instskip(NEXT) | instid1(VALU_DEP_1)
	v_add_nc_u64_e32 v[8:9], v[0:1], v[8:9]
	v_add_nc_u64_e32 v[8:9], -1, v[8:9]
; %bb.7991:                             ;   in Loop: Header=BB6_7730 Depth=3
	s_or_b32 exec_lo, exec_lo, s75
	v_add_nc_u32_e32 v1, 0xffffff81, v13
	v_lshrrev_b32_e32 v9, 23, v0
	s_mov_b32 s14, exec_lo
	s_delay_alu instid0(VALU_DEP_2) | instskip(NEXT) | instid1(VALU_DEP_1)
	v_cndmask_b32_e64 v1, v1, 0xffffff82, vcc_lo
	v_add3_u32 v9, v14, v1, v9
	v_and_b32_e32 v1, 0x1fffff, v8
                                        ; implicit-def: $vgpr8
	s_delay_alu instid0(VALU_DEP_1) | instskip(SKIP_1) | instid1(VALU_DEP_2)
	v_dual_add_nc_u32 v13, 14, v9 :: v_dual_add_nc_u32 v0, v1, v0
	v_mov_b32_e32 v1, v21
	v_cmpx_ne_u32_e32 0, v13
	s_xor_b32 s14, exec_lo, s14
; %bb.7992:                             ;   in Loop: Header=BB6_7730 Depth=3
	s_delay_alu instid0(VALU_DEP_2) | instskip(SKIP_2) | instid1(VALU_DEP_2)
	v_cmp_lt_u64_e32 vcc_lo, 0xffffff, v[0:1]
	v_add_nc_u32_e32 v8, 15, v9
	v_cndmask_b32_e64 v9, 0, 1, vcc_lo
	v_cndmask_b32_e32 v8, v13, v8, vcc_lo
	s_delay_alu instid0(VALU_DEP_2)
	v_lshrrev_b64 v[0:1], v9, v[0:1]
; %bb.7993:                             ;   in Loop: Header=BB6_7730 Depth=3
	s_and_not1_saveexec_b32 s14, s14
; %bb.7994:                             ;   in Loop: Header=BB6_7730 Depth=3
	s_delay_alu instid0(VALU_DEP_1)
	v_bfe_u32 v8, v0, 23, 1
; %bb.7995:                             ;   in Loop: Header=BB6_7730 Depth=3
	s_or_b32 exec_lo, exec_lo, s14
	s_delay_alu instid0(VALU_DEP_2) | instskip(NEXT) | instid1(VALU_DEP_2)
	v_lshrrev_b64 v[0:1], 21, v[0:1]
	v_cmp_gt_i32_e32 vcc_lo, 32, v8
	v_min_i32_e32 v9, 31, v8
	v_cmp_eq_u32_e64 s14, 0, v8
	s_delay_alu instid0(VALU_DEP_4) | instskip(NEXT) | instid1(VALU_DEP_3)
	v_cndmask_b32_e32 v1, 0, v1, vcc_lo
	v_dual_cndmask_b32 v0, 3, v0 :: v_dual_lshlrev_b32 v9, 2, v9
	s_delay_alu instid0(VALU_DEP_1) | instskip(NEXT) | instid1(VALU_DEP_2)
	v_and_b32_e32 v9, 0xfc, v9
	v_cmp_eq_u64_e32 vcc_lo, 0, v[0:1]
	s_delay_alu instid0(VALU_DEP_2)
	v_and_or_b32 v0, v0, 3, v9
	s_and_b32 s14, s14, vcc_lo
	s_delay_alu instid0(VALU_DEP_1) | instid1(SALU_CYCLE_1)
	v_cndmask_b32_e64 v0, v0, 0, s14
	s_delay_alu instid0(VALU_DEP_1)
	v_or_b32_e32 v25, v0, v12
.LBB6_7996:                             ;   in Loop: Header=BB6_7730 Depth=3
	s_or_b32 exec_lo, exec_lo, s43
                                        ; implicit-def: $vgpr12
.LBB6_7997:                             ;   in Loop: Header=BB6_7730 Depth=3
	s_and_not1_saveexec_b32 s14, s42
; %bb.7998:                             ;   in Loop: Header=BB6_7730 Depth=3
	v_or_b32_e32 v25, 0x7b, v12
; %bb.7999:                             ;   in Loop: Header=BB6_7730 Depth=3
	s_or_b32 exec_lo, exec_lo, s14
                                        ; implicit-def: $vgpr8
                                        ; implicit-def: $vgpr0_vgpr1
                                        ; implicit-def: $vgpr9
.LBB6_8000:                             ;   in Loop: Header=BB6_7730 Depth=3
	s_and_not1_saveexec_b32 s14, s15
	s_cbranch_execz .LBB6_8006
; %bb.8001:                             ;   in Loop: Header=BB6_7730 Depth=3
	s_mov_b32 s15, exec_lo
                                        ; implicit-def: $vgpr25
	v_cmpx_ne_u64_e32 0, v[0:1]
	s_xor_b32 s15, exec_lo, s15
; %bb.8002:                             ;   in Loop: Header=BB6_7730 Depth=3
	v_or_b32_e32 v25, 0x7f, v9
                                        ; implicit-def: $vgpr8
; %bb.8003:                             ;   in Loop: Header=BB6_7730 Depth=3
	s_and_not1_saveexec_b32 s15, s15
; %bb.8004:                             ;   in Loop: Header=BB6_7730 Depth=3
	v_cmp_lt_i32_e32 vcc_lo, -1, v8
	v_mov_b32_e32 v0, 0x7c
	s_delay_alu instid0(VALU_DEP_1)
	v_cndmask_b32_e32 v25, 0xfc, v0, vcc_lo
; %bb.8005:                             ;   in Loop: Header=BB6_7730 Depth=3
	s_or_b32 exec_lo, exec_lo, s15
.LBB6_8006:                             ;   in Loop: Header=BB6_7730 Depth=3
	s_delay_alu instid0(SALU_CYCLE_1) | instskip(SKIP_1) | instid1(VALU_DEP_1)
	s_or_b32 exec_lo, exec_lo, s14
	v_and_b32_e32 v0, 0xff, v2
	v_cmp_ne_u16_e32 vcc_lo, 0, v0
	v_mov_b32_e32 v0, 0
	s_and_saveexec_b32 s14, vcc_lo
	s_cbranch_execz .LBB6_8016
; %bb.8007:                             ;   in Loop: Header=BB6_7730 Depth=3
	v_bfe_i32 v8, v2, 0, 8
	v_bfrev_b32_e32 v0, 1
	s_mov_b32 s15, exec_lo
	s_delay_alu instid0(VALU_DEP_2)
	v_cmpx_ne_u16_e32 0xff80, v8
	s_cbranch_execz .LBB6_8015
; %bb.8008:                             ;   in Loop: Header=BB6_7730 Depth=3
	v_and_b32_e32 v0, 0x7c, v2
	v_and_b32_e32 v1, 3, v2
	s_delay_alu instid0(VALU_DEP_2) | instskip(SKIP_1) | instid1(SALU_CYCLE_1)
	v_cmp_ne_u32_e32 vcc_lo, 0x7c, v0
                                        ; implicit-def: $vgpr0
	s_and_saveexec_b32 s42, vcc_lo
	s_xor_b32 s42, exec_lo, s42
	s_cbranch_execz .LBB6_8012
; %bb.8009:                             ;   in Loop: Header=BB6_7730 Depth=3
	v_bfe_u32 v0, v2, 2, 5
	s_mov_b32 s43, exec_lo
	s_delay_alu instid0(VALU_DEP_1)
	v_cmpx_eq_u32_e32 0, v0
; %bb.8010:                             ;   in Loop: Header=BB6_7730 Depth=3
	v_clz_i32_u32_e32 v0, v1
	s_delay_alu instid0(VALU_DEP_1) | instskip(NEXT) | instid1(VALU_DEP_1)
	v_min_u32_e32 v0, 32, v0
	v_subrev_nc_u32_e32 v1, 29, v0
	v_sub_nc_u32_e32 v0, 30, v0
	s_delay_alu instid0(VALU_DEP_2) | instskip(NEXT) | instid1(VALU_DEP_1)
	v_lshlrev_b64_e32 v[8:9], v1, v[2:3]
	v_and_b32_e32 v1, 3, v8
; %bb.8011:                             ;   in Loop: Header=BB6_7730 Depth=3
	s_or_b32 exec_lo, exec_lo, s43
	v_lshlrev_b32_e32 v8, 24, v2
	s_delay_alu instid0(VALU_DEP_1) | instskip(NEXT) | instid1(VALU_DEP_1)
	v_and_b32_e32 v8, 0x80000000, v8
	v_lshl_add_u32 v0, v0, 23, v8
                                        ; implicit-def: $vgpr8
	s_delay_alu instid0(VALU_DEP_1) | instskip(NEXT) | instid1(VALU_DEP_1)
	v_lshl_or_b32 v0, v1, 21, v0
                                        ; implicit-def: $vgpr1
	v_add_nc_u32_e32 v0, 0x38000000, v0
.LBB6_8012:                             ;   in Loop: Header=BB6_7730 Depth=3
	s_and_not1_saveexec_b32 s42, s42
; %bb.8013:                             ;   in Loop: Header=BB6_7730 Depth=3
	v_cmp_lt_i16_e32 vcc_lo, -1, v8
	v_mov_b32_e32 v0, 0x7f800000
	s_delay_alu instid0(VALU_DEP_1) | instskip(SKIP_1) | instid1(VALU_DEP_2)
	v_cndmask_b32_e32 v0, 0xff800000, v0, vcc_lo
	v_cmp_eq_u32_e32 vcc_lo, 0, v1
	v_cndmask_b32_e32 v0, 0x7f800001, v0, vcc_lo
; %bb.8014:                             ;   in Loop: Header=BB6_7730 Depth=3
	s_or_b32 exec_lo, exec_lo, s42
.LBB6_8015:                             ;   in Loop: Header=BB6_7730 Depth=3
	s_delay_alu instid0(SALU_CYCLE_1)
	s_or_b32 exec_lo, exec_lo, s15
.LBB6_8016:                             ;   in Loop: Header=BB6_7730 Depth=3
	s_delay_alu instid0(SALU_CYCLE_1) | instskip(SKIP_3) | instid1(VALU_DEP_1)
	s_or_b32 exec_lo, exec_lo, s14
	v_and_b32_e32 v8, 0xff, v10
	s_mov_b32 s15, 0
	s_mov_b32 s14, exec_lo
	v_cmpx_lt_i16_e32 0x7f, v8
	s_xor_b32 s14, exec_lo, s14
	s_cbranch_execz .LBB6_8297
; %bb.8017:                             ;   in Loop: Header=BB6_7730 Depth=3
	s_mov_b32 s15, -1
	s_mov_b32 s42, exec_lo
	v_cmpx_eq_u16_e32 0x80, v8
; %bb.8018:                             ;   in Loop: Header=BB6_7730 Depth=3
	s_xor_b32 s15, exec_lo, -1
; %bb.8019:                             ;   in Loop: Header=BB6_7730 Depth=3
	s_or_b32 exec_lo, exec_lo, s42
	s_delay_alu instid0(SALU_CYCLE_1)
	s_and_b32 s15, s15, exec_lo
                                        ; implicit-def: $vgpr8
	s_or_saveexec_b32 s14, s14
	v_bfrev_b32_e32 v1, 1
	s_xor_b32 exec_lo, exec_lo, s14
	s_cbranch_execnz .LBB6_8298
.LBB6_8020:                             ;   in Loop: Header=BB6_7730 Depth=3
	s_or_b32 exec_lo, exec_lo, s14
	s_and_saveexec_b32 s14, s15
	s_cbranch_execz .LBB6_8022
.LBB6_8021:                             ;   in Loop: Header=BB6_7730 Depth=3
	v_and_b32_e32 v1, 3, v10
	v_bfe_u32 v13, v10, 2, 5
	s_delay_alu instid0(VALU_DEP_2) | instskip(NEXT) | instid1(VALU_DEP_2)
	v_clz_i32_u32_e32 v8, v1
	v_cmp_eq_u32_e32 vcc_lo, 0, v13
	s_delay_alu instid0(VALU_DEP_2) | instskip(NEXT) | instid1(VALU_DEP_1)
	v_min_u32_e32 v12, 32, v8
	v_subrev_nc_u32_e32 v8, 29, v12
	v_sub_nc_u32_e32 v12, 30, v12
	s_delay_alu instid0(VALU_DEP_2) | instskip(NEXT) | instid1(VALU_DEP_2)
	v_lshlrev_b64_e32 v[8:9], v8, v[10:11]
	v_dual_cndmask_b32 v12, v13, v12 :: v_dual_lshlrev_b32 v9, 24, v10
	v_bfe_i32 v13, v10, 0, 8
	s_delay_alu instid0(VALU_DEP_2) | instskip(NEXT) | instid1(VALU_DEP_4)
	v_and_b32_e32 v9, 0x80000000, v9
	v_and_b32_e32 v8, 3, v8
	s_delay_alu instid0(VALU_DEP_2) | instskip(NEXT) | instid1(VALU_DEP_2)
	v_lshl_add_u32 v9, v12, 23, v9
	v_cndmask_b32_e32 v8, v1, v8, vcc_lo
	v_cmp_lt_i16_e32 vcc_lo, -1, v13
	v_mov_b32_e32 v12, 0x7f800000
	s_delay_alu instid0(VALU_DEP_3) | instskip(SKIP_1) | instid1(VALU_DEP_3)
	v_lshl_or_b32 v8, v8, 21, v9
	v_and_b32_e32 v9, 0x7c, v10
	v_cndmask_b32_e32 v12, 0xff800000, v12, vcc_lo
	v_cmp_eq_u32_e32 vcc_lo, 0, v1
	s_delay_alu instid0(VALU_DEP_4) | instskip(NEXT) | instid1(VALU_DEP_3)
	v_add_nc_u32_e32 v8, 0x38000000, v8
	v_cndmask_b32_e32 v1, 0x7f800001, v12, vcc_lo
	v_cmp_eq_u32_e32 vcc_lo, 0x7c, v9
	s_delay_alu instid0(VALU_DEP_2)
	v_cndmask_b32_e32 v1, v8, v1, vcc_lo
.LBB6_8022:                             ;   in Loop: Header=BB6_7730 Depth=3
	s_or_b32 exec_lo, exec_lo, s14
	s_delay_alu instid0(VALU_DEP_1) | instskip(SKIP_2) | instid1(VALU_DEP_2)
	v_dual_mul_f32 v8, v0, v1 :: v_dual_mov_b32 v13, v21
	v_mov_b32_e32 v1, v21
                                        ; implicit-def: $vgpr35
	s_mov_b32 s14, exec_lo
	v_and_b32_e32 v12, 0x7f800000, v8
	v_and_b32_e32 v0, 0x7fffff, v8
	v_lshrrev_b32_e32 v9, 24, v8
	s_delay_alu instid0(VALU_DEP_3)
	v_cmpx_ne_u64_e32 0x7f800000, v[12:13]
	s_xor_b32 s15, exec_lo, s14
	s_cbranch_execz .LBB6_8036
; %bb.8023:                             ;   in Loop: Header=BB6_7730 Depth=3
	v_and_b32_e32 v12, 0x7fffffff, v8
	v_mov_b32_e32 v13, v21
                                        ; implicit-def: $vgpr35
	s_delay_alu instid0(VALU_DEP_1) | instskip(SKIP_2) | instid1(SALU_CYCLE_1)
	v_cmp_gt_u64_e32 vcc_lo, 0x47600001, v[12:13]
	v_and_b32_e32 v12, 0x80, v9
	s_and_saveexec_b32 s14, vcc_lo
	s_xor_b32 s42, exec_lo, s14
	s_cbranch_execz .LBB6_8033
; %bb.8024:                             ;   in Loop: Header=BB6_7730 Depth=3
	v_mov_b32_e32 v35, 0
	s_mov_b32 s43, exec_lo
	v_cmpx_ne_u32_e32 0, v8
	s_cbranch_execz .LBB6_8032
; %bb.8025:                             ;   in Loop: Header=BB6_7730 Depth=3
	v_bfe_u32 v13, v8, 23, 8
	v_or_b32_e32 v15, 0x800000, v0
	s_delay_alu instid0(VALU_DEP_2) | instskip(SKIP_1) | instid1(VALU_DEP_2)
	v_sub_nc_u32_e32 v8, 0x71, v13
	v_cmp_gt_u32_e32 vcc_lo, 0x72, v13
	v_cndmask_b32_e32 v8, 0, v8, vcc_lo
	v_cmp_eq_u32_e32 vcc_lo, 0, v13
	s_delay_alu instid0(VALU_DEP_2) | instskip(NEXT) | instid1(VALU_DEP_1)
	v_cndmask_b32_e64 v14, v8, 0x70, vcc_lo
	v_dual_cndmask_b32 v0, v15, v0, vcc_lo :: v_dual_add_nc_u32 v8, 21, v14
	v_add_nc_u32_e32 v35, 20, v14
	s_delay_alu instid0(VALU_DEP_2) | instskip(NEXT) | instid1(VALU_DEP_2)
	v_lshlrev_b64_e64 v[8:9], v8, -1
	v_lshlrev_b64_e64 v[36:37], v35, 1
	s_delay_alu instid0(VALU_DEP_2) | instskip(SKIP_1) | instid1(VALU_DEP_4)
	v_bfi_b32 v8, v8, 0, v0
	v_lshrrev_b64 v[0:1], v14, v[0:1]
	v_bfi_b32 v9, v9, 0, 0
	s_delay_alu instid0(VALU_DEP_1) | instskip(NEXT) | instid1(VALU_DEP_3)
	v_cmp_eq_u64_e64 s14, v[8:9], v[36:37]
	v_mov_b64_e32 v[8:9], v[0:1]
	s_and_saveexec_b32 s75, s14
; %bb.8026:                             ;   in Loop: Header=BB6_7730 Depth=3
	v_bfe_u32 v8, v0, 21, 1
	v_mov_b32_e32 v9, v21
	s_delay_alu instid0(VALU_DEP_1) | instskip(NEXT) | instid1(VALU_DEP_1)
	v_add_nc_u64_e32 v[8:9], v[0:1], v[8:9]
	v_add_nc_u64_e32 v[8:9], -1, v[8:9]
; %bb.8027:                             ;   in Loop: Header=BB6_7730 Depth=3
	s_or_b32 exec_lo, exec_lo, s75
	v_add_nc_u32_e32 v1, 0xffffff81, v13
	v_lshrrev_b32_e32 v9, 23, v0
	s_mov_b32 s14, exec_lo
	s_delay_alu instid0(VALU_DEP_2) | instskip(NEXT) | instid1(VALU_DEP_1)
	v_cndmask_b32_e64 v1, v1, 0xffffff82, vcc_lo
	v_add3_u32 v9, v14, v1, v9
	v_and_b32_e32 v1, 0x1fffff, v8
                                        ; implicit-def: $vgpr8
	s_delay_alu instid0(VALU_DEP_1) | instskip(SKIP_1) | instid1(VALU_DEP_2)
	v_dual_add_nc_u32 v13, 14, v9 :: v_dual_add_nc_u32 v0, v1, v0
	v_mov_b32_e32 v1, v21
	v_cmpx_ne_u32_e32 0, v13
	s_xor_b32 s14, exec_lo, s14
; %bb.8028:                             ;   in Loop: Header=BB6_7730 Depth=3
	s_delay_alu instid0(VALU_DEP_2) | instskip(SKIP_2) | instid1(VALU_DEP_2)
	v_cmp_lt_u64_e32 vcc_lo, 0xffffff, v[0:1]
	v_add_nc_u32_e32 v8, 15, v9
	v_cndmask_b32_e64 v9, 0, 1, vcc_lo
	v_cndmask_b32_e32 v8, v13, v8, vcc_lo
	s_delay_alu instid0(VALU_DEP_2)
	v_lshrrev_b64 v[0:1], v9, v[0:1]
; %bb.8029:                             ;   in Loop: Header=BB6_7730 Depth=3
	s_and_not1_saveexec_b32 s14, s14
; %bb.8030:                             ;   in Loop: Header=BB6_7730 Depth=3
	s_delay_alu instid0(VALU_DEP_1)
	v_bfe_u32 v8, v0, 23, 1
; %bb.8031:                             ;   in Loop: Header=BB6_7730 Depth=3
	s_or_b32 exec_lo, exec_lo, s14
	s_delay_alu instid0(VALU_DEP_2) | instskip(NEXT) | instid1(VALU_DEP_2)
	v_lshrrev_b64 v[0:1], 21, v[0:1]
	v_cmp_gt_i32_e32 vcc_lo, 32, v8
	v_min_i32_e32 v9, 31, v8
	v_cmp_eq_u32_e64 s14, 0, v8
	s_delay_alu instid0(VALU_DEP_4) | instskip(NEXT) | instid1(VALU_DEP_3)
	v_cndmask_b32_e32 v1, 0, v1, vcc_lo
	v_dual_cndmask_b32 v0, 3, v0 :: v_dual_lshlrev_b32 v9, 2, v9
	s_delay_alu instid0(VALU_DEP_1) | instskip(NEXT) | instid1(VALU_DEP_2)
	v_and_b32_e32 v9, 0xfc, v9
	v_cmp_eq_u64_e32 vcc_lo, 0, v[0:1]
	s_delay_alu instid0(VALU_DEP_2)
	v_and_or_b32 v0, v0, 3, v9
	s_and_b32 s14, s14, vcc_lo
	s_delay_alu instid0(VALU_DEP_1) | instid1(SALU_CYCLE_1)
	v_cndmask_b32_e64 v0, v0, 0, s14
	s_delay_alu instid0(VALU_DEP_1)
	v_or_b32_e32 v35, v0, v12
.LBB6_8032:                             ;   in Loop: Header=BB6_7730 Depth=3
	s_or_b32 exec_lo, exec_lo, s43
                                        ; implicit-def: $vgpr12
.LBB6_8033:                             ;   in Loop: Header=BB6_7730 Depth=3
	s_and_not1_saveexec_b32 s14, s42
; %bb.8034:                             ;   in Loop: Header=BB6_7730 Depth=3
	v_or_b32_e32 v35, 0x7b, v12
; %bb.8035:                             ;   in Loop: Header=BB6_7730 Depth=3
	s_or_b32 exec_lo, exec_lo, s14
                                        ; implicit-def: $vgpr8
                                        ; implicit-def: $vgpr0_vgpr1
                                        ; implicit-def: $vgpr9
.LBB6_8036:                             ;   in Loop: Header=BB6_7730 Depth=3
	s_and_not1_saveexec_b32 s14, s15
	s_cbranch_execz .LBB6_8042
; %bb.8037:                             ;   in Loop: Header=BB6_7730 Depth=3
	s_mov_b32 s15, exec_lo
                                        ; implicit-def: $vgpr35
	v_cmpx_ne_u64_e32 0, v[0:1]
	s_xor_b32 s15, exec_lo, s15
; %bb.8038:                             ;   in Loop: Header=BB6_7730 Depth=3
	v_or_b32_e32 v35, 0x7f, v9
                                        ; implicit-def: $vgpr8
; %bb.8039:                             ;   in Loop: Header=BB6_7730 Depth=3
	s_and_not1_saveexec_b32 s15, s15
; %bb.8040:                             ;   in Loop: Header=BB6_7730 Depth=3
	v_cmp_lt_i32_e32 vcc_lo, -1, v8
	v_mov_b32_e32 v0, 0x7c
	s_delay_alu instid0(VALU_DEP_1)
	v_cndmask_b32_e32 v35, 0xfc, v0, vcc_lo
; %bb.8041:                             ;   in Loop: Header=BB6_7730 Depth=3
	s_or_b32 exec_lo, exec_lo, s15
.LBB6_8042:                             ;   in Loop: Header=BB6_7730 Depth=3
	s_delay_alu instid0(SALU_CYCLE_1) | instskip(SKIP_3) | instid1(VALU_DEP_2)
	s_or_b32 exec_lo, exec_lo, s14
	v_lshrrev_b16 v0, 8, v2
	v_mov_b32_e32 v8, 0
	s_mov_b32 s14, exec_lo
	v_cmpx_ne_u16_e32 0, v0
	s_cbranch_execz .LBB6_8052
; %bb.8043:                             ;   in Loop: Header=BB6_7730 Depth=3
	v_bfrev_b32_e32 v8, 1
	s_mov_b32 s15, exec_lo
	v_cmpx_ne_u16_e32 0x80, v0
	s_cbranch_execz .LBB6_8051
; %bb.8044:                             ;   in Loop: Header=BB6_7730 Depth=3
	v_and_b32_e32 v9, 0xffff, v0
	s_delay_alu instid0(VALU_DEP_1) | instskip(SKIP_1) | instid1(VALU_DEP_2)
	v_and_b32_e32 v8, 0x7c, v9
	v_and_b32_e32 v1, 3, v9
	v_cmp_ne_u32_e32 vcc_lo, 0x7c, v8
                                        ; implicit-def: $vgpr8
	s_and_saveexec_b32 s42, vcc_lo
	s_delay_alu instid0(SALU_CYCLE_1)
	s_xor_b32 s42, exec_lo, s42
	s_cbranch_execz .LBB6_8048
; %bb.8045:                             ;   in Loop: Header=BB6_7730 Depth=3
	v_bfe_u32 v8, v9, 2, 5
	s_mov_b32 s43, exec_lo
	s_delay_alu instid0(VALU_DEP_1)
	v_cmpx_eq_u32_e32 0, v8
	s_cbranch_execz .LBB6_8047
; %bb.8046:                             ;   in Loop: Header=BB6_7730 Depth=3
	v_clz_i32_u32_e32 v1, v1
	s_delay_alu instid0(VALU_DEP_1) | instskip(SKIP_1) | instid1(VALU_DEP_2)
	v_min_u32_e32 v8, 32, v1
	v_mov_b32_e32 v1, v21
	v_subrev_nc_u32_e32 v9, 29, v8
	v_sub_nc_u32_e32 v8, 30, v8
	s_delay_alu instid0(VALU_DEP_2) | instskip(NEXT) | instid1(VALU_DEP_1)
	v_lshlrev_b64_e32 v[0:1], v9, v[0:1]
	v_and_b32_e32 v1, 3, v0
.LBB6_8047:                             ;   in Loop: Header=BB6_7730 Depth=3
	s_or_b32 exec_lo, exec_lo, s43
	v_lshlrev_b32_e32 v0, 16, v2
	s_delay_alu instid0(VALU_DEP_1) | instskip(NEXT) | instid1(VALU_DEP_1)
	v_and_b32_e32 v0, 0x80000000, v0
	v_lshl_add_u32 v0, v8, 23, v0
	s_delay_alu instid0(VALU_DEP_1) | instskip(NEXT) | instid1(VALU_DEP_1)
	v_lshl_or_b32 v0, v1, 21, v0
                                        ; implicit-def: $vgpr1
	v_add_nc_u32_e32 v8, 0x38000000, v0
.LBB6_8048:                             ;   in Loop: Header=BB6_7730 Depth=3
	s_and_not1_saveexec_b32 s42, s42
; %bb.8049:                             ;   in Loop: Header=BB6_7730 Depth=3
	v_cmp_lt_i16_e32 vcc_lo, -1, v2
	v_mov_b32_e32 v0, 0x7f800000
	s_delay_alu instid0(VALU_DEP_1) | instskip(SKIP_1) | instid1(VALU_DEP_2)
	v_cndmask_b32_e32 v0, 0xff800000, v0, vcc_lo
	v_cmp_eq_u32_e32 vcc_lo, 0, v1
	v_cndmask_b32_e32 v8, 0x7f800001, v0, vcc_lo
; %bb.8050:                             ;   in Loop: Header=BB6_7730 Depth=3
	s_or_b32 exec_lo, exec_lo, s42
.LBB6_8051:                             ;   in Loop: Header=BB6_7730 Depth=3
	s_delay_alu instid0(SALU_CYCLE_1)
	s_or_b32 exec_lo, exec_lo, s15
.LBB6_8052:                             ;   in Loop: Header=BB6_7730 Depth=3
	s_delay_alu instid0(SALU_CYCLE_1) | instskip(SKIP_3) | instid1(VALU_DEP_1)
	s_or_b32 exec_lo, exec_lo, s14
	v_lshrrev_b16 v0, 8, v10
	s_mov_b32 s15, 0
	s_mov_b32 s14, exec_lo
	v_cmpx_lt_i16_e32 0x7f, v0
	s_xor_b32 s14, exec_lo, s14
	s_cbranch_execz .LBB6_8299
; %bb.8053:                             ;   in Loop: Header=BB6_7730 Depth=3
	s_mov_b32 s15, -1
	s_mov_b32 s42, exec_lo
	v_cmpx_eq_u16_e32 0x80, v0
; %bb.8054:                             ;   in Loop: Header=BB6_7730 Depth=3
	s_xor_b32 s15, exec_lo, -1
; %bb.8055:                             ;   in Loop: Header=BB6_7730 Depth=3
	s_or_b32 exec_lo, exec_lo, s42
	s_delay_alu instid0(SALU_CYCLE_1)
	s_and_b32 s15, s15, exec_lo
	s_or_saveexec_b32 s14, s14
	v_bfrev_b32_e32 v1, 1
	s_xor_b32 exec_lo, exec_lo, s14
	s_cbranch_execnz .LBB6_8300
.LBB6_8056:                             ;   in Loop: Header=BB6_7730 Depth=3
	s_or_b32 exec_lo, exec_lo, s14
	s_and_saveexec_b32 s14, s15
	s_cbranch_execz .LBB6_8058
.LBB6_8057:                             ;   in Loop: Header=BB6_7730 Depth=3
	v_and_b32_e32 v9, 0xffff, v0
	s_delay_alu instid0(VALU_DEP_1) | instskip(NEXT) | instid1(VALU_DEP_1)
	v_and_b32_e32 v14, 3, v9
	v_clz_i32_u32_e32 v1, v14
	s_delay_alu instid0(VALU_DEP_1) | instskip(SKIP_1) | instid1(VALU_DEP_2)
	v_min_u32_e32 v15, 32, v1
	v_mov_b32_e32 v1, v21
	v_subrev_nc_u32_e32 v12, 29, v15
	s_delay_alu instid0(VALU_DEP_1) | instskip(SKIP_3) | instid1(VALU_DEP_3)
	v_lshlrev_b64_e32 v[12:13], v12, v[0:1]
	v_bfe_u32 v1, v9, 2, 5
	v_dual_lshlrev_b32 v0, 24, v0 :: v_dual_sub_nc_u32 v13, 30, v15
	v_and_b32_e32 v9, 0x7c, v9
	v_cmp_eq_u32_e32 vcc_lo, 0, v1
	s_delay_alu instid0(VALU_DEP_3) | instskip(NEXT) | instid1(VALU_DEP_4)
	v_and_b32_e32 v0, 0x80000000, v0
	v_dual_cndmask_b32 v1, v1, v13, vcc_lo :: v_dual_bitop2_b32 v12, 3, v12 bitop3:0x40
	s_delay_alu instid0(VALU_DEP_1) | instskip(SKIP_1) | instid1(VALU_DEP_3)
	v_cndmask_b32_e32 v12, v14, v12, vcc_lo
	v_cmp_lt_i16_e32 vcc_lo, -1, v10
	v_lshl_add_u32 v0, v1, 23, v0
	v_mov_b32_e32 v1, 0x7f800000
	s_delay_alu instid0(VALU_DEP_2) | instskip(NEXT) | instid1(VALU_DEP_2)
	v_lshl_or_b32 v0, v12, 21, v0
	v_cndmask_b32_e32 v1, 0xff800000, v1, vcc_lo
	v_cmp_eq_u32_e32 vcc_lo, 0, v14
	s_delay_alu instid0(VALU_DEP_3) | instskip(NEXT) | instid1(VALU_DEP_3)
	v_add_nc_u32_e32 v0, 0x38000000, v0
	v_cndmask_b32_e32 v1, 0x7f800001, v1, vcc_lo
	v_cmp_eq_u32_e32 vcc_lo, 0x7c, v9
	s_delay_alu instid0(VALU_DEP_2)
	v_cndmask_b32_e32 v1, v0, v1, vcc_lo
.LBB6_8058:                             ;   in Loop: Header=BB6_7730 Depth=3
	s_or_b32 exec_lo, exec_lo, s14
	s_delay_alu instid0(VALU_DEP_1) | instskip(SKIP_2) | instid1(VALU_DEP_2)
	v_dual_mul_f32 v8, v8, v1 :: v_dual_mov_b32 v13, v21
	v_mov_b32_e32 v1, v21
                                        ; implicit-def: $vgpr36
	s_mov_b32 s14, exec_lo
	v_and_b32_e32 v12, 0x7f800000, v8
	v_and_b32_e32 v0, 0x7fffff, v8
	v_lshrrev_b32_e32 v9, 24, v8
	s_delay_alu instid0(VALU_DEP_3)
	v_cmpx_ne_u64_e32 0x7f800000, v[12:13]
	s_xor_b32 s15, exec_lo, s14
	s_cbranch_execz .LBB6_8072
; %bb.8059:                             ;   in Loop: Header=BB6_7730 Depth=3
	v_and_b32_e32 v12, 0x7fffffff, v8
	v_mov_b32_e32 v13, v21
                                        ; implicit-def: $vgpr36
	s_delay_alu instid0(VALU_DEP_1) | instskip(SKIP_2) | instid1(SALU_CYCLE_1)
	v_cmp_gt_u64_e32 vcc_lo, 0x47600001, v[12:13]
	v_and_b32_e32 v12, 0x80, v9
	s_and_saveexec_b32 s14, vcc_lo
	s_xor_b32 s42, exec_lo, s14
	s_cbranch_execz .LBB6_8069
; %bb.8060:                             ;   in Loop: Header=BB6_7730 Depth=3
	v_mov_b32_e32 v36, 0
	s_mov_b32 s43, exec_lo
	v_cmpx_ne_u32_e32 0, v8
	s_cbranch_execz .LBB6_8068
; %bb.8061:                             ;   in Loop: Header=BB6_7730 Depth=3
	v_bfe_u32 v13, v8, 23, 8
	v_or_b32_e32 v15, 0x800000, v0
	s_delay_alu instid0(VALU_DEP_2) | instskip(SKIP_1) | instid1(VALU_DEP_2)
	v_sub_nc_u32_e32 v8, 0x71, v13
	v_cmp_gt_u32_e32 vcc_lo, 0x72, v13
	v_cndmask_b32_e32 v8, 0, v8, vcc_lo
	v_cmp_eq_u32_e32 vcc_lo, 0, v13
	s_delay_alu instid0(VALU_DEP_2) | instskip(NEXT) | instid1(VALU_DEP_1)
	v_cndmask_b32_e64 v14, v8, 0x70, vcc_lo
	v_dual_cndmask_b32 v0, v15, v0, vcc_lo :: v_dual_add_nc_u32 v8, 21, v14
	v_add_nc_u32_e32 v36, 20, v14
	s_delay_alu instid0(VALU_DEP_2) | instskip(NEXT) | instid1(VALU_DEP_2)
	v_lshlrev_b64_e64 v[8:9], v8, -1
	v_lshlrev_b64_e64 v[36:37], v36, 1
	s_delay_alu instid0(VALU_DEP_2) | instskip(SKIP_1) | instid1(VALU_DEP_4)
	v_bfi_b32 v8, v8, 0, v0
	v_lshrrev_b64 v[0:1], v14, v[0:1]
	v_bfi_b32 v9, v9, 0, 0
	s_delay_alu instid0(VALU_DEP_1) | instskip(NEXT) | instid1(VALU_DEP_3)
	v_cmp_eq_u64_e64 s14, v[8:9], v[36:37]
	v_mov_b64_e32 v[8:9], v[0:1]
	s_and_saveexec_b32 s75, s14
; %bb.8062:                             ;   in Loop: Header=BB6_7730 Depth=3
	v_bfe_u32 v8, v0, 21, 1
	v_mov_b32_e32 v9, v21
	s_delay_alu instid0(VALU_DEP_1) | instskip(NEXT) | instid1(VALU_DEP_1)
	v_add_nc_u64_e32 v[8:9], v[0:1], v[8:9]
	v_add_nc_u64_e32 v[8:9], -1, v[8:9]
; %bb.8063:                             ;   in Loop: Header=BB6_7730 Depth=3
	s_or_b32 exec_lo, exec_lo, s75
	v_add_nc_u32_e32 v1, 0xffffff81, v13
	v_lshrrev_b32_e32 v9, 23, v0
	s_mov_b32 s14, exec_lo
	s_delay_alu instid0(VALU_DEP_2) | instskip(NEXT) | instid1(VALU_DEP_1)
	v_cndmask_b32_e64 v1, v1, 0xffffff82, vcc_lo
	v_add3_u32 v9, v14, v1, v9
	v_and_b32_e32 v1, 0x1fffff, v8
                                        ; implicit-def: $vgpr8
	s_delay_alu instid0(VALU_DEP_1) | instskip(SKIP_1) | instid1(VALU_DEP_2)
	v_dual_add_nc_u32 v13, 14, v9 :: v_dual_add_nc_u32 v0, v1, v0
	v_mov_b32_e32 v1, v21
	v_cmpx_ne_u32_e32 0, v13
	s_xor_b32 s14, exec_lo, s14
; %bb.8064:                             ;   in Loop: Header=BB6_7730 Depth=3
	s_delay_alu instid0(VALU_DEP_2) | instskip(SKIP_2) | instid1(VALU_DEP_2)
	v_cmp_lt_u64_e32 vcc_lo, 0xffffff, v[0:1]
	v_add_nc_u32_e32 v8, 15, v9
	v_cndmask_b32_e64 v9, 0, 1, vcc_lo
	v_cndmask_b32_e32 v8, v13, v8, vcc_lo
	s_delay_alu instid0(VALU_DEP_2)
	v_lshrrev_b64 v[0:1], v9, v[0:1]
; %bb.8065:                             ;   in Loop: Header=BB6_7730 Depth=3
	s_and_not1_saveexec_b32 s14, s14
; %bb.8066:                             ;   in Loop: Header=BB6_7730 Depth=3
	s_delay_alu instid0(VALU_DEP_1)
	v_bfe_u32 v8, v0, 23, 1
; %bb.8067:                             ;   in Loop: Header=BB6_7730 Depth=3
	s_or_b32 exec_lo, exec_lo, s14
	s_delay_alu instid0(VALU_DEP_2) | instskip(NEXT) | instid1(VALU_DEP_2)
	v_lshrrev_b64 v[0:1], 21, v[0:1]
	v_cmp_gt_i32_e32 vcc_lo, 32, v8
	v_min_i32_e32 v9, 31, v8
	v_cmp_eq_u32_e64 s14, 0, v8
	s_delay_alu instid0(VALU_DEP_4) | instskip(NEXT) | instid1(VALU_DEP_3)
	v_cndmask_b32_e32 v1, 0, v1, vcc_lo
	v_dual_cndmask_b32 v0, 3, v0 :: v_dual_lshlrev_b32 v9, 2, v9
	s_delay_alu instid0(VALU_DEP_1) | instskip(NEXT) | instid1(VALU_DEP_2)
	v_and_b32_e32 v9, 0xfc, v9
	v_cmp_eq_u64_e32 vcc_lo, 0, v[0:1]
	s_delay_alu instid0(VALU_DEP_2)
	v_and_or_b32 v0, v0, 3, v9
	s_and_b32 s14, s14, vcc_lo
	s_delay_alu instid0(VALU_DEP_1) | instid1(SALU_CYCLE_1)
	v_cndmask_b32_e64 v0, v0, 0, s14
	s_delay_alu instid0(VALU_DEP_1)
	v_or_b32_e32 v36, v0, v12
.LBB6_8068:                             ;   in Loop: Header=BB6_7730 Depth=3
	s_or_b32 exec_lo, exec_lo, s43
                                        ; implicit-def: $vgpr12
.LBB6_8069:                             ;   in Loop: Header=BB6_7730 Depth=3
	s_and_not1_saveexec_b32 s14, s42
; %bb.8070:                             ;   in Loop: Header=BB6_7730 Depth=3
	v_or_b32_e32 v36, 0x7b, v12
; %bb.8071:                             ;   in Loop: Header=BB6_7730 Depth=3
	s_or_b32 exec_lo, exec_lo, s14
                                        ; implicit-def: $vgpr8
                                        ; implicit-def: $vgpr0_vgpr1
                                        ; implicit-def: $vgpr9
.LBB6_8072:                             ;   in Loop: Header=BB6_7730 Depth=3
	s_and_not1_saveexec_b32 s14, s15
	s_cbranch_execz .LBB6_8078
; %bb.8073:                             ;   in Loop: Header=BB6_7730 Depth=3
	s_mov_b32 s15, exec_lo
                                        ; implicit-def: $vgpr36
	v_cmpx_ne_u64_e32 0, v[0:1]
	s_xor_b32 s15, exec_lo, s15
; %bb.8074:                             ;   in Loop: Header=BB6_7730 Depth=3
	v_or_b32_e32 v36, 0x7f, v9
                                        ; implicit-def: $vgpr8
; %bb.8075:                             ;   in Loop: Header=BB6_7730 Depth=3
	s_and_not1_saveexec_b32 s15, s15
; %bb.8076:                             ;   in Loop: Header=BB6_7730 Depth=3
	v_cmp_lt_i32_e32 vcc_lo, -1, v8
	v_mov_b32_e32 v0, 0x7c
	s_delay_alu instid0(VALU_DEP_1)
	v_cndmask_b32_e32 v36, 0xfc, v0, vcc_lo
; %bb.8077:                             ;   in Loop: Header=BB6_7730 Depth=3
	s_or_b32 exec_lo, exec_lo, s15
.LBB6_8078:                             ;   in Loop: Header=BB6_7730 Depth=3
	s_delay_alu instid0(SALU_CYCLE_1) | instskip(SKIP_2) | instid1(VALU_DEP_1)
	s_or_b32 exec_lo, exec_lo, s14
	v_dual_mov_b32 v1, 0 :: v_dual_lshrrev_b32 v0, 16, v2
	s_mov_b32 s14, exec_lo
	v_and_b32_e32 v8, 0xff, v0
	s_delay_alu instid0(VALU_DEP_1)
	v_cmpx_ne_u16_e32 0, v8
	s_cbranch_execz .LBB6_8088
; %bb.8079:                             ;   in Loop: Header=BB6_7730 Depth=3
	v_bfrev_b32_e32 v1, 1
	s_mov_b32 s15, exec_lo
	v_cmpx_ne_u16_e32 0x80, v8
	s_cbranch_execz .LBB6_8087
; %bb.8080:                             ;   in Loop: Header=BB6_7730 Depth=3
	v_and_b32_e32 v1, 0x7c0000, v2
	v_bfe_u32 v8, v2, 16, 2
	s_delay_alu instid0(VALU_DEP_2) | instskip(SKIP_1) | instid1(SALU_CYCLE_1)
	v_cmp_ne_u32_e32 vcc_lo, 0x7c0000, v1
                                        ; implicit-def: $vgpr1
	s_and_saveexec_b32 s42, vcc_lo
	s_xor_b32 s42, exec_lo, s42
	s_cbranch_execz .LBB6_8084
; %bb.8081:                             ;   in Loop: Header=BB6_7730 Depth=3
	v_bfe_u32 v1, v2, 18, 5
	s_mov_b32 s43, exec_lo
	s_delay_alu instid0(VALU_DEP_1)
	v_cmpx_eq_u32_e32 0, v1
; %bb.8082:                             ;   in Loop: Header=BB6_7730 Depth=3
	v_clz_i32_u32_e32 v1, v8
	s_delay_alu instid0(VALU_DEP_1) | instskip(NEXT) | instid1(VALU_DEP_1)
	v_min_u32_e32 v1, 32, v1
	v_subrev_nc_u32_e32 v8, 29, v1
	s_delay_alu instid0(VALU_DEP_1) | instskip(NEXT) | instid1(VALU_DEP_1)
	v_lshlrev_b64_e32 v[8:9], v8, v[0:1]
	v_dual_sub_nc_u32 v1, 30, v1 :: v_dual_bitop2_b32 v8, 3, v8 bitop3:0x40
; %bb.8083:                             ;   in Loop: Header=BB6_7730 Depth=3
	s_or_b32 exec_lo, exec_lo, s43
	v_lshlrev_b32_e32 v0, 24, v0
	s_delay_alu instid0(VALU_DEP_1) | instskip(NEXT) | instid1(VALU_DEP_1)
	v_and_b32_e32 v0, 0x80000000, v0
	v_lshl_add_u32 v0, v1, 23, v0
	s_delay_alu instid0(VALU_DEP_1) | instskip(NEXT) | instid1(VALU_DEP_1)
	v_lshl_or_b32 v0, v8, 21, v0
                                        ; implicit-def: $vgpr8
	v_add_nc_u32_e32 v1, 0x38000000, v0
                                        ; implicit-def: $vgpr0
.LBB6_8084:                             ;   in Loop: Header=BB6_7730 Depth=3
	s_and_not1_saveexec_b32 s42, s42
; %bb.8085:                             ;   in Loop: Header=BB6_7730 Depth=3
	v_bfe_i32 v0, v0, 0, 8
	s_delay_alu instid0(VALU_DEP_1) | instskip(SKIP_1) | instid1(VALU_DEP_1)
	v_cmp_lt_i16_e32 vcc_lo, -1, v0
	v_mov_b32_e32 v0, 0x7f800000
	v_cndmask_b32_e32 v0, 0xff800000, v0, vcc_lo
	v_cmp_eq_u32_e32 vcc_lo, 0, v8
	s_delay_alu instid0(VALU_DEP_2)
	v_cndmask_b32_e32 v1, 0x7f800001, v0, vcc_lo
; %bb.8086:                             ;   in Loop: Header=BB6_7730 Depth=3
	s_or_b32 exec_lo, exec_lo, s42
.LBB6_8087:                             ;   in Loop: Header=BB6_7730 Depth=3
	s_delay_alu instid0(SALU_CYCLE_1)
	s_or_b32 exec_lo, exec_lo, s15
.LBB6_8088:                             ;   in Loop: Header=BB6_7730 Depth=3
	s_delay_alu instid0(SALU_CYCLE_1) | instskip(SKIP_3) | instid1(VALU_DEP_1)
	s_or_b32 exec_lo, exec_lo, s14
	v_lshrrev_b32_e32 v0, 16, v10
	s_mov_b32 s15, 0
	s_mov_b32 s14, exec_lo
	v_and_b32_e32 v9, 0xff, v0
	s_delay_alu instid0(VALU_DEP_1)
	v_cmpx_lt_i16_e32 0x7f, v9
	s_xor_b32 s14, exec_lo, s14
	s_cbranch_execz .LBB6_8301
; %bb.8089:                             ;   in Loop: Header=BB6_7730 Depth=3
	s_mov_b32 s15, -1
	s_mov_b32 s42, exec_lo
	v_cmpx_eq_u16_e32 0x80, v9
; %bb.8090:                             ;   in Loop: Header=BB6_7730 Depth=3
	s_xor_b32 s15, exec_lo, -1
; %bb.8091:                             ;   in Loop: Header=BB6_7730 Depth=3
	s_or_b32 exec_lo, exec_lo, s42
	s_delay_alu instid0(SALU_CYCLE_1)
	s_and_b32 s15, s15, exec_lo
                                        ; implicit-def: $vgpr9
	s_or_saveexec_b32 s14, s14
	v_bfrev_b32_e32 v8, 1
	s_xor_b32 exec_lo, exec_lo, s14
	s_cbranch_execnz .LBB6_8302
.LBB6_8092:                             ;   in Loop: Header=BB6_7730 Depth=3
	s_or_b32 exec_lo, exec_lo, s14
	s_and_saveexec_b32 s14, s15
	s_cbranch_execz .LBB6_8094
.LBB6_8093:                             ;   in Loop: Header=BB6_7730 Depth=3
	v_and_b32_e32 v12, 3, v0
	v_bfe_u32 v14, v10, 18, 5
	s_delay_alu instid0(VALU_DEP_2) | instskip(NEXT) | instid1(VALU_DEP_2)
	v_clz_i32_u32_e32 v8, v12
	v_cmp_eq_u32_e32 vcc_lo, 0, v14
	s_delay_alu instid0(VALU_DEP_2) | instskip(NEXT) | instid1(VALU_DEP_1)
	v_min_u32_e32 v13, 32, v8
	v_subrev_nc_u32_e32 v8, 29, v13
	s_delay_alu instid0(VALU_DEP_1) | instskip(SKIP_2) | instid1(VALU_DEP_2)
	v_lshlrev_b64_e32 v[8:9], v8, v[0:1]
	v_dual_lshlrev_b32 v9, 24, v0 :: v_dual_sub_nc_u32 v13, 30, v13
	v_bfe_i32 v0, v0, 0, 8
	v_and_b32_e32 v9, 0x80000000, v9
	s_delay_alu instid0(VALU_DEP_3) | instskip(NEXT) | instid1(VALU_DEP_1)
	v_dual_cndmask_b32 v13, v14, v13, vcc_lo :: v_dual_bitop2_b32 v8, 3, v8 bitop3:0x40
	v_cndmask_b32_e32 v8, v12, v8, vcc_lo
	s_delay_alu instid0(VALU_DEP_2) | instskip(SKIP_2) | instid1(VALU_DEP_3)
	v_lshl_add_u32 v9, v13, 23, v9
	v_cmp_lt_i16_e32 vcc_lo, -1, v0
	v_mov_b32_e32 v0, 0x7f800000
	v_lshl_or_b32 v8, v8, 21, v9
	v_and_b32_e32 v9, 0x7c0000, v10
	s_delay_alu instid0(VALU_DEP_3) | instskip(SKIP_1) | instid1(VALU_DEP_4)
	v_cndmask_b32_e32 v0, 0xff800000, v0, vcc_lo
	v_cmp_eq_u32_e32 vcc_lo, 0, v12
	v_add_nc_u32_e32 v8, 0x38000000, v8
	s_delay_alu instid0(VALU_DEP_3) | instskip(SKIP_1) | instid1(VALU_DEP_2)
	v_cndmask_b32_e32 v0, 0x7f800001, v0, vcc_lo
	v_cmp_eq_u32_e32 vcc_lo, 0x7c0000, v9
	v_cndmask_b32_e32 v8, v8, v0, vcc_lo
.LBB6_8094:                             ;   in Loop: Header=BB6_7730 Depth=3
	s_or_b32 exec_lo, exec_lo, s14
	s_delay_alu instid0(VALU_DEP_1) | instskip(SKIP_2) | instid1(VALU_DEP_2)
	v_mul_f32_e32 v8, v1, v8
	v_dual_mov_b32 v13, v21 :: v_dual_mov_b32 v1, v21
                                        ; implicit-def: $vgpr37
	s_mov_b32 s14, exec_lo
	v_and_b32_e32 v12, 0x7f800000, v8
	v_and_b32_e32 v0, 0x7fffff, v8
	v_lshrrev_b32_e32 v9, 24, v8
	s_delay_alu instid0(VALU_DEP_3)
	v_cmpx_ne_u64_e32 0x7f800000, v[12:13]
	s_xor_b32 s15, exec_lo, s14
	s_cbranch_execz .LBB6_8108
; %bb.8095:                             ;   in Loop: Header=BB6_7730 Depth=3
	v_and_b32_e32 v12, 0x7fffffff, v8
	v_mov_b32_e32 v13, v21
                                        ; implicit-def: $vgpr37
	s_delay_alu instid0(VALU_DEP_1) | instskip(SKIP_2) | instid1(SALU_CYCLE_1)
	v_cmp_gt_u64_e32 vcc_lo, 0x47600001, v[12:13]
	v_and_b32_e32 v12, 0x80, v9
	s_and_saveexec_b32 s14, vcc_lo
	s_xor_b32 s42, exec_lo, s14
	s_cbranch_execz .LBB6_8105
; %bb.8096:                             ;   in Loop: Header=BB6_7730 Depth=3
	v_mov_b32_e32 v37, 0
	s_mov_b32 s43, exec_lo
	v_cmpx_ne_u32_e32 0, v8
	s_cbranch_execz .LBB6_8104
; %bb.8097:                             ;   in Loop: Header=BB6_7730 Depth=3
	v_bfe_u32 v13, v8, 23, 8
	v_or_b32_e32 v15, 0x800000, v0
	s_delay_alu instid0(VALU_DEP_2) | instskip(SKIP_1) | instid1(VALU_DEP_2)
	v_sub_nc_u32_e32 v8, 0x71, v13
	v_cmp_gt_u32_e32 vcc_lo, 0x72, v13
	v_cndmask_b32_e32 v8, 0, v8, vcc_lo
	v_cmp_eq_u32_e32 vcc_lo, 0, v13
	s_delay_alu instid0(VALU_DEP_2) | instskip(NEXT) | instid1(VALU_DEP_1)
	v_cndmask_b32_e64 v14, v8, 0x70, vcc_lo
	v_dual_cndmask_b32 v0, v15, v0, vcc_lo :: v_dual_add_nc_u32 v8, 21, v14
	v_add_nc_u32_e32 v37, 20, v14
	s_delay_alu instid0(VALU_DEP_2) | instskip(NEXT) | instid1(VALU_DEP_2)
	v_lshlrev_b64_e64 v[8:9], v8, -1
	v_lshlrev_b64_e64 v[38:39], v37, 1
	s_delay_alu instid0(VALU_DEP_2) | instskip(SKIP_1) | instid1(VALU_DEP_4)
	v_bfi_b32 v8, v8, 0, v0
	v_lshrrev_b64 v[0:1], v14, v[0:1]
	v_bfi_b32 v9, v9, 0, 0
	s_delay_alu instid0(VALU_DEP_1) | instskip(NEXT) | instid1(VALU_DEP_3)
	v_cmp_eq_u64_e64 s14, v[8:9], v[38:39]
	v_mov_b64_e32 v[8:9], v[0:1]
	s_and_saveexec_b32 s75, s14
; %bb.8098:                             ;   in Loop: Header=BB6_7730 Depth=3
	v_bfe_u32 v8, v0, 21, 1
	v_mov_b32_e32 v9, v21
	s_delay_alu instid0(VALU_DEP_1) | instskip(NEXT) | instid1(VALU_DEP_1)
	v_add_nc_u64_e32 v[8:9], v[0:1], v[8:9]
	v_add_nc_u64_e32 v[8:9], -1, v[8:9]
; %bb.8099:                             ;   in Loop: Header=BB6_7730 Depth=3
	s_or_b32 exec_lo, exec_lo, s75
	v_add_nc_u32_e32 v1, 0xffffff81, v13
	v_lshrrev_b32_e32 v9, 23, v0
	s_mov_b32 s14, exec_lo
	s_delay_alu instid0(VALU_DEP_2) | instskip(NEXT) | instid1(VALU_DEP_1)
	v_cndmask_b32_e64 v1, v1, 0xffffff82, vcc_lo
	v_add3_u32 v9, v14, v1, v9
	v_and_b32_e32 v1, 0x1fffff, v8
                                        ; implicit-def: $vgpr8
	s_delay_alu instid0(VALU_DEP_1) | instskip(SKIP_1) | instid1(VALU_DEP_2)
	v_dual_add_nc_u32 v13, 14, v9 :: v_dual_add_nc_u32 v0, v1, v0
	v_mov_b32_e32 v1, v21
	v_cmpx_ne_u32_e32 0, v13
	s_xor_b32 s14, exec_lo, s14
; %bb.8100:                             ;   in Loop: Header=BB6_7730 Depth=3
	s_delay_alu instid0(VALU_DEP_2) | instskip(SKIP_2) | instid1(VALU_DEP_2)
	v_cmp_lt_u64_e32 vcc_lo, 0xffffff, v[0:1]
	v_add_nc_u32_e32 v8, 15, v9
	v_cndmask_b32_e64 v9, 0, 1, vcc_lo
	v_cndmask_b32_e32 v8, v13, v8, vcc_lo
	s_delay_alu instid0(VALU_DEP_2)
	v_lshrrev_b64 v[0:1], v9, v[0:1]
; %bb.8101:                             ;   in Loop: Header=BB6_7730 Depth=3
	s_and_not1_saveexec_b32 s14, s14
; %bb.8102:                             ;   in Loop: Header=BB6_7730 Depth=3
	s_delay_alu instid0(VALU_DEP_1)
	v_bfe_u32 v8, v0, 23, 1
; %bb.8103:                             ;   in Loop: Header=BB6_7730 Depth=3
	s_or_b32 exec_lo, exec_lo, s14
	s_delay_alu instid0(VALU_DEP_2) | instskip(NEXT) | instid1(VALU_DEP_2)
	v_lshrrev_b64 v[0:1], 21, v[0:1]
	v_cmp_gt_i32_e32 vcc_lo, 32, v8
	v_min_i32_e32 v9, 31, v8
	v_cmp_eq_u32_e64 s14, 0, v8
	s_delay_alu instid0(VALU_DEP_4) | instskip(NEXT) | instid1(VALU_DEP_3)
	v_cndmask_b32_e32 v1, 0, v1, vcc_lo
	v_dual_cndmask_b32 v0, 3, v0 :: v_dual_lshlrev_b32 v9, 2, v9
	s_delay_alu instid0(VALU_DEP_1) | instskip(NEXT) | instid1(VALU_DEP_2)
	v_and_b32_e32 v9, 0xfc, v9
	v_cmp_eq_u64_e32 vcc_lo, 0, v[0:1]
	s_delay_alu instid0(VALU_DEP_2)
	v_and_or_b32 v0, v0, 3, v9
	s_and_b32 s14, s14, vcc_lo
	s_delay_alu instid0(VALU_DEP_1) | instid1(SALU_CYCLE_1)
	v_cndmask_b32_e64 v0, v0, 0, s14
	s_delay_alu instid0(VALU_DEP_1)
	v_or_b32_e32 v37, v0, v12
.LBB6_8104:                             ;   in Loop: Header=BB6_7730 Depth=3
	s_or_b32 exec_lo, exec_lo, s43
                                        ; implicit-def: $vgpr12
.LBB6_8105:                             ;   in Loop: Header=BB6_7730 Depth=3
	s_and_not1_saveexec_b32 s14, s42
; %bb.8106:                             ;   in Loop: Header=BB6_7730 Depth=3
	v_or_b32_e32 v37, 0x7b, v12
; %bb.8107:                             ;   in Loop: Header=BB6_7730 Depth=3
	s_or_b32 exec_lo, exec_lo, s14
                                        ; implicit-def: $vgpr8
                                        ; implicit-def: $vgpr0_vgpr1
                                        ; implicit-def: $vgpr9
.LBB6_8108:                             ;   in Loop: Header=BB6_7730 Depth=3
	s_and_not1_saveexec_b32 s14, s15
	s_cbranch_execz .LBB6_8114
; %bb.8109:                             ;   in Loop: Header=BB6_7730 Depth=3
	s_mov_b32 s15, exec_lo
                                        ; implicit-def: $vgpr37
	v_cmpx_ne_u64_e32 0, v[0:1]
	s_xor_b32 s15, exec_lo, s15
; %bb.8110:                             ;   in Loop: Header=BB6_7730 Depth=3
	v_or_b32_e32 v37, 0x7f, v9
                                        ; implicit-def: $vgpr8
; %bb.8111:                             ;   in Loop: Header=BB6_7730 Depth=3
	s_and_not1_saveexec_b32 s15, s15
; %bb.8112:                             ;   in Loop: Header=BB6_7730 Depth=3
	v_cmp_lt_i32_e32 vcc_lo, -1, v8
	v_mov_b32_e32 v0, 0x7c
	s_delay_alu instid0(VALU_DEP_1)
	v_cndmask_b32_e32 v37, 0xfc, v0, vcc_lo
; %bb.8113:                             ;   in Loop: Header=BB6_7730 Depth=3
	s_or_b32 exec_lo, exec_lo, s15
.LBB6_8114:                             ;   in Loop: Header=BB6_7730 Depth=3
	s_delay_alu instid0(SALU_CYCLE_1)
	s_or_b32 exec_lo, exec_lo, s14
	v_mov_b32_e32 v1, 0
	s_mov_b32 s14, exec_lo
	v_cmpx_lt_u32_e32 0xffffff, v2
	s_cbranch_execz .LBB6_8124
; %bb.8115:                             ;   in Loop: Header=BB6_7730 Depth=3
	v_lshrrev_b32_e32 v0, 24, v2
	v_bfrev_b32_e32 v1, 1
	s_mov_b32 s15, exec_lo
	s_delay_alu instid0(VALU_DEP_2)
	v_cmpx_ne_u32_e32 0x80, v0
	s_cbranch_execz .LBB6_8123
; %bb.8116:                             ;   in Loop: Header=BB6_7730 Depth=3
	v_and_b32_e32 v1, 0x7c000000, v2
	v_bfe_u32 v8, v2, 24, 2
	s_delay_alu instid0(VALU_DEP_2) | instskip(SKIP_1) | instid1(SALU_CYCLE_1)
	v_cmp_ne_u32_e32 vcc_lo, 0x7c000000, v1
                                        ; implicit-def: $vgpr1
	s_and_saveexec_b32 s42, vcc_lo
	s_xor_b32 s42, exec_lo, s42
	s_cbranch_execz .LBB6_8120
; %bb.8117:                             ;   in Loop: Header=BB6_7730 Depth=3
	v_bfe_u32 v1, v2, 26, 5
	s_mov_b32 s43, exec_lo
	s_delay_alu instid0(VALU_DEP_1)
	v_cmpx_eq_u32_e32 0, v1
; %bb.8118:                             ;   in Loop: Header=BB6_7730 Depth=3
	v_clz_i32_u32_e32 v1, v8
	s_delay_alu instid0(VALU_DEP_1) | instskip(NEXT) | instid1(VALU_DEP_1)
	v_min_u32_e32 v8, 32, v1
	v_subrev_nc_u32_e32 v1, 29, v8
	s_delay_alu instid0(VALU_DEP_1) | instskip(SKIP_1) | instid1(VALU_DEP_2)
	v_lshlrev_b64_e32 v[0:1], v1, v[0:1]
	v_sub_nc_u32_e32 v1, 30, v8
	v_and_b32_e32 v8, 3, v0
; %bb.8119:                             ;   in Loop: Header=BB6_7730 Depth=3
	s_or_b32 exec_lo, exec_lo, s43
	v_and_b32_e32 v0, 0x80000000, v2
	s_delay_alu instid0(VALU_DEP_1) | instskip(NEXT) | instid1(VALU_DEP_1)
	v_lshl_add_u32 v0, v1, 23, v0
	v_lshl_or_b32 v0, v8, 21, v0
                                        ; implicit-def: $vgpr8
	s_delay_alu instid0(VALU_DEP_1)
	v_add_nc_u32_e32 v1, 0x38000000, v0
.LBB6_8120:                             ;   in Loop: Header=BB6_7730 Depth=3
	s_and_not1_saveexec_b32 s42, s42
; %bb.8121:                             ;   in Loop: Header=BB6_7730 Depth=3
	v_cmp_lt_i32_e32 vcc_lo, -1, v2
	v_mov_b32_e32 v0, 0x7f800000
	s_delay_alu instid0(VALU_DEP_1) | instskip(SKIP_1) | instid1(VALU_DEP_2)
	v_cndmask_b32_e32 v0, 0xff800000, v0, vcc_lo
	v_cmp_eq_u32_e32 vcc_lo, 0, v8
	v_cndmask_b32_e32 v1, 0x7f800001, v0, vcc_lo
; %bb.8122:                             ;   in Loop: Header=BB6_7730 Depth=3
	s_or_b32 exec_lo, exec_lo, s42
.LBB6_8123:                             ;   in Loop: Header=BB6_7730 Depth=3
	s_delay_alu instid0(SALU_CYCLE_1)
	s_or_b32 exec_lo, exec_lo, s15
.LBB6_8124:                             ;   in Loop: Header=BB6_7730 Depth=3
	s_delay_alu instid0(SALU_CYCLE_1) | instskip(SKIP_3) | instid1(VALU_DEP_2)
	s_or_b32 exec_lo, exec_lo, s14
	v_bfe_u32 v12, v10, 24, 2
	v_bfe_u32 v14, v10, 26, 5
                                        ; implicit-def: $vgpr38
	s_mov_b32 s14, exec_lo
	v_clz_i32_u32_e32 v0, v12
	s_delay_alu instid0(VALU_DEP_2) | instskip(NEXT) | instid1(VALU_DEP_2)
	v_cmp_eq_u32_e32 vcc_lo, 0, v14
	v_min_u32_e32 v13, 32, v0
	v_lshrrev_b32_e32 v0, 24, v10
	s_delay_alu instid0(VALU_DEP_2) | instskip(NEXT) | instid1(VALU_DEP_1)
	v_subrev_nc_u32_e32 v8, 29, v13
	v_lshlrev_b64_e32 v[8:9], v8, v[0:1]
	v_sub_nc_u32_e32 v9, 30, v13
	v_and_b32_e32 v13, 0x80000000, v10
	s_delay_alu instid0(VALU_DEP_2) | instskip(NEXT) | instid1(VALU_DEP_1)
	v_dual_cndmask_b32 v9, v14, v9, vcc_lo :: v_dual_bitop2_b32 v8, 3, v8 bitop3:0x40
	v_lshl_add_u32 v9, v9, 23, v13
	s_delay_alu instid0(VALU_DEP_2) | instskip(SKIP_1) | instid1(VALU_DEP_2)
	v_dual_cndmask_b32 v8, v12, v8 :: v_dual_mov_b32 v13, 0x7f800000
	v_cmp_lt_i32_e32 vcc_lo, -1, v10
	v_lshl_or_b32 v8, v8, 21, v9
	v_and_b32_e32 v9, 0x7c000000, v10
	s_delay_alu instid0(VALU_DEP_4) | instskip(SKIP_1) | instid1(VALU_DEP_4)
	v_cndmask_b32_e32 v13, 0xff800000, v13, vcc_lo
	v_cmp_eq_u32_e32 vcc_lo, 0, v12
	v_add_nc_u32_e32 v8, 0x38000000, v8
	s_delay_alu instid0(VALU_DEP_3) | instskip(SKIP_1) | instid1(VALU_DEP_2)
	v_dual_cndmask_b32 v12, 0x7f800001, v13 :: v_dual_mov_b32 v13, v21
	v_cmp_eq_u32_e32 vcc_lo, 0x7c000000, v9
	v_cndmask_b32_e32 v8, v8, v12, vcc_lo
	v_cmp_ne_u32_e32 vcc_lo, 0x80, v0
	s_delay_alu instid0(VALU_DEP_2) | instskip(SKIP_1) | instid1(VALU_DEP_2)
	v_cndmask_b32_e32 v0, 0x80000000, v8, vcc_lo
	v_cmp_lt_u32_e32 vcc_lo, 0xffffff, v10
	v_cndmask_b32_e32 v0, 0, v0, vcc_lo
	s_delay_alu instid0(VALU_DEP_1) | instskip(NEXT) | instid1(VALU_DEP_1)
	v_dual_mul_f32 v8, v0, v1 :: v_dual_mov_b32 v1, v21
	v_and_b32_e32 v12, 0x7f800000, v8
	v_and_b32_e32 v0, 0x7fffff, v8
	v_lshrrev_b32_e32 v9, 24, v8
	s_delay_alu instid0(VALU_DEP_3)
	v_cmpx_ne_u64_e32 0x7f800000, v[12:13]
	s_xor_b32 s15, exec_lo, s14
	s_cbranch_execz .LBB6_8138
; %bb.8125:                             ;   in Loop: Header=BB6_7730 Depth=3
	v_and_b32_e32 v12, 0x7fffffff, v8
	v_mov_b32_e32 v13, v21
                                        ; implicit-def: $vgpr38
	s_delay_alu instid0(VALU_DEP_1) | instskip(SKIP_2) | instid1(SALU_CYCLE_1)
	v_cmp_gt_u64_e32 vcc_lo, 0x47600001, v[12:13]
	v_and_b32_e32 v12, 0x80, v9
	s_and_saveexec_b32 s14, vcc_lo
	s_xor_b32 s42, exec_lo, s14
	s_cbranch_execz .LBB6_8135
; %bb.8126:                             ;   in Loop: Header=BB6_7730 Depth=3
	v_mov_b32_e32 v38, 0
	s_mov_b32 s43, exec_lo
	v_cmpx_ne_u32_e32 0, v8
	s_cbranch_execz .LBB6_8134
; %bb.8127:                             ;   in Loop: Header=BB6_7730 Depth=3
	v_bfe_u32 v13, v8, 23, 8
	v_or_b32_e32 v15, 0x800000, v0
	s_delay_alu instid0(VALU_DEP_2) | instskip(SKIP_1) | instid1(VALU_DEP_2)
	v_sub_nc_u32_e32 v8, 0x71, v13
	v_cmp_gt_u32_e32 vcc_lo, 0x72, v13
	v_cndmask_b32_e32 v8, 0, v8, vcc_lo
	v_cmp_eq_u32_e32 vcc_lo, 0, v13
	s_delay_alu instid0(VALU_DEP_2) | instskip(NEXT) | instid1(VALU_DEP_1)
	v_cndmask_b32_e64 v14, v8, 0x70, vcc_lo
	v_dual_cndmask_b32 v0, v15, v0, vcc_lo :: v_dual_add_nc_u32 v8, 21, v14
	v_add_nc_u32_e32 v38, 20, v14
	s_delay_alu instid0(VALU_DEP_2) | instskip(NEXT) | instid1(VALU_DEP_2)
	v_lshlrev_b64_e64 v[8:9], v8, -1
	v_lshlrev_b64_e64 v[38:39], v38, 1
	s_delay_alu instid0(VALU_DEP_2) | instskip(SKIP_1) | instid1(VALU_DEP_4)
	v_bfi_b32 v8, v8, 0, v0
	v_lshrrev_b64 v[0:1], v14, v[0:1]
	v_bfi_b32 v9, v9, 0, 0
	s_delay_alu instid0(VALU_DEP_1) | instskip(NEXT) | instid1(VALU_DEP_3)
	v_cmp_eq_u64_e64 s14, v[8:9], v[38:39]
	v_mov_b64_e32 v[8:9], v[0:1]
	s_and_saveexec_b32 s75, s14
; %bb.8128:                             ;   in Loop: Header=BB6_7730 Depth=3
	v_bfe_u32 v8, v0, 21, 1
	v_mov_b32_e32 v9, v21
	s_delay_alu instid0(VALU_DEP_1) | instskip(NEXT) | instid1(VALU_DEP_1)
	v_add_nc_u64_e32 v[8:9], v[0:1], v[8:9]
	v_add_nc_u64_e32 v[8:9], -1, v[8:9]
; %bb.8129:                             ;   in Loop: Header=BB6_7730 Depth=3
	s_or_b32 exec_lo, exec_lo, s75
	v_add_nc_u32_e32 v1, 0xffffff81, v13
	v_lshrrev_b32_e32 v9, 23, v0
	s_mov_b32 s14, exec_lo
	s_delay_alu instid0(VALU_DEP_2) | instskip(NEXT) | instid1(VALU_DEP_1)
	v_cndmask_b32_e64 v1, v1, 0xffffff82, vcc_lo
	v_add3_u32 v9, v14, v1, v9
	v_and_b32_e32 v1, 0x1fffff, v8
                                        ; implicit-def: $vgpr8
	s_delay_alu instid0(VALU_DEP_1) | instskip(SKIP_1) | instid1(VALU_DEP_2)
	v_dual_add_nc_u32 v13, 14, v9 :: v_dual_add_nc_u32 v0, v1, v0
	v_mov_b32_e32 v1, v21
	v_cmpx_ne_u32_e32 0, v13
	s_xor_b32 s14, exec_lo, s14
; %bb.8130:                             ;   in Loop: Header=BB6_7730 Depth=3
	s_delay_alu instid0(VALU_DEP_2) | instskip(SKIP_2) | instid1(VALU_DEP_2)
	v_cmp_lt_u64_e32 vcc_lo, 0xffffff, v[0:1]
	v_add_nc_u32_e32 v8, 15, v9
	v_cndmask_b32_e64 v9, 0, 1, vcc_lo
	v_cndmask_b32_e32 v8, v13, v8, vcc_lo
	s_delay_alu instid0(VALU_DEP_2)
	v_lshrrev_b64 v[0:1], v9, v[0:1]
; %bb.8131:                             ;   in Loop: Header=BB6_7730 Depth=3
	s_and_not1_saveexec_b32 s14, s14
; %bb.8132:                             ;   in Loop: Header=BB6_7730 Depth=3
	s_delay_alu instid0(VALU_DEP_1)
	v_bfe_u32 v8, v0, 23, 1
; %bb.8133:                             ;   in Loop: Header=BB6_7730 Depth=3
	s_or_b32 exec_lo, exec_lo, s14
	s_delay_alu instid0(VALU_DEP_2) | instskip(NEXT) | instid1(VALU_DEP_2)
	v_lshrrev_b64 v[0:1], 21, v[0:1]
	v_cmp_gt_i32_e32 vcc_lo, 32, v8
	v_min_i32_e32 v9, 31, v8
	v_cmp_eq_u32_e64 s14, 0, v8
	s_delay_alu instid0(VALU_DEP_4) | instskip(NEXT) | instid1(VALU_DEP_3)
	v_cndmask_b32_e32 v1, 0, v1, vcc_lo
	v_dual_cndmask_b32 v0, 3, v0 :: v_dual_lshlrev_b32 v9, 2, v9
	s_delay_alu instid0(VALU_DEP_1) | instskip(NEXT) | instid1(VALU_DEP_2)
	v_and_b32_e32 v9, 0xfc, v9
	v_cmp_eq_u64_e32 vcc_lo, 0, v[0:1]
	s_delay_alu instid0(VALU_DEP_2)
	v_and_or_b32 v0, v0, 3, v9
	s_and_b32 s14, s14, vcc_lo
	s_delay_alu instid0(VALU_DEP_1) | instid1(SALU_CYCLE_1)
	v_cndmask_b32_e64 v0, v0, 0, s14
	s_delay_alu instid0(VALU_DEP_1)
	v_or_b32_e32 v38, v0, v12
.LBB6_8134:                             ;   in Loop: Header=BB6_7730 Depth=3
	s_or_b32 exec_lo, exec_lo, s43
                                        ; implicit-def: $vgpr12
.LBB6_8135:                             ;   in Loop: Header=BB6_7730 Depth=3
	s_and_not1_saveexec_b32 s14, s42
; %bb.8136:                             ;   in Loop: Header=BB6_7730 Depth=3
	v_or_b32_e32 v38, 0x7b, v12
; %bb.8137:                             ;   in Loop: Header=BB6_7730 Depth=3
	s_or_b32 exec_lo, exec_lo, s14
                                        ; implicit-def: $vgpr8
                                        ; implicit-def: $vgpr0_vgpr1
                                        ; implicit-def: $vgpr9
.LBB6_8138:                             ;   in Loop: Header=BB6_7730 Depth=3
	s_and_not1_saveexec_b32 s14, s15
	s_cbranch_execz .LBB6_8144
; %bb.8139:                             ;   in Loop: Header=BB6_7730 Depth=3
	s_mov_b32 s15, exec_lo
                                        ; implicit-def: $vgpr38
	v_cmpx_ne_u64_e32 0, v[0:1]
	s_xor_b32 s15, exec_lo, s15
; %bb.8140:                             ;   in Loop: Header=BB6_7730 Depth=3
	v_or_b32_e32 v38, 0x7f, v9
                                        ; implicit-def: $vgpr8
; %bb.8141:                             ;   in Loop: Header=BB6_7730 Depth=3
	s_and_not1_saveexec_b32 s15, s15
; %bb.8142:                             ;   in Loop: Header=BB6_7730 Depth=3
	v_cmp_lt_i32_e32 vcc_lo, -1, v8
	v_mov_b32_e32 v0, 0x7c
	s_delay_alu instid0(VALU_DEP_1)
	v_cndmask_b32_e32 v38, 0xfc, v0, vcc_lo
; %bb.8143:                             ;   in Loop: Header=BB6_7730 Depth=3
	s_or_b32 exec_lo, exec_lo, s15
.LBB6_8144:                             ;   in Loop: Header=BB6_7730 Depth=3
	s_delay_alu instid0(SALU_CYCLE_1) | instskip(SKIP_4) | instid1(VALU_DEP_3)
	s_or_b32 exec_lo, exec_lo, s14
	v_and_b32_e32 v0, 0xff, v3
	v_dual_mov_b32 v8, v3 :: v_dual_mov_b32 v9, v21
	v_mov_b32_e32 v12, 0
	s_mov_b32 s14, exec_lo
	v_cmpx_ne_u16_e32 0, v0
	s_cbranch_execz .LBB6_8154
; %bb.8145:                             ;   in Loop: Header=BB6_7730 Depth=3
	v_bfrev_b32_e32 v12, 1
	s_mov_b32 s15, exec_lo
	v_cmpx_ne_u16_e32 0x80, v0
	s_cbranch_execz .LBB6_8153
; %bb.8146:                             ;   in Loop: Header=BB6_7730 Depth=3
	v_and_b32_e32 v1, 0x7c, v3
	v_and_b32_e32 v0, 3, v3
	s_mov_b32 s42, exec_lo
                                        ; implicit-def: $vgpr12
	s_delay_alu instid0(VALU_DEP_2)
	v_cmpx_ne_u32_e32 0x7c, v1
	s_xor_b32 s42, exec_lo, s42
	s_cbranch_execz .LBB6_8150
; %bb.8147:                             ;   in Loop: Header=BB6_7730 Depth=3
	v_bfe_u32 v1, v3, 2, 5
	s_mov_b32 s43, exec_lo
	s_delay_alu instid0(VALU_DEP_1)
	v_cmpx_eq_u32_e32 0, v1
; %bb.8148:                             ;   in Loop: Header=BB6_7730 Depth=3
	v_clz_i32_u32_e32 v0, v0
	s_delay_alu instid0(VALU_DEP_1) | instskip(NEXT) | instid1(VALU_DEP_1)
	v_min_u32_e32 v12, 32, v0
	v_subrev_nc_u32_e32 v0, 29, v12
	s_delay_alu instid0(VALU_DEP_1) | instskip(SKIP_1) | instid1(VALU_DEP_2)
	v_lshlrev_b64_e32 v[0:1], v0, v[8:9]
	v_sub_nc_u32_e32 v1, 30, v12
	v_and_b32_e32 v0, 3, v0
; %bb.8149:                             ;   in Loop: Header=BB6_7730 Depth=3
	s_or_b32 exec_lo, exec_lo, s43
	v_lshlrev_b32_e32 v9, 24, v3
	s_delay_alu instid0(VALU_DEP_1) | instskip(NEXT) | instid1(VALU_DEP_1)
	v_and_b32_e32 v9, 0x80000000, v9
	v_lshl_add_u32 v1, v1, 23, v9
	s_delay_alu instid0(VALU_DEP_1) | instskip(NEXT) | instid1(VALU_DEP_1)
	v_lshl_or_b32 v0, v0, 21, v1
	v_add_nc_u32_e32 v12, 0x38000000, v0
                                        ; implicit-def: $vgpr0
.LBB6_8150:                             ;   in Loop: Header=BB6_7730 Depth=3
	s_and_not1_saveexec_b32 s42, s42
; %bb.8151:                             ;   in Loop: Header=BB6_7730 Depth=3
	v_bfe_i32 v1, v3, 0, 8
	s_delay_alu instid0(VALU_DEP_1) | instskip(SKIP_1) | instid1(VALU_DEP_1)
	v_cmp_lt_i16_e32 vcc_lo, -1, v1
	v_mov_b32_e32 v1, 0x7f800000
	v_cndmask_b32_e32 v1, 0xff800000, v1, vcc_lo
	v_cmp_eq_u32_e32 vcc_lo, 0, v0
	s_delay_alu instid0(VALU_DEP_2)
	v_cndmask_b32_e32 v12, 0x7f800001, v1, vcc_lo
; %bb.8152:                             ;   in Loop: Header=BB6_7730 Depth=3
	s_or_b32 exec_lo, exec_lo, s42
.LBB6_8153:                             ;   in Loop: Header=BB6_7730 Depth=3
	s_delay_alu instid0(SALU_CYCLE_1)
	s_or_b32 exec_lo, exec_lo, s15
.LBB6_8154:                             ;   in Loop: Header=BB6_7730 Depth=3
	s_delay_alu instid0(SALU_CYCLE_1) | instskip(SKIP_4) | instid1(VALU_DEP_2)
	s_or_b32 exec_lo, exec_lo, s14
	v_and_b32_e32 v1, 0xff, v11
	v_mov_b32_e32 v0, v11
	s_mov_b32 s15, 0
	s_mov_b32 s14, exec_lo
	v_cmpx_lt_i16_e32 0x7f, v1
	s_xor_b32 s14, exec_lo, s14
	s_cbranch_execz .LBB6_8303
; %bb.8155:                             ;   in Loop: Header=BB6_7730 Depth=3
	s_mov_b32 s15, -1
	s_mov_b32 s42, exec_lo
	v_cmpx_eq_u16_e32 0x80, v1
; %bb.8156:                             ;   in Loop: Header=BB6_7730 Depth=3
	s_xor_b32 s15, exec_lo, -1
; %bb.8157:                             ;   in Loop: Header=BB6_7730 Depth=3
	s_or_b32 exec_lo, exec_lo, s42
	s_delay_alu instid0(SALU_CYCLE_1)
	s_and_b32 s15, s15, exec_lo
                                        ; implicit-def: $vgpr1
	s_or_saveexec_b32 s14, s14
	v_bfrev_b32_e32 v9, 1
	s_xor_b32 exec_lo, exec_lo, s14
	s_cbranch_execnz .LBB6_8304
.LBB6_8158:                             ;   in Loop: Header=BB6_7730 Depth=3
	s_or_b32 exec_lo, exec_lo, s14
	v_mov_b32_e32 v1, v21
	s_and_saveexec_b32 s14, s15
	s_cbranch_execz .LBB6_8160
.LBB6_8159:                             ;   in Loop: Header=BB6_7730 Depth=3
	v_and_b32_e32 v9, 3, v11
	s_delay_alu instid0(VALU_DEP_1) | instskip(NEXT) | instid1(VALU_DEP_1)
	v_clz_i32_u32_e32 v13, v9
	v_min_u32_e32 v13, 32, v13
	s_delay_alu instid0(VALU_DEP_1) | instskip(NEXT) | instid1(VALU_DEP_1)
	v_subrev_nc_u32_e32 v14, 29, v13
	v_lshlrev_b64_e32 v[14:15], v14, v[0:1]
	v_bfe_u32 v15, v11, 2, 5
	v_dual_lshlrev_b32 v1, 24, v11 :: v_dual_sub_nc_u32 v13, 30, v13
	s_delay_alu instid0(VALU_DEP_2) | instskip(NEXT) | instid1(VALU_DEP_2)
	v_cmp_eq_u32_e32 vcc_lo, 0, v15
	v_and_b32_e32 v1, 0x80000000, v1
	s_delay_alu instid0(VALU_DEP_3) | instskip(SKIP_1) | instid1(VALU_DEP_2)
	v_dual_cndmask_b32 v13, v15, v13, vcc_lo :: v_dual_bitop2_b32 v14, 3, v14 bitop3:0x40
	v_bfe_i32 v15, v11, 0, 8
	v_cndmask_b32_e32 v14, v9, v14, vcc_lo
	s_delay_alu instid0(VALU_DEP_3) | instskip(NEXT) | instid1(VALU_DEP_3)
	v_lshl_add_u32 v1, v13, 23, v1
	v_cmp_lt_i16_e32 vcc_lo, -1, v15
	v_mov_b32_e32 v13, 0x7f800000
	s_delay_alu instid0(VALU_DEP_3) | instskip(SKIP_1) | instid1(VALU_DEP_3)
	v_lshl_or_b32 v1, v14, 21, v1
	v_and_b32_e32 v14, 0x7c, v11
	v_cndmask_b32_e32 v13, 0xff800000, v13, vcc_lo
	v_cmp_eq_u32_e32 vcc_lo, 0, v9
	s_delay_alu instid0(VALU_DEP_4) | instskip(NEXT) | instid1(VALU_DEP_3)
	v_add_nc_u32_e32 v1, 0x38000000, v1
	v_cndmask_b32_e32 v9, 0x7f800001, v13, vcc_lo
	v_cmp_eq_u32_e32 vcc_lo, 0x7c, v14
	s_delay_alu instid0(VALU_DEP_2)
	v_cndmask_b32_e32 v9, v1, v9, vcc_lo
.LBB6_8160:                             ;   in Loop: Header=BB6_7730 Depth=3
	s_or_b32 exec_lo, exec_lo, s14
	s_delay_alu instid0(VALU_DEP_1) | instskip(NEXT) | instid1(VALU_DEP_1)
	v_dual_mul_f32 v9, v12, v9 :: v_dual_mov_b32 v15, v21
	v_dual_mov_b32 v13, v21 :: v_dual_lshrrev_b32 v1, 24, v9
	v_and_b32_e32 v14, 0x7f800000, v9
	v_and_b32_e32 v12, 0x7fffff, v9
	s_delay_alu instid0(VALU_DEP_2) | instskip(SKIP_1) | instid1(SALU_CYCLE_1)
	v_cmp_ne_u64_e32 vcc_lo, 0x7f800000, v[14:15]
                                        ; implicit-def: $vgpr14
	s_and_saveexec_b32 s14, vcc_lo
	s_xor_b32 s15, exec_lo, s14
	s_cbranch_execz .LBB6_8174
; %bb.8161:                             ;   in Loop: Header=BB6_7730 Depth=3
	v_and_b32_e32 v14, 0x7fffffff, v9
	v_mov_b32_e32 v15, v21
	v_and_b32_e32 v1, 0x80, v1
	s_delay_alu instid0(VALU_DEP_2) | instskip(SKIP_1) | instid1(SALU_CYCLE_1)
	v_cmp_gt_u64_e32 vcc_lo, 0x47600001, v[14:15]
                                        ; implicit-def: $vgpr14
	s_and_saveexec_b32 s14, vcc_lo
	s_xor_b32 s42, exec_lo, s14
	s_cbranch_execz .LBB6_8171
; %bb.8162:                             ;   in Loop: Header=BB6_7730 Depth=3
	v_mov_b32_e32 v14, 0
	s_mov_b32 s43, exec_lo
	v_cmpx_ne_u32_e32 0, v9
	s_cbranch_execz .LBB6_8170
; %bb.8163:                             ;   in Loop: Header=BB6_7730 Depth=3
	v_bfe_u32 v9, v9, 23, 8
	v_or_b32_e32 v15, 0x800000, v12
	s_delay_alu instid0(VALU_DEP_2) | instskip(SKIP_2) | instid1(VALU_DEP_2)
	v_cmp_gt_u32_e64 s14, 0x72, v9
	v_sub_nc_u32_e32 v14, 0x71, v9
	v_cmp_eq_u32_e32 vcc_lo, 0, v9
	v_dual_cndmask_b32 v14, 0, v14, s14 :: v_dual_cndmask_b32 v12, v15, v12, vcc_lo
	s_delay_alu instid0(VALU_DEP_1) | instskip(NEXT) | instid1(VALU_DEP_1)
	v_cndmask_b32_e64 v39, v14, 0x70, vcc_lo
	v_dual_add_nc_u32 v14, 21, v39 :: v_dual_add_nc_u32 v48, 20, v39
	s_delay_alu instid0(VALU_DEP_1) | instskip(NEXT) | instid1(VALU_DEP_2)
	v_lshlrev_b64_e64 v[14:15], v14, -1
	v_lshlrev_b64_e64 v[48:49], v48, 1
	s_delay_alu instid0(VALU_DEP_2) | instskip(SKIP_1) | instid1(VALU_DEP_4)
	v_bfi_b32 v14, v14, 0, v12
	v_lshrrev_b64 v[12:13], v39, v[12:13]
	v_bfi_b32 v15, v15, 0, 0
	s_delay_alu instid0(VALU_DEP_1) | instskip(NEXT) | instid1(VALU_DEP_3)
	v_cmp_eq_u64_e64 s14, v[14:15], v[48:49]
	v_mov_b64_e32 v[14:15], v[12:13]
	s_and_saveexec_b32 s75, s14
; %bb.8164:                             ;   in Loop: Header=BB6_7730 Depth=3
	v_bfe_u32 v14, v12, 21, 1
	v_mov_b32_e32 v15, v21
	s_delay_alu instid0(VALU_DEP_1) | instskip(NEXT) | instid1(VALU_DEP_1)
	v_add_nc_u64_e32 v[14:15], v[12:13], v[14:15]
	v_add_nc_u64_e32 v[14:15], -1, v[14:15]
; %bb.8165:                             ;   in Loop: Header=BB6_7730 Depth=3
	s_or_b32 exec_lo, exec_lo, s75
	v_add_nc_u32_e32 v9, 0xffffff81, v9
	v_lshrrev_b32_e32 v13, 23, v12
	s_mov_b32 s14, exec_lo
	s_delay_alu instid0(VALU_DEP_2) | instskip(NEXT) | instid1(VALU_DEP_1)
	v_cndmask_b32_e64 v9, v9, 0xffffff82, vcc_lo
	v_add3_u32 v15, v39, v9, v13
	v_and_b32_e32 v9, 0x1fffff, v14
	s_delay_alu instid0(VALU_DEP_2) | instskip(NEXT) | instid1(VALU_DEP_2)
	v_dual_mov_b32 v13, v21 :: v_dual_add_nc_u32 v14, 14, v15
	v_add_nc_u32_e32 v12, v9, v12
                                        ; implicit-def: $vgpr9
	s_delay_alu instid0(VALU_DEP_2)
	v_cmpx_ne_u32_e32 0, v14
	s_xor_b32 s14, exec_lo, s14
; %bb.8166:                             ;   in Loop: Header=BB6_7730 Depth=3
	s_delay_alu instid0(VALU_DEP_2) | instskip(SKIP_1) | instid1(VALU_DEP_1)
	v_cmp_lt_u64_e32 vcc_lo, 0xffffff, v[12:13]
	v_add_nc_u32_e32 v9, 15, v15
	v_cndmask_b32_e32 v9, v14, v9, vcc_lo
	v_cndmask_b32_e64 v14, 0, 1, vcc_lo
	s_delay_alu instid0(VALU_DEP_1)
	v_lshrrev_b64 v[12:13], v14, v[12:13]
; %bb.8167:                             ;   in Loop: Header=BB6_7730 Depth=3
	s_and_not1_saveexec_b32 s14, s14
; %bb.8168:                             ;   in Loop: Header=BB6_7730 Depth=3
	s_delay_alu instid0(VALU_DEP_1)
	v_bfe_u32 v9, v12, 23, 1
; %bb.8169:                             ;   in Loop: Header=BB6_7730 Depth=3
	s_or_b32 exec_lo, exec_lo, s14
	s_delay_alu instid0(VALU_DEP_2) | instskip(NEXT) | instid1(VALU_DEP_2)
	v_lshrrev_b64 v[12:13], 21, v[12:13]
	v_cmp_gt_i32_e32 vcc_lo, 32, v9
	v_min_i32_e32 v14, 31, v9
	v_cmp_eq_u32_e64 s14, 0, v9
	s_delay_alu instid0(VALU_DEP_2) | instskip(SKIP_1) | instid1(VALU_DEP_2)
	v_dual_cndmask_b32 v12, 3, v12, vcc_lo :: v_dual_lshlrev_b32 v14, 2, v14
	v_cndmask_b32_e32 v13, 0, v13, vcc_lo
	v_and_b32_e32 v14, 0xfc, v14
	s_delay_alu instid0(VALU_DEP_2) | instskip(NEXT) | instid1(VALU_DEP_2)
	v_cmp_eq_u64_e32 vcc_lo, 0, v[12:13]
	v_and_or_b32 v9, v12, 3, v14
	s_and_b32 s14, s14, vcc_lo
	s_delay_alu instid0(VALU_DEP_1) | instid1(SALU_CYCLE_1)
	v_cndmask_b32_e64 v9, v9, 0, s14
	s_delay_alu instid0(VALU_DEP_1)
	v_or_b32_e32 v14, v9, v1
.LBB6_8170:                             ;   in Loop: Header=BB6_7730 Depth=3
	s_or_b32 exec_lo, exec_lo, s43
                                        ; implicit-def: $vgpr1
.LBB6_8171:                             ;   in Loop: Header=BB6_7730 Depth=3
	s_and_not1_saveexec_b32 s14, s42
; %bb.8172:                             ;   in Loop: Header=BB6_7730 Depth=3
	v_or_b32_e32 v14, 0x7b, v1
; %bb.8173:                             ;   in Loop: Header=BB6_7730 Depth=3
	s_or_b32 exec_lo, exec_lo, s14
                                        ; implicit-def: $vgpr9
                                        ; implicit-def: $vgpr12_vgpr13
                                        ; implicit-def: $vgpr1
.LBB6_8174:                             ;   in Loop: Header=BB6_7730 Depth=3
	s_and_not1_saveexec_b32 s14, s15
	s_cbranch_execz .LBB6_8180
; %bb.8175:                             ;   in Loop: Header=BB6_7730 Depth=3
	s_mov_b32 s15, exec_lo
                                        ; implicit-def: $vgpr14
	v_cmpx_ne_u64_e32 0, v[12:13]
	s_xor_b32 s15, exec_lo, s15
; %bb.8176:                             ;   in Loop: Header=BB6_7730 Depth=3
	v_or_b32_e32 v14, 0x7f, v1
                                        ; implicit-def: $vgpr9
; %bb.8177:                             ;   in Loop: Header=BB6_7730 Depth=3
	s_and_not1_saveexec_b32 s15, s15
; %bb.8178:                             ;   in Loop: Header=BB6_7730 Depth=3
	v_cmp_lt_i32_e32 vcc_lo, -1, v9
	v_mov_b32_e32 v1, 0x7c
	s_delay_alu instid0(VALU_DEP_1)
	v_cndmask_b32_e32 v14, 0xfc, v1, vcc_lo
; %bb.8179:                             ;   in Loop: Header=BB6_7730 Depth=3
	s_or_b32 exec_lo, exec_lo, s15
.LBB6_8180:                             ;   in Loop: Header=BB6_7730 Depth=3
	s_delay_alu instid0(SALU_CYCLE_1) | instskip(SKIP_3) | instid1(VALU_DEP_2)
	s_or_b32 exec_lo, exec_lo, s14
	v_lshrrev_b16 v12, 8, v8
	v_mov_b32_e32 v1, 0
	s_mov_b32 s14, exec_lo
	v_cmpx_ne_u16_e32 0, v12
	s_cbranch_execz .LBB6_8190
; %bb.8181:                             ;   in Loop: Header=BB6_7730 Depth=3
	v_bfrev_b32_e32 v1, 1
	s_mov_b32 s15, exec_lo
	v_cmpx_ne_u16_e32 0x80, v12
	s_cbranch_execz .LBB6_8189
; %bb.8182:                             ;   in Loop: Header=BB6_7730 Depth=3
	v_and_b32_e32 v9, 0xffff, v12
	s_delay_alu instid0(VALU_DEP_1) | instskip(SKIP_1) | instid1(VALU_DEP_2)
	v_and_b32_e32 v1, 0x7c, v9
	v_and_b32_e32 v13, 3, v9
	v_cmp_ne_u32_e32 vcc_lo, 0x7c, v1
                                        ; implicit-def: $vgpr1
	s_and_saveexec_b32 s42, vcc_lo
	s_delay_alu instid0(SALU_CYCLE_1)
	s_xor_b32 s42, exec_lo, s42
	s_cbranch_execz .LBB6_8186
; %bb.8183:                             ;   in Loop: Header=BB6_7730 Depth=3
	v_bfe_u32 v1, v9, 2, 5
	s_mov_b32 s43, exec_lo
	s_delay_alu instid0(VALU_DEP_1)
	v_cmpx_eq_u32_e32 0, v1
	s_cbranch_execz .LBB6_8185
; %bb.8184:                             ;   in Loop: Header=BB6_7730 Depth=3
	v_clz_i32_u32_e32 v1, v13
	s_delay_alu instid0(VALU_DEP_1) | instskip(SKIP_1) | instid1(VALU_DEP_2)
	v_min_u32_e32 v1, 32, v1
	v_mov_b32_e32 v13, v21
	v_subrev_nc_u32_e32 v9, 29, v1
	v_sub_nc_u32_e32 v1, 30, v1
	s_delay_alu instid0(VALU_DEP_2) | instskip(NEXT) | instid1(VALU_DEP_1)
	v_lshlrev_b64_e32 v[12:13], v9, v[12:13]
	v_and_b32_e32 v13, 3, v12
.LBB6_8185:                             ;   in Loop: Header=BB6_7730 Depth=3
	s_or_b32 exec_lo, exec_lo, s43
	v_lshlrev_b32_e32 v8, 16, v8
	s_delay_alu instid0(VALU_DEP_1) | instskip(NEXT) | instid1(VALU_DEP_1)
	v_and_b32_e32 v8, 0x80000000, v8
	v_lshl_add_u32 v1, v1, 23, v8
                                        ; implicit-def: $vgpr8_vgpr9
	s_delay_alu instid0(VALU_DEP_1) | instskip(NEXT) | instid1(VALU_DEP_1)
	v_lshl_or_b32 v1, v13, 21, v1
                                        ; implicit-def: $vgpr13
	v_add_nc_u32_e32 v1, 0x38000000, v1
.LBB6_8186:                             ;   in Loop: Header=BB6_7730 Depth=3
	s_and_not1_saveexec_b32 s42, s42
; %bb.8187:                             ;   in Loop: Header=BB6_7730 Depth=3
	v_cmp_lt_i16_e32 vcc_lo, -1, v8
	v_mov_b32_e32 v1, 0x7f800000
	s_delay_alu instid0(VALU_DEP_1) | instskip(SKIP_1) | instid1(VALU_DEP_2)
	v_cndmask_b32_e32 v1, 0xff800000, v1, vcc_lo
	v_cmp_eq_u32_e32 vcc_lo, 0, v13
	v_cndmask_b32_e32 v1, 0x7f800001, v1, vcc_lo
; %bb.8188:                             ;   in Loop: Header=BB6_7730 Depth=3
	s_or_b32 exec_lo, exec_lo, s42
.LBB6_8189:                             ;   in Loop: Header=BB6_7730 Depth=3
	s_delay_alu instid0(SALU_CYCLE_1)
	s_or_b32 exec_lo, exec_lo, s15
.LBB6_8190:                             ;   in Loop: Header=BB6_7730 Depth=3
	s_delay_alu instid0(SALU_CYCLE_1) | instskip(SKIP_3) | instid1(VALU_DEP_1)
	s_or_b32 exec_lo, exec_lo, s14
	v_lshrrev_b16 v8, 8, v0
	s_mov_b32 s15, 0
	s_mov_b32 s14, exec_lo
	v_cmpx_lt_i16_e32 0x7f, v8
	s_xor_b32 s14, exec_lo, s14
	s_cbranch_execz .LBB6_8305
; %bb.8191:                             ;   in Loop: Header=BB6_7730 Depth=3
	s_mov_b32 s15, -1
	s_mov_b32 s42, exec_lo
	v_cmpx_eq_u16_e32 0x80, v8
; %bb.8192:                             ;   in Loop: Header=BB6_7730 Depth=3
	s_xor_b32 s15, exec_lo, -1
; %bb.8193:                             ;   in Loop: Header=BB6_7730 Depth=3
	s_or_b32 exec_lo, exec_lo, s42
	s_delay_alu instid0(SALU_CYCLE_1)
	s_and_b32 s15, s15, exec_lo
	s_or_saveexec_b32 s14, s14
	v_bfrev_b32_e32 v9, 1
	s_xor_b32 exec_lo, exec_lo, s14
	s_cbranch_execnz .LBB6_8306
.LBB6_8194:                             ;   in Loop: Header=BB6_7730 Depth=3
	s_or_b32 exec_lo, exec_lo, s14
	s_and_saveexec_b32 s14, s15
	s_cbranch_execz .LBB6_8196
.LBB6_8195:                             ;   in Loop: Header=BB6_7730 Depth=3
	v_and_b32_e32 v15, 0xffff, v8
	s_delay_alu instid0(VALU_DEP_1) | instskip(NEXT) | instid1(VALU_DEP_1)
	v_and_b32_e32 v39, 3, v15
	v_clz_i32_u32_e32 v9, v39
	s_delay_alu instid0(VALU_DEP_1) | instskip(SKIP_1) | instid1(VALU_DEP_2)
	v_min_u32_e32 v48, 32, v9
	v_mov_b32_e32 v9, v21
	v_subrev_nc_u32_e32 v12, 29, v48
	s_delay_alu instid0(VALU_DEP_1) | instskip(SKIP_2) | instid1(VALU_DEP_2)
	v_lshlrev_b64_e32 v[12:13], v12, v[8:9]
	v_bfe_u32 v9, v15, 2, 5
	v_sub_nc_u32_e32 v13, 30, v48
	v_cmp_eq_u32_e32 vcc_lo, 0, v9
	v_lshlrev_b32_e32 v8, 24, v8
	s_delay_alu instid0(VALU_DEP_3) | instskip(NEXT) | instid1(VALU_DEP_2)
	v_dual_cndmask_b32 v9, v9, v13, vcc_lo :: v_dual_bitop2_b32 v12, 3, v12 bitop3:0x40
	v_and_b32_e32 v8, 0x80000000, v8
	s_delay_alu instid0(VALU_DEP_2) | instskip(SKIP_2) | instid1(VALU_DEP_4)
	v_cndmask_b32_e32 v12, v39, v12, vcc_lo
	v_cmp_lt_i16_e32 vcc_lo, -1, v0
	v_mov_b32_e32 v0, 0x7f800000
	v_lshl_add_u32 v8, v9, 23, v8
	v_and_b32_e32 v9, 0x7c, v15
	s_delay_alu instid0(VALU_DEP_3) | instskip(SKIP_1) | instid1(VALU_DEP_4)
	v_cndmask_b32_e32 v0, 0xff800000, v0, vcc_lo
	v_cmp_eq_u32_e32 vcc_lo, 0, v39
	v_lshl_or_b32 v8, v12, 21, v8
	s_delay_alu instid0(VALU_DEP_3) | instskip(NEXT) | instid1(VALU_DEP_2)
	v_cndmask_b32_e32 v0, 0x7f800001, v0, vcc_lo
	v_add_nc_u32_e32 v8, 0x38000000, v8
	v_cmp_eq_u32_e32 vcc_lo, 0x7c, v9
	s_delay_alu instid0(VALU_DEP_2)
	v_cndmask_b32_e32 v9, v8, v0, vcc_lo
.LBB6_8196:                             ;   in Loop: Header=BB6_7730 Depth=3
	s_or_b32 exec_lo, exec_lo, s14
	s_delay_alu instid0(VALU_DEP_1) | instskip(SKIP_1) | instid1(VALU_DEP_2)
	v_mul_f32_e32 v8, v1, v9
	v_dual_mov_b32 v13, v21 :: v_dual_mov_b32 v1, v21
	v_and_b32_e32 v12, 0x7f800000, v8
	v_and_b32_e32 v0, 0x7fffff, v8
	v_lshrrev_b32_e32 v9, 24, v8
	s_delay_alu instid0(VALU_DEP_3) | instskip(SKIP_1) | instid1(SALU_CYCLE_1)
	v_cmp_ne_u64_e32 vcc_lo, 0x7f800000, v[12:13]
                                        ; implicit-def: $vgpr12
	s_and_saveexec_b32 s14, vcc_lo
	s_xor_b32 s15, exec_lo, s14
	s_cbranch_execz .LBB6_8210
; %bb.8197:                             ;   in Loop: Header=BB6_7730 Depth=3
	v_and_b32_e32 v12, 0x7fffffff, v8
	v_mov_b32_e32 v13, v21
	s_delay_alu instid0(VALU_DEP_1) | instskip(SKIP_2) | instid1(SALU_CYCLE_1)
	v_cmp_gt_u64_e32 vcc_lo, 0x47600001, v[12:13]
	v_and_b32_e32 v13, 0x80, v9
                                        ; implicit-def: $vgpr12
	s_and_saveexec_b32 s14, vcc_lo
	s_xor_b32 s42, exec_lo, s14
	s_cbranch_execz .LBB6_8207
; %bb.8198:                             ;   in Loop: Header=BB6_7730 Depth=3
	v_mov_b32_e32 v12, 0
	s_mov_b32 s43, exec_lo
	v_cmpx_ne_u32_e32 0, v8
	s_cbranch_execz .LBB6_8206
; %bb.8199:                             ;   in Loop: Header=BB6_7730 Depth=3
	v_bfe_u32 v12, v8, 23, 8
	v_or_b32_e32 v39, 0x800000, v0
	s_delay_alu instid0(VALU_DEP_2) | instskip(SKIP_1) | instid1(VALU_DEP_2)
	v_sub_nc_u32_e32 v8, 0x71, v12
	v_cmp_gt_u32_e32 vcc_lo, 0x72, v12
	v_cndmask_b32_e32 v8, 0, v8, vcc_lo
	v_cmp_eq_u32_e32 vcc_lo, 0, v12
	s_delay_alu instid0(VALU_DEP_2) | instskip(NEXT) | instid1(VALU_DEP_1)
	v_cndmask_b32_e64 v15, v8, 0x70, vcc_lo
	v_dual_cndmask_b32 v0, v39, v0, vcc_lo :: v_dual_add_nc_u32 v8, 21, v15
	v_add_nc_u32_e32 v48, 20, v15
	s_delay_alu instid0(VALU_DEP_2) | instskip(NEXT) | instid1(VALU_DEP_2)
	v_lshlrev_b64_e64 v[8:9], v8, -1
	v_lshlrev_b64_e64 v[48:49], v48, 1
	s_delay_alu instid0(VALU_DEP_2) | instskip(SKIP_1) | instid1(VALU_DEP_4)
	v_bfi_b32 v8, v8, 0, v0
	v_lshrrev_b64 v[0:1], v15, v[0:1]
	v_bfi_b32 v9, v9, 0, 0
	s_delay_alu instid0(VALU_DEP_1) | instskip(NEXT) | instid1(VALU_DEP_3)
	v_cmp_eq_u64_e64 s14, v[8:9], v[48:49]
	v_mov_b64_e32 v[8:9], v[0:1]
	s_and_saveexec_b32 s75, s14
; %bb.8200:                             ;   in Loop: Header=BB6_7730 Depth=3
	v_bfe_u32 v8, v0, 21, 1
	v_mov_b32_e32 v9, v21
	s_delay_alu instid0(VALU_DEP_1) | instskip(NEXT) | instid1(VALU_DEP_1)
	v_add_nc_u64_e32 v[8:9], v[0:1], v[8:9]
	v_add_nc_u64_e32 v[8:9], -1, v[8:9]
; %bb.8201:                             ;   in Loop: Header=BB6_7730 Depth=3
	s_or_b32 exec_lo, exec_lo, s75
	v_add_nc_u32_e32 v1, 0xffffff81, v12
	v_lshrrev_b32_e32 v9, 23, v0
	s_mov_b32 s14, exec_lo
	s_delay_alu instid0(VALU_DEP_2) | instskip(NEXT) | instid1(VALU_DEP_1)
	v_cndmask_b32_e64 v1, v1, 0xffffff82, vcc_lo
	v_add3_u32 v9, v15, v1, v9
	v_and_b32_e32 v1, 0x1fffff, v8
                                        ; implicit-def: $vgpr8
	s_delay_alu instid0(VALU_DEP_1) | instskip(SKIP_1) | instid1(VALU_DEP_2)
	v_dual_add_nc_u32 v12, 14, v9 :: v_dual_add_nc_u32 v0, v1, v0
	v_mov_b32_e32 v1, v21
	v_cmpx_ne_u32_e32 0, v12
	s_xor_b32 s14, exec_lo, s14
; %bb.8202:                             ;   in Loop: Header=BB6_7730 Depth=3
	s_delay_alu instid0(VALU_DEP_2) | instskip(SKIP_2) | instid1(VALU_DEP_2)
	v_cmp_lt_u64_e32 vcc_lo, 0xffffff, v[0:1]
	v_add_nc_u32_e32 v8, 15, v9
	v_cndmask_b32_e64 v9, 0, 1, vcc_lo
	v_cndmask_b32_e32 v8, v12, v8, vcc_lo
	s_delay_alu instid0(VALU_DEP_2)
	v_lshrrev_b64 v[0:1], v9, v[0:1]
; %bb.8203:                             ;   in Loop: Header=BB6_7730 Depth=3
	s_and_not1_saveexec_b32 s14, s14
; %bb.8204:                             ;   in Loop: Header=BB6_7730 Depth=3
	s_delay_alu instid0(VALU_DEP_1)
	v_bfe_u32 v8, v0, 23, 1
; %bb.8205:                             ;   in Loop: Header=BB6_7730 Depth=3
	s_or_b32 exec_lo, exec_lo, s14
	s_delay_alu instid0(VALU_DEP_2) | instskip(NEXT) | instid1(VALU_DEP_2)
	v_lshrrev_b64 v[0:1], 21, v[0:1]
	v_cmp_gt_i32_e32 vcc_lo, 32, v8
	v_min_i32_e32 v9, 31, v8
	v_cmp_eq_u32_e64 s14, 0, v8
	s_delay_alu instid0(VALU_DEP_4) | instskip(NEXT) | instid1(VALU_DEP_3)
	v_cndmask_b32_e32 v1, 0, v1, vcc_lo
	v_dual_cndmask_b32 v0, 3, v0 :: v_dual_lshlrev_b32 v9, 2, v9
	s_delay_alu instid0(VALU_DEP_1) | instskip(NEXT) | instid1(VALU_DEP_2)
	v_and_b32_e32 v9, 0xfc, v9
	v_cmp_eq_u64_e32 vcc_lo, 0, v[0:1]
	s_delay_alu instid0(VALU_DEP_2)
	v_and_or_b32 v0, v0, 3, v9
	s_and_b32 s14, s14, vcc_lo
	s_delay_alu instid0(VALU_DEP_1) | instid1(SALU_CYCLE_1)
	v_cndmask_b32_e64 v0, v0, 0, s14
	s_delay_alu instid0(VALU_DEP_1)
	v_or_b32_e32 v12, v0, v13
.LBB6_8206:                             ;   in Loop: Header=BB6_7730 Depth=3
	s_or_b32 exec_lo, exec_lo, s43
                                        ; implicit-def: $vgpr13
.LBB6_8207:                             ;   in Loop: Header=BB6_7730 Depth=3
	s_and_not1_saveexec_b32 s14, s42
; %bb.8208:                             ;   in Loop: Header=BB6_7730 Depth=3
	v_or_b32_e32 v12, 0x7b, v13
; %bb.8209:                             ;   in Loop: Header=BB6_7730 Depth=3
	s_or_b32 exec_lo, exec_lo, s14
                                        ; implicit-def: $vgpr8
                                        ; implicit-def: $vgpr0_vgpr1
                                        ; implicit-def: $vgpr9
.LBB6_8210:                             ;   in Loop: Header=BB6_7730 Depth=3
	s_and_not1_saveexec_b32 s14, s15
	s_cbranch_execz .LBB6_8216
; %bb.8211:                             ;   in Loop: Header=BB6_7730 Depth=3
	s_mov_b32 s15, exec_lo
                                        ; implicit-def: $vgpr12
	v_cmpx_ne_u64_e32 0, v[0:1]
	s_xor_b32 s15, exec_lo, s15
; %bb.8212:                             ;   in Loop: Header=BB6_7730 Depth=3
	v_or_b32_e32 v12, 0x7f, v9
                                        ; implicit-def: $vgpr8
; %bb.8213:                             ;   in Loop: Header=BB6_7730 Depth=3
	s_and_not1_saveexec_b32 s15, s15
; %bb.8214:                             ;   in Loop: Header=BB6_7730 Depth=3
	v_cmp_lt_i32_e32 vcc_lo, -1, v8
	v_mov_b32_e32 v0, 0x7c
	s_delay_alu instid0(VALU_DEP_1)
	v_cndmask_b32_e32 v12, 0xfc, v0, vcc_lo
; %bb.8215:                             ;   in Loop: Header=BB6_7730 Depth=3
	s_or_b32 exec_lo, exec_lo, s15
.LBB6_8216:                             ;   in Loop: Header=BB6_7730 Depth=3
	s_delay_alu instid0(SALU_CYCLE_1) | instskip(SKIP_2) | instid1(VALU_DEP_1)
	s_or_b32 exec_lo, exec_lo, s14
	v_dual_mov_b32 v1, 0 :: v_dual_lshrrev_b32 v0, 16, v3
	s_mov_b32 s14, exec_lo
	v_and_b32_e32 v8, 0xff, v0
	s_delay_alu instid0(VALU_DEP_1)
	v_cmpx_ne_u16_e32 0, v8
	s_cbranch_execz .LBB6_8226
; %bb.8217:                             ;   in Loop: Header=BB6_7730 Depth=3
	v_bfrev_b32_e32 v1, 1
	s_mov_b32 s15, exec_lo
	v_cmpx_ne_u16_e32 0x80, v8
	s_cbranch_execz .LBB6_8225
; %bb.8218:                             ;   in Loop: Header=BB6_7730 Depth=3
	v_and_b32_e32 v1, 0x7c0000, v3
	v_bfe_u32 v8, v3, 16, 2
	s_delay_alu instid0(VALU_DEP_2) | instskip(SKIP_1) | instid1(SALU_CYCLE_1)
	v_cmp_ne_u32_e32 vcc_lo, 0x7c0000, v1
                                        ; implicit-def: $vgpr1
	s_and_saveexec_b32 s42, vcc_lo
	s_xor_b32 s42, exec_lo, s42
	s_cbranch_execz .LBB6_8222
; %bb.8219:                             ;   in Loop: Header=BB6_7730 Depth=3
	v_bfe_u32 v1, v3, 18, 5
	s_mov_b32 s43, exec_lo
	s_delay_alu instid0(VALU_DEP_1)
	v_cmpx_eq_u32_e32 0, v1
; %bb.8220:                             ;   in Loop: Header=BB6_7730 Depth=3
	v_clz_i32_u32_e32 v1, v8
	s_delay_alu instid0(VALU_DEP_1) | instskip(NEXT) | instid1(VALU_DEP_1)
	v_min_u32_e32 v1, 32, v1
	v_subrev_nc_u32_e32 v8, 29, v1
	s_delay_alu instid0(VALU_DEP_1) | instskip(NEXT) | instid1(VALU_DEP_1)
	v_lshlrev_b64_e32 v[8:9], v8, v[0:1]
	v_dual_sub_nc_u32 v1, 30, v1 :: v_dual_bitop2_b32 v8, 3, v8 bitop3:0x40
; %bb.8221:                             ;   in Loop: Header=BB6_7730 Depth=3
	s_or_b32 exec_lo, exec_lo, s43
	v_lshlrev_b32_e32 v0, 24, v0
	s_delay_alu instid0(VALU_DEP_1) | instskip(NEXT) | instid1(VALU_DEP_1)
	v_and_b32_e32 v0, 0x80000000, v0
	v_lshl_add_u32 v0, v1, 23, v0
	s_delay_alu instid0(VALU_DEP_1) | instskip(NEXT) | instid1(VALU_DEP_1)
	v_lshl_or_b32 v0, v8, 21, v0
                                        ; implicit-def: $vgpr8
	v_add_nc_u32_e32 v1, 0x38000000, v0
                                        ; implicit-def: $vgpr0
.LBB6_8222:                             ;   in Loop: Header=BB6_7730 Depth=3
	s_and_not1_saveexec_b32 s42, s42
; %bb.8223:                             ;   in Loop: Header=BB6_7730 Depth=3
	v_bfe_i32 v0, v0, 0, 8
	s_delay_alu instid0(VALU_DEP_1) | instskip(SKIP_1) | instid1(VALU_DEP_1)
	v_cmp_lt_i16_e32 vcc_lo, -1, v0
	v_mov_b32_e32 v0, 0x7f800000
	v_cndmask_b32_e32 v0, 0xff800000, v0, vcc_lo
	v_cmp_eq_u32_e32 vcc_lo, 0, v8
	s_delay_alu instid0(VALU_DEP_2)
	v_cndmask_b32_e32 v1, 0x7f800001, v0, vcc_lo
; %bb.8224:                             ;   in Loop: Header=BB6_7730 Depth=3
	s_or_b32 exec_lo, exec_lo, s42
.LBB6_8225:                             ;   in Loop: Header=BB6_7730 Depth=3
	s_delay_alu instid0(SALU_CYCLE_1)
	s_or_b32 exec_lo, exec_lo, s15
.LBB6_8226:                             ;   in Loop: Header=BB6_7730 Depth=3
	s_delay_alu instid0(SALU_CYCLE_1) | instskip(SKIP_3) | instid1(VALU_DEP_1)
	s_or_b32 exec_lo, exec_lo, s14
	v_lshrrev_b32_e32 v0, 16, v11
	s_mov_b32 s15, 0
	s_mov_b32 s14, exec_lo
	v_and_b32_e32 v9, 0xff, v0
	s_delay_alu instid0(VALU_DEP_1)
	v_cmpx_lt_i16_e32 0x7f, v9
	s_xor_b32 s14, exec_lo, s14
	s_cbranch_execz .LBB6_8307
; %bb.8227:                             ;   in Loop: Header=BB6_7730 Depth=3
	s_mov_b32 s15, -1
	s_mov_b32 s42, exec_lo
	v_cmpx_eq_u16_e32 0x80, v9
; %bb.8228:                             ;   in Loop: Header=BB6_7730 Depth=3
	s_xor_b32 s15, exec_lo, -1
; %bb.8229:                             ;   in Loop: Header=BB6_7730 Depth=3
	s_or_b32 exec_lo, exec_lo, s42
	s_delay_alu instid0(SALU_CYCLE_1)
	s_and_b32 s15, s15, exec_lo
                                        ; implicit-def: $vgpr9
	s_or_saveexec_b32 s14, s14
	v_bfrev_b32_e32 v8, 1
	s_xor_b32 exec_lo, exec_lo, s14
	s_cbranch_execnz .LBB6_8308
.LBB6_8230:                             ;   in Loop: Header=BB6_7730 Depth=3
	s_or_b32 exec_lo, exec_lo, s14
	s_and_saveexec_b32 s14, s15
	s_cbranch_execz .LBB6_8232
.LBB6_8231:                             ;   in Loop: Header=BB6_7730 Depth=3
	v_and_b32_e32 v13, 3, v0
	v_bfe_u32 v39, v11, 18, 5
	s_delay_alu instid0(VALU_DEP_2) | instskip(NEXT) | instid1(VALU_DEP_2)
	v_clz_i32_u32_e32 v8, v13
	v_cmp_eq_u32_e32 vcc_lo, 0, v39
	s_delay_alu instid0(VALU_DEP_2) | instskip(NEXT) | instid1(VALU_DEP_1)
	v_min_u32_e32 v15, 32, v8
	v_subrev_nc_u32_e32 v8, 29, v15
	s_delay_alu instid0(VALU_DEP_1) | instskip(SKIP_2) | instid1(VALU_DEP_2)
	v_lshlrev_b64_e32 v[8:9], v8, v[0:1]
	v_dual_lshlrev_b32 v9, 24, v0 :: v_dual_sub_nc_u32 v15, 30, v15
	v_bfe_i32 v0, v0, 0, 8
	v_and_b32_e32 v9, 0x80000000, v9
	s_delay_alu instid0(VALU_DEP_3) | instskip(NEXT) | instid1(VALU_DEP_1)
	v_dual_cndmask_b32 v15, v39, v15, vcc_lo :: v_dual_bitop2_b32 v8, 3, v8 bitop3:0x40
	v_cndmask_b32_e32 v8, v13, v8, vcc_lo
	s_delay_alu instid0(VALU_DEP_2) | instskip(SKIP_2) | instid1(VALU_DEP_3)
	v_lshl_add_u32 v9, v15, 23, v9
	v_cmp_lt_i16_e32 vcc_lo, -1, v0
	v_mov_b32_e32 v0, 0x7f800000
	v_lshl_or_b32 v8, v8, 21, v9
	v_and_b32_e32 v9, 0x7c0000, v11
	s_delay_alu instid0(VALU_DEP_3) | instskip(SKIP_1) | instid1(VALU_DEP_4)
	v_cndmask_b32_e32 v0, 0xff800000, v0, vcc_lo
	v_cmp_eq_u32_e32 vcc_lo, 0, v13
	v_add_nc_u32_e32 v8, 0x38000000, v8
	s_delay_alu instid0(VALU_DEP_3) | instskip(SKIP_1) | instid1(VALU_DEP_2)
	v_cndmask_b32_e32 v0, 0x7f800001, v0, vcc_lo
	v_cmp_eq_u32_e32 vcc_lo, 0x7c0000, v9
	v_cndmask_b32_e32 v8, v8, v0, vcc_lo
.LBB6_8232:                             ;   in Loop: Header=BB6_7730 Depth=3
	s_or_b32 exec_lo, exec_lo, s14
	s_delay_alu instid0(VALU_DEP_1) | instskip(SKIP_2) | instid1(VALU_DEP_2)
	v_mul_f32_e32 v9, v1, v8
	v_dual_mov_b32 v49, v21 :: v_dual_mov_b32 v1, v21
                                        ; implicit-def: $vgpr8
	s_mov_b32 s14, exec_lo
	v_and_b32_e32 v48, 0x7f800000, v9
	v_and_b32_e32 v0, 0x7fffff, v9
	v_lshrrev_b32_e32 v13, 24, v9
	s_delay_alu instid0(VALU_DEP_3)
	v_cmpx_ne_u64_e32 0x7f800000, v[48:49]
	s_xor_b32 s15, exec_lo, s14
	s_cbranch_execz .LBB6_8246
; %bb.8233:                             ;   in Loop: Header=BB6_7730 Depth=3
	v_and_b32_e32 v48, 0x7fffffff, v9
	v_mov_b32_e32 v49, v21
	v_and_b32_e32 v13, 0x80, v13
                                        ; implicit-def: $vgpr8
	s_mov_b32 s14, exec_lo
	s_delay_alu instid0(VALU_DEP_2)
	v_cmpx_gt_u64_e32 0x47600001, v[48:49]
	s_xor_b32 s42, exec_lo, s14
	s_cbranch_execz .LBB6_8243
; %bb.8234:                             ;   in Loop: Header=BB6_7730 Depth=3
	v_mov_b32_e32 v8, 0
	s_mov_b32 s43, exec_lo
	v_cmpx_ne_u32_e32 0, v9
	s_cbranch_execz .LBB6_8242
; %bb.8235:                             ;   in Loop: Header=BB6_7730 Depth=3
	v_bfe_u32 v15, v9, 23, 8
	v_or_b32_e32 v9, 0x800000, v0
	s_delay_alu instid0(VALU_DEP_2) | instskip(SKIP_2) | instid1(VALU_DEP_2)
	v_cmp_gt_u32_e64 s14, 0x72, v15
	v_sub_nc_u32_e32 v8, 0x71, v15
	v_cmp_eq_u32_e32 vcc_lo, 0, v15
	v_cndmask_b32_e64 v8, 0, v8, s14
	s_delay_alu instid0(VALU_DEP_1) | instskip(NEXT) | instid1(VALU_DEP_1)
	v_cndmask_b32_e64 v39, v8, 0x70, vcc_lo
	v_dual_cndmask_b32 v0, v9, v0, vcc_lo :: v_dual_add_nc_u32 v8, 21, v39
	v_add_nc_u32_e32 v48, 20, v39
	s_delay_alu instid0(VALU_DEP_2) | instskip(NEXT) | instid1(VALU_DEP_2)
	v_lshlrev_b64_e64 v[8:9], v8, -1
	v_lshlrev_b64_e64 v[48:49], v48, 1
	s_delay_alu instid0(VALU_DEP_2) | instskip(SKIP_1) | instid1(VALU_DEP_4)
	v_bfi_b32 v8, v8, 0, v0
	v_lshrrev_b64 v[0:1], v39, v[0:1]
	v_bfi_b32 v9, v9, 0, 0
	s_delay_alu instid0(VALU_DEP_1) | instskip(NEXT) | instid1(VALU_DEP_3)
	v_cmp_eq_u64_e64 s14, v[8:9], v[48:49]
	v_mov_b64_e32 v[8:9], v[0:1]
	s_and_saveexec_b32 s75, s14
; %bb.8236:                             ;   in Loop: Header=BB6_7730 Depth=3
	v_bfe_u32 v8, v0, 21, 1
	v_mov_b32_e32 v9, v21
	s_delay_alu instid0(VALU_DEP_1) | instskip(NEXT) | instid1(VALU_DEP_1)
	v_add_nc_u64_e32 v[8:9], v[0:1], v[8:9]
	v_add_nc_u64_e32 v[8:9], -1, v[8:9]
; %bb.8237:                             ;   in Loop: Header=BB6_7730 Depth=3
	s_or_b32 exec_lo, exec_lo, s75
	v_add_nc_u32_e32 v1, 0xffffff81, v15
	v_lshrrev_b32_e32 v9, 23, v0
	s_mov_b32 s14, exec_lo
	s_delay_alu instid0(VALU_DEP_2) | instskip(NEXT) | instid1(VALU_DEP_1)
	v_cndmask_b32_e64 v1, v1, 0xffffff82, vcc_lo
	v_add3_u32 v9, v39, v1, v9
	v_and_b32_e32 v1, 0x1fffff, v8
                                        ; implicit-def: $vgpr8
	s_delay_alu instid0(VALU_DEP_1) | instskip(SKIP_1) | instid1(VALU_DEP_2)
	v_dual_add_nc_u32 v15, 14, v9 :: v_dual_add_nc_u32 v0, v1, v0
	v_mov_b32_e32 v1, v21
	v_cmpx_ne_u32_e32 0, v15
	s_xor_b32 s14, exec_lo, s14
; %bb.8238:                             ;   in Loop: Header=BB6_7730 Depth=3
	s_delay_alu instid0(VALU_DEP_2) | instskip(SKIP_2) | instid1(VALU_DEP_2)
	v_cmp_lt_u64_e32 vcc_lo, 0xffffff, v[0:1]
	v_add_nc_u32_e32 v8, 15, v9
	v_cndmask_b32_e64 v9, 0, 1, vcc_lo
	v_cndmask_b32_e32 v8, v15, v8, vcc_lo
	s_delay_alu instid0(VALU_DEP_2)
	v_lshrrev_b64 v[0:1], v9, v[0:1]
; %bb.8239:                             ;   in Loop: Header=BB6_7730 Depth=3
	s_and_not1_saveexec_b32 s14, s14
; %bb.8240:                             ;   in Loop: Header=BB6_7730 Depth=3
	s_delay_alu instid0(VALU_DEP_1)
	v_bfe_u32 v8, v0, 23, 1
; %bb.8241:                             ;   in Loop: Header=BB6_7730 Depth=3
	s_or_b32 exec_lo, exec_lo, s14
	s_delay_alu instid0(VALU_DEP_2) | instskip(NEXT) | instid1(VALU_DEP_2)
	v_lshrrev_b64 v[0:1], 21, v[0:1]
	v_cmp_gt_i32_e32 vcc_lo, 32, v8
	v_min_i32_e32 v9, 31, v8
	v_cmp_eq_u32_e64 s14, 0, v8
	s_delay_alu instid0(VALU_DEP_4) | instskip(NEXT) | instid1(VALU_DEP_3)
	v_cndmask_b32_e32 v1, 0, v1, vcc_lo
	v_dual_cndmask_b32 v0, 3, v0 :: v_dual_lshlrev_b32 v9, 2, v9
	s_delay_alu instid0(VALU_DEP_1) | instskip(NEXT) | instid1(VALU_DEP_2)
	v_and_b32_e32 v9, 0xfc, v9
	v_cmp_eq_u64_e32 vcc_lo, 0, v[0:1]
	s_delay_alu instid0(VALU_DEP_2)
	v_and_or_b32 v0, v0, 3, v9
	s_and_b32 s14, s14, vcc_lo
	s_delay_alu instid0(VALU_DEP_1) | instid1(SALU_CYCLE_1)
	v_cndmask_b32_e64 v0, v0, 0, s14
	s_delay_alu instid0(VALU_DEP_1)
	v_or_b32_e32 v8, v0, v13
.LBB6_8242:                             ;   in Loop: Header=BB6_7730 Depth=3
	s_or_b32 exec_lo, exec_lo, s43
                                        ; implicit-def: $vgpr13
.LBB6_8243:                             ;   in Loop: Header=BB6_7730 Depth=3
	s_and_not1_saveexec_b32 s14, s42
; %bb.8244:                             ;   in Loop: Header=BB6_7730 Depth=3
	v_or_b32_e32 v8, 0x7b, v13
; %bb.8245:                             ;   in Loop: Header=BB6_7730 Depth=3
	s_or_b32 exec_lo, exec_lo, s14
                                        ; implicit-def: $vgpr9
                                        ; implicit-def: $vgpr0_vgpr1
                                        ; implicit-def: $vgpr13
.LBB6_8246:                             ;   in Loop: Header=BB6_7730 Depth=3
	s_and_not1_saveexec_b32 s14, s15
	s_cbranch_execz .LBB6_8252
; %bb.8247:                             ;   in Loop: Header=BB6_7730 Depth=3
	s_mov_b32 s15, exec_lo
                                        ; implicit-def: $vgpr8
	v_cmpx_ne_u64_e32 0, v[0:1]
	s_xor_b32 s15, exec_lo, s15
; %bb.8248:                             ;   in Loop: Header=BB6_7730 Depth=3
	v_or_b32_e32 v8, 0x7f, v13
                                        ; implicit-def: $vgpr9
; %bb.8249:                             ;   in Loop: Header=BB6_7730 Depth=3
	s_and_not1_saveexec_b32 s15, s15
; %bb.8250:                             ;   in Loop: Header=BB6_7730 Depth=3
	v_cmp_lt_i32_e32 vcc_lo, -1, v9
	v_mov_b32_e32 v0, 0x7c
	s_delay_alu instid0(VALU_DEP_1)
	v_cndmask_b32_e32 v8, 0xfc, v0, vcc_lo
; %bb.8251:                             ;   in Loop: Header=BB6_7730 Depth=3
	s_or_b32 exec_lo, exec_lo, s15
.LBB6_8252:                             ;   in Loop: Header=BB6_7730 Depth=3
	s_delay_alu instid0(SALU_CYCLE_1)
	s_or_b32 exec_lo, exec_lo, s14
	v_mov_b32_e32 v1, 0
	s_mov_b32 s14, exec_lo
	v_cmpx_lt_u64_e64 s[22:23], v[2:3]
	s_cbranch_execz .LBB6_8262
; %bb.8253:                             ;   in Loop: Header=BB6_7730 Depth=3
	v_lshrrev_b32_e32 v0, 24, v3
	v_bfrev_b32_e32 v1, 1
	s_mov_b32 s15, exec_lo
	s_delay_alu instid0(VALU_DEP_2)
	v_cmpx_ne_u32_e32 0x80, v0
	s_cbranch_execz .LBB6_8261
; %bb.8254:                             ;   in Loop: Header=BB6_7730 Depth=3
	v_and_b32_e32 v1, 0x7c000000, v3
	v_bfe_u32 v9, v3, 24, 2
	s_delay_alu instid0(VALU_DEP_2) | instskip(SKIP_1) | instid1(SALU_CYCLE_1)
	v_cmp_ne_u32_e32 vcc_lo, 0x7c000000, v1
                                        ; implicit-def: $vgpr1
	s_and_saveexec_b32 s42, vcc_lo
	s_xor_b32 s42, exec_lo, s42
	s_cbranch_execz .LBB6_8258
; %bb.8255:                             ;   in Loop: Header=BB6_7730 Depth=3
	v_bfe_u32 v1, v3, 26, 5
	s_mov_b32 s43, exec_lo
	s_delay_alu instid0(VALU_DEP_1)
	v_cmpx_eq_u32_e32 0, v1
; %bb.8256:                             ;   in Loop: Header=BB6_7730 Depth=3
	v_clz_i32_u32_e32 v1, v9
	s_delay_alu instid0(VALU_DEP_1) | instskip(NEXT) | instid1(VALU_DEP_1)
	v_min_u32_e32 v2, 32, v1
	v_subrev_nc_u32_e32 v1, 29, v2
	s_delay_alu instid0(VALU_DEP_1) | instskip(NEXT) | instid1(VALU_DEP_1)
	v_lshlrev_b64_e32 v[0:1], v1, v[0:1]
	v_dual_sub_nc_u32 v1, 30, v2 :: v_dual_bitop2_b32 v9, 3, v0 bitop3:0x40
; %bb.8257:                             ;   in Loop: Header=BB6_7730 Depth=3
	s_or_b32 exec_lo, exec_lo, s43
	v_and_b32_e32 v0, 0x80000000, v3
                                        ; implicit-def: $vgpr2_vgpr3
	s_delay_alu instid0(VALU_DEP_1) | instskip(NEXT) | instid1(VALU_DEP_1)
	v_lshl_add_u32 v0, v1, 23, v0
	v_lshl_or_b32 v0, v9, 21, v0
                                        ; implicit-def: $vgpr9
	s_delay_alu instid0(VALU_DEP_1)
	v_add_nc_u32_e32 v1, 0x38000000, v0
.LBB6_8258:                             ;   in Loop: Header=BB6_7730 Depth=3
	s_and_not1_saveexec_b32 s42, s42
; %bb.8259:                             ;   in Loop: Header=BB6_7730 Depth=3
	v_cmp_lt_i64_e32 vcc_lo, -1, v[2:3]
	v_mov_b32_e32 v0, 0x7f800000
	s_delay_alu instid0(VALU_DEP_1) | instskip(SKIP_1) | instid1(VALU_DEP_2)
	v_cndmask_b32_e32 v0, 0xff800000, v0, vcc_lo
	v_cmp_eq_u32_e32 vcc_lo, 0, v9
	v_cndmask_b32_e32 v1, 0x7f800001, v0, vcc_lo
; %bb.8260:                             ;   in Loop: Header=BB6_7730 Depth=3
	s_or_b32 exec_lo, exec_lo, s42
.LBB6_8261:                             ;   in Loop: Header=BB6_7730 Depth=3
	s_delay_alu instid0(SALU_CYCLE_1)
	s_or_b32 exec_lo, exec_lo, s15
.LBB6_8262:                             ;   in Loop: Header=BB6_7730 Depth=3
	s_delay_alu instid0(SALU_CYCLE_1) | instskip(SKIP_3) | instid1(VALU_DEP_2)
	s_or_b32 exec_lo, exec_lo, s14
	v_bfe_u32 v9, v11, 24, 2
	v_bfe_u32 v15, v11, 26, 5
	s_mov_b32 s14, exec_lo
	v_clz_i32_u32_e32 v0, v9
	s_delay_alu instid0(VALU_DEP_2) | instskip(NEXT) | instid1(VALU_DEP_2)
	v_cmp_eq_u32_e32 vcc_lo, 0, v15
	v_min_u32_e32 v13, 32, v0
	v_lshrrev_b32_e32 v0, 24, v11
	s_delay_alu instid0(VALU_DEP_2) | instskip(NEXT) | instid1(VALU_DEP_1)
	v_subrev_nc_u32_e32 v2, 29, v13
	v_lshlrev_b64_e32 v[2:3], v2, v[0:1]
	v_sub_nc_u32_e32 v3, 30, v13
	v_and_b32_e32 v13, 0x80000000, v11
	s_delay_alu instid0(VALU_DEP_2) | instskip(NEXT) | instid1(VALU_DEP_1)
	v_dual_cndmask_b32 v3, v15, v3, vcc_lo :: v_dual_bitop2_b32 v2, 3, v2 bitop3:0x40
	v_lshl_add_u32 v3, v3, 23, v13
	s_delay_alu instid0(VALU_DEP_2) | instskip(SKIP_1) | instid1(VALU_DEP_2)
	v_dual_cndmask_b32 v2, v9, v2 :: v_dual_mov_b32 v13, 0x7f800000
	v_cmp_lt_i64_e32 vcc_lo, -1, v[10:11]
	v_lshl_or_b32 v2, v2, 21, v3
	v_and_b32_e32 v3, 0x7c000000, v11
	s_delay_alu instid0(VALU_DEP_4) | instskip(SKIP_1) | instid1(VALU_DEP_4)
	v_cndmask_b32_e32 v13, 0xff800000, v13, vcc_lo
	v_cmp_eq_u32_e32 vcc_lo, 0, v9
	v_add_nc_u32_e32 v2, 0x38000000, v2
	s_delay_alu instid0(VALU_DEP_3) | instskip(SKIP_1) | instid1(VALU_DEP_2)
	v_cndmask_b32_e32 v9, 0x7f800001, v13, vcc_lo
	v_cmp_eq_u32_e32 vcc_lo, 0x7c000000, v3
	v_cndmask_b32_e32 v2, v2, v9, vcc_lo
	v_cmp_ne_u32_e32 vcc_lo, 0x80, v0
	s_delay_alu instid0(VALU_DEP_2) | instskip(SKIP_2) | instid1(VALU_DEP_3)
	v_cndmask_b32_e32 v0, 0x80000000, v2, vcc_lo
	v_cmp_lt_u64_e32 vcc_lo, s[22:23], v[10:11]
	v_mov_b32_e32 v11, v21
                                        ; implicit-def: $vgpr2
	v_cndmask_b32_e32 v0, 0, v0, vcc_lo
	s_delay_alu instid0(VALU_DEP_1) | instskip(NEXT) | instid1(VALU_DEP_1)
	v_dual_mul_f32 v3, v0, v1 :: v_dual_mov_b32 v1, v21
	v_lshrrev_b32_e32 v9, 24, v3
	v_and_b32_e32 v10, 0x7f800000, v3
	v_and_b32_e32 v0, 0x7fffff, v3
	s_delay_alu instid0(VALU_DEP_2)
	v_cmpx_ne_u64_e32 0x7f800000, v[10:11]
	s_xor_b32 s15, exec_lo, s14
	s_cbranch_execz .LBB6_8276
; %bb.8263:                             ;   in Loop: Header=BB6_7730 Depth=3
	v_and_b32_e32 v10, 0x7fffffff, v3
	v_mov_b32_e32 v11, v21
	v_and_b32_e32 v9, 0x80, v9
                                        ; implicit-def: $vgpr2
	s_mov_b32 s14, exec_lo
	s_delay_alu instid0(VALU_DEP_2)
	v_cmpx_gt_u64_e32 0x47600001, v[10:11]
	s_xor_b32 s42, exec_lo, s14
	s_cbranch_execz .LBB6_8273
; %bb.8264:                             ;   in Loop: Header=BB6_7730 Depth=3
	v_mov_b32_e32 v2, 0
	s_mov_b32 s43, exec_lo
	v_cmpx_ne_u32_e32 0, v3
	s_cbranch_execz .LBB6_8272
; %bb.8265:                             ;   in Loop: Header=BB6_7730 Depth=3
	v_bfe_u32 v10, v3, 23, 8
	v_or_b32_e32 v13, 0x800000, v0
	s_delay_alu instid0(VALU_DEP_2) | instskip(SKIP_1) | instid1(VALU_DEP_2)
	v_sub_nc_u32_e32 v2, 0x71, v10
	v_cmp_gt_u32_e32 vcc_lo, 0x72, v10
	v_cndmask_b32_e32 v2, 0, v2, vcc_lo
	v_cmp_eq_u32_e32 vcc_lo, 0, v10
	s_delay_alu instid0(VALU_DEP_2) | instskip(NEXT) | instid1(VALU_DEP_1)
	v_cndmask_b32_e64 v11, v2, 0x70, vcc_lo
	v_dual_cndmask_b32 v0, v13, v0, vcc_lo :: v_dual_add_nc_u32 v2, 21, v11
	v_add_nc_u32_e32 v15, 20, v11
	s_delay_alu instid0(VALU_DEP_2) | instskip(NEXT) | instid1(VALU_DEP_2)
	v_lshlrev_b64_e64 v[2:3], v2, -1
	v_lshlrev_b64_e64 v[48:49], v15, 1
	s_delay_alu instid0(VALU_DEP_2) | instskip(SKIP_1) | instid1(VALU_DEP_4)
	v_bfi_b32 v2, v2, 0, v0
	v_lshrrev_b64 v[0:1], v11, v[0:1]
	v_bfi_b32 v3, v3, 0, 0
	s_delay_alu instid0(VALU_DEP_1) | instskip(NEXT) | instid1(VALU_DEP_3)
	v_cmp_eq_u64_e64 s14, v[2:3], v[48:49]
	v_mov_b64_e32 v[2:3], v[0:1]
	s_and_saveexec_b32 s75, s14
; %bb.8266:                             ;   in Loop: Header=BB6_7730 Depth=3
	v_bfe_u32 v2, v0, 21, 1
	v_mov_b32_e32 v3, v21
	s_delay_alu instid0(VALU_DEP_1) | instskip(NEXT) | instid1(VALU_DEP_1)
	v_add_nc_u64_e32 v[2:3], v[0:1], v[2:3]
	v_add_nc_u64_e32 v[2:3], -1, v[2:3]
; %bb.8267:                             ;   in Loop: Header=BB6_7730 Depth=3
	s_or_b32 exec_lo, exec_lo, s75
	v_add_nc_u32_e32 v1, 0xffffff81, v10
	v_lshrrev_b32_e32 v3, 23, v0
	s_mov_b32 s14, exec_lo
	s_delay_alu instid0(VALU_DEP_2) | instskip(NEXT) | instid1(VALU_DEP_1)
	v_cndmask_b32_e64 v1, v1, 0xffffff82, vcc_lo
	v_add3_u32 v3, v11, v1, v3
	v_and_b32_e32 v1, 0x1fffff, v2
                                        ; implicit-def: $vgpr2
	s_delay_alu instid0(VALU_DEP_1) | instskip(SKIP_1) | instid1(VALU_DEP_2)
	v_dual_add_nc_u32 v10, 14, v3 :: v_dual_add_nc_u32 v0, v1, v0
	v_mov_b32_e32 v1, v21
	v_cmpx_ne_u32_e32 0, v10
	s_xor_b32 s14, exec_lo, s14
; %bb.8268:                             ;   in Loop: Header=BB6_7730 Depth=3
	s_delay_alu instid0(VALU_DEP_2) | instskip(SKIP_2) | instid1(VALU_DEP_2)
	v_cmp_lt_u64_e32 vcc_lo, 0xffffff, v[0:1]
	v_add_nc_u32_e32 v2, 15, v3
	v_cndmask_b32_e64 v3, 0, 1, vcc_lo
	v_cndmask_b32_e32 v2, v10, v2, vcc_lo
	s_delay_alu instid0(VALU_DEP_2)
	v_lshrrev_b64 v[0:1], v3, v[0:1]
; %bb.8269:                             ;   in Loop: Header=BB6_7730 Depth=3
	s_and_not1_saveexec_b32 s14, s14
; %bb.8270:                             ;   in Loop: Header=BB6_7730 Depth=3
	s_delay_alu instid0(VALU_DEP_1)
	v_bfe_u32 v2, v0, 23, 1
; %bb.8271:                             ;   in Loop: Header=BB6_7730 Depth=3
	s_or_b32 exec_lo, exec_lo, s14
	s_delay_alu instid0(VALU_DEP_2) | instskip(NEXT) | instid1(VALU_DEP_2)
	v_lshrrev_b64 v[0:1], 21, v[0:1]
	v_cmp_gt_i32_e32 vcc_lo, 32, v2
	v_min_i32_e32 v3, 31, v2
	v_cmp_eq_u32_e64 s14, 0, v2
	s_delay_alu instid0(VALU_DEP_2) | instskip(SKIP_1) | instid1(VALU_DEP_2)
	v_dual_cndmask_b32 v1, 0, v1, vcc_lo :: v_dual_lshlrev_b32 v3, 2, v3
	v_cndmask_b32_e32 v0, 3, v0, vcc_lo
	v_and_b32_e32 v3, 0xfc, v3
	s_delay_alu instid0(VALU_DEP_2) | instskip(NEXT) | instid1(VALU_DEP_2)
	v_cmp_eq_u64_e32 vcc_lo, 0, v[0:1]
	v_and_or_b32 v0, v0, 3, v3
	s_and_b32 s14, s14, vcc_lo
	s_delay_alu instid0(VALU_DEP_1) | instid1(SALU_CYCLE_1)
	v_cndmask_b32_e64 v0, v0, 0, s14
	s_delay_alu instid0(VALU_DEP_1)
	v_or_b32_e32 v2, v0, v9
.LBB6_8272:                             ;   in Loop: Header=BB6_7730 Depth=3
	s_or_b32 exec_lo, exec_lo, s43
                                        ; implicit-def: $vgpr9
.LBB6_8273:                             ;   in Loop: Header=BB6_7730 Depth=3
	s_and_not1_saveexec_b32 s14, s42
; %bb.8274:                             ;   in Loop: Header=BB6_7730 Depth=3
	v_or_b32_e32 v2, 0x7b, v9
; %bb.8275:                             ;   in Loop: Header=BB6_7730 Depth=3
	s_or_b32 exec_lo, exec_lo, s14
                                        ; implicit-def: $vgpr3
                                        ; implicit-def: $vgpr0_vgpr1
                                        ; implicit-def: $vgpr9
.LBB6_8276:                             ;   in Loop: Header=BB6_7730 Depth=3
	s_and_not1_saveexec_b32 s14, s15
	s_cbranch_execz .LBB6_8282
; %bb.8277:                             ;   in Loop: Header=BB6_7730 Depth=3
	s_mov_b32 s15, exec_lo
                                        ; implicit-def: $vgpr2
	v_cmpx_ne_u64_e32 0, v[0:1]
	s_xor_b32 s15, exec_lo, s15
; %bb.8278:                             ;   in Loop: Header=BB6_7730 Depth=3
	v_or_b32_e32 v2, 0x7f, v9
                                        ; implicit-def: $vgpr3
; %bb.8279:                             ;   in Loop: Header=BB6_7730 Depth=3
	s_and_not1_saveexec_b32 s15, s15
; %bb.8280:                             ;   in Loop: Header=BB6_7730 Depth=3
	v_cmp_lt_i32_e32 vcc_lo, -1, v3
	v_mov_b32_e32 v0, 0x7c
	s_delay_alu instid0(VALU_DEP_1)
	v_cndmask_b32_e32 v2, 0xfc, v0, vcc_lo
; %bb.8281:                             ;   in Loop: Header=BB6_7730 Depth=3
	s_or_b32 exec_lo, exec_lo, s15
.LBB6_8282:                             ;   in Loop: Header=BB6_7730 Depth=3
	s_delay_alu instid0(SALU_CYCLE_1)
	s_or_b32 exec_lo, exec_lo, s14
	v_lshl_or_b32 v0, v22, 8, v24
	v_dual_lshlrev_b32 v1, 16, v23 :: v_dual_lshlrev_b32 v3, 24, v25
	v_lshl_or_b32 v10, v32, 8, v31
	v_dual_lshlrev_b32 v11, 16, v33 :: v_dual_lshlrev_b32 v13, 24, v34
	;; [unrolled: 2-line block ×3, first 2 shown]
	v_dual_lshlrev_b32 v2, 24, v2 :: v_dual_lshlrev_b32 v24, 16, v8
	v_lshl_or_b32 v12, v12, 8, v14
	v_or3_b32 v9, v0, v1, v3
	v_or3_b32 v8, v10, v11, v13
	;; [unrolled: 1-line block ×3, first 2 shown]
	s_mov_b64 s[42:43], 0
	v_or3_b32 v11, v12, v24, v2
	s_mov_b32 s75, -1
.LBB6_8283:                             ;   Parent Loop BB6_47 Depth=1
                                        ;     Parent Loop BB6_5083 Depth=2
                                        ;       Parent Loop BB6_7730 Depth=3
                                        ; =>      This Inner Loop Header: Depth=4
	s_cmp_eq_u32 s42, 1
	s_cselect_b32 vcc_lo, -1, 0
	s_cmp_eq_u32 s42, 0
	s_wait_xcnt 0x0
	v_dual_cndmask_b32 v1, v5, v7 :: v_dual_cndmask_b32 v0, v4, v6
	s_cselect_b32 s14, -1, 0
	s_and_b32 s15, exec_lo, s75
	s_mov_b64 s[42:43], 1
	s_mov_b32 s75, 0
	v_add_nc_u64_e32 v[2:3], 0x200, v[0:1]
	global_store_b128 v[0:1], v[8:11], off th:TH_STORE_NT
	v_dual_cndmask_b32 v7, v7, v3 :: v_dual_cndmask_b32 v6, v6, v2
	v_dual_cndmask_b32 v5, v5, v3, s14 :: v_dual_cndmask_b32 v4, v4, v2, s14
	s_mov_b32 vcc_lo, s15
	s_cbranch_vccnz .LBB6_8283
; %bb.8284:                             ;   in Loop: Header=BB6_7730 Depth=3
	scratch_load_b64 v[0:1], off, s33 offset:188 ; 8-byte Folded Reload
	v_sub_nc_u32_e32 v20, v20, v46
	v_add_nc_u64_e32 v[16:17], v[16:17], v[78:79]
	v_add_nc_u64_e32 v[18:19], v[18:19], v[78:79]
	;; [unrolled: 1-line block ×4, first 2 shown]
	s_wait_loadcnt 0x0
	v_sub_nc_u32_e32 v30, v30, v0
	v_cmp_gt_i32_e32 vcc_lo, 16, v20
	s_or_b32 s74, vcc_lo, s74
	s_wait_xcnt 0x0
	s_and_not1_b32 exec_lo, exec_lo, s74
	s_cbranch_execnz .LBB6_7730
	s_branch .LBB6_8309
.LBB6_8285:                             ;   in Loop: Header=BB6_7730 Depth=3
	s_or_saveexec_b32 s14, s14
	v_bfrev_b32_e32 v13, 1
	s_xor_b32 exec_lo, exec_lo, s14
	s_cbranch_execz .LBB6_7744
.LBB6_8286:                             ;   in Loop: Header=BB6_7730 Depth=3
	v_cmp_ne_u16_e32 vcc_lo, 0, v14
	v_mov_b32_e32 v13, 0
	s_and_not1_b32 s15, s15, exec_lo
	s_and_b32 s42, vcc_lo, exec_lo
	s_delay_alu instid0(SALU_CYCLE_1)
	s_or_b32 s15, s15, s42
	s_or_b32 exec_lo, exec_lo, s14
	s_and_saveexec_b32 s14, s15
	s_cbranch_execnz .LBB6_7745
	s_branch .LBB6_7746
.LBB6_8287:                             ;   in Loop: Header=BB6_7730 Depth=3
	s_or_saveexec_b32 s14, s14
	v_bfrev_b32_e32 v13, 1
	s_xor_b32 exec_lo, exec_lo, s14
	s_cbranch_execz .LBB6_7780
.LBB6_8288:                             ;   in Loop: Header=BB6_7730 Depth=3
	v_cmp_ne_u16_e32 vcc_lo, 0, v12
	v_mov_b32_e32 v13, 0
	s_and_not1_b32 s15, s15, exec_lo
	s_and_b32 s42, vcc_lo, exec_lo
	s_delay_alu instid0(SALU_CYCLE_1)
	s_or_b32 s15, s15, s42
	s_or_b32 exec_lo, exec_lo, s14
	s_and_saveexec_b32 s14, s15
	s_cbranch_execnz .LBB6_7781
	s_branch .LBB6_7782
.LBB6_8289:                             ;   in Loop: Header=BB6_7730 Depth=3
	s_or_saveexec_b32 s14, s14
	v_bfrev_b32_e32 v14, 1
	s_xor_b32 exec_lo, exec_lo, s14
	s_cbranch_execz .LBB6_7816
.LBB6_8290:                             ;   in Loop: Header=BB6_7730 Depth=3
	v_cmp_ne_u16_e32 vcc_lo, 0, v15
	v_mov_b32_e32 v14, 0
	s_and_not1_b32 s15, s15, exec_lo
	s_and_b32 s42, vcc_lo, exec_lo
	s_delay_alu instid0(SALU_CYCLE_1)
	s_or_b32 s15, s15, s42
	s_or_b32 exec_lo, exec_lo, s14
	s_and_saveexec_b32 s14, s15
	s_cbranch_execnz .LBB6_7817
	s_branch .LBB6_7818
.LBB6_8291:                             ;   in Loop: Header=BB6_7730 Depth=3
	s_or_saveexec_b32 s14, s14
	v_bfrev_b32_e32 v15, 1
	s_xor_b32 exec_lo, exec_lo, s14
	s_cbranch_execz .LBB6_7882
.LBB6_8292:                             ;   in Loop: Header=BB6_7730 Depth=3
	v_cmp_ne_u16_e32 vcc_lo, 0, v13
	v_mov_b32_e32 v15, 0
	s_and_not1_b32 s15, s15, exec_lo
	s_and_b32 s42, vcc_lo, exec_lo
	s_delay_alu instid0(SALU_CYCLE_1)
	s_or_b32 s15, s15, s42
	s_or_b32 exec_lo, exec_lo, s14
	v_mov_b32_e32 v13, v21
	s_and_saveexec_b32 s14, s15
	s_cbranch_execnz .LBB6_7883
	s_branch .LBB6_7884
.LBB6_8293:                             ;   in Loop: Header=BB6_7730 Depth=3
	s_or_saveexec_b32 s14, s14
	v_bfrev_b32_e32 v15, 1
	s_xor_b32 exec_lo, exec_lo, s14
	s_cbranch_execz .LBB6_7918
.LBB6_8294:                             ;   in Loop: Header=BB6_7730 Depth=3
	v_cmp_ne_u16_e32 vcc_lo, 0, v14
	v_mov_b32_e32 v15, 0
	s_and_not1_b32 s15, s15, exec_lo
	s_and_b32 s42, vcc_lo, exec_lo
	s_delay_alu instid0(SALU_CYCLE_1)
	s_or_b32 s15, s15, s42
	s_or_b32 exec_lo, exec_lo, s14
	s_and_saveexec_b32 s14, s15
	s_cbranch_execnz .LBB6_7919
	s_branch .LBB6_7920
.LBB6_8295:                             ;   in Loop: Header=BB6_7730 Depth=3
	s_or_saveexec_b32 s14, s14
	v_bfrev_b32_e32 v14, 1
	s_xor_b32 exec_lo, exec_lo, s14
	s_cbranch_execz .LBB6_7954
.LBB6_8296:                             ;   in Loop: Header=BB6_7730 Depth=3
	v_cmp_ne_u16_e32 vcc_lo, 0, v15
	v_mov_b32_e32 v14, 0
	s_and_not1_b32 s15, s15, exec_lo
	s_and_b32 s42, vcc_lo, exec_lo
	s_delay_alu instid0(SALU_CYCLE_1)
	s_or_b32 s15, s15, s42
	s_or_b32 exec_lo, exec_lo, s14
	s_and_saveexec_b32 s14, s15
	s_cbranch_execnz .LBB6_7955
	s_branch .LBB6_7956
.LBB6_8297:                             ;   in Loop: Header=BB6_7730 Depth=3
	s_or_saveexec_b32 s14, s14
	v_bfrev_b32_e32 v1, 1
	s_xor_b32 exec_lo, exec_lo, s14
	s_cbranch_execz .LBB6_8020
.LBB6_8298:                             ;   in Loop: Header=BB6_7730 Depth=3
	v_cmp_ne_u16_e32 vcc_lo, 0, v8
	v_mov_b32_e32 v1, 0
	s_and_not1_b32 s15, s15, exec_lo
	s_and_b32 s42, vcc_lo, exec_lo
	s_delay_alu instid0(SALU_CYCLE_1)
	s_or_b32 s15, s15, s42
	s_or_b32 exec_lo, exec_lo, s14
	s_and_saveexec_b32 s14, s15
	s_cbranch_execnz .LBB6_8021
	s_branch .LBB6_8022
.LBB6_8299:                             ;   in Loop: Header=BB6_7730 Depth=3
	s_or_saveexec_b32 s14, s14
	v_bfrev_b32_e32 v1, 1
	s_xor_b32 exec_lo, exec_lo, s14
	s_cbranch_execz .LBB6_8056
.LBB6_8300:                             ;   in Loop: Header=BB6_7730 Depth=3
	v_cmp_ne_u16_e32 vcc_lo, 0, v0
	v_mov_b32_e32 v1, 0
	s_and_not1_b32 s15, s15, exec_lo
	s_and_b32 s42, vcc_lo, exec_lo
	s_delay_alu instid0(SALU_CYCLE_1)
	s_or_b32 s15, s15, s42
	s_or_b32 exec_lo, exec_lo, s14
	s_and_saveexec_b32 s14, s15
	s_cbranch_execnz .LBB6_8057
	s_branch .LBB6_8058
.LBB6_8301:                             ;   in Loop: Header=BB6_7730 Depth=3
	s_or_saveexec_b32 s14, s14
	v_bfrev_b32_e32 v8, 1
	s_xor_b32 exec_lo, exec_lo, s14
	s_cbranch_execz .LBB6_8092
.LBB6_8302:                             ;   in Loop: Header=BB6_7730 Depth=3
	v_cmp_ne_u16_e32 vcc_lo, 0, v9
	v_mov_b32_e32 v8, 0
	s_and_not1_b32 s15, s15, exec_lo
	s_and_b32 s42, vcc_lo, exec_lo
	s_delay_alu instid0(SALU_CYCLE_1)
	s_or_b32 s15, s15, s42
	s_or_b32 exec_lo, exec_lo, s14
	s_and_saveexec_b32 s14, s15
	s_cbranch_execnz .LBB6_8093
	s_branch .LBB6_8094
.LBB6_8303:                             ;   in Loop: Header=BB6_7730 Depth=3
	s_or_saveexec_b32 s14, s14
	v_bfrev_b32_e32 v9, 1
	s_xor_b32 exec_lo, exec_lo, s14
	s_cbranch_execz .LBB6_8158
.LBB6_8304:                             ;   in Loop: Header=BB6_7730 Depth=3
	v_cmp_ne_u16_e32 vcc_lo, 0, v1
	v_mov_b32_e32 v9, 0
	s_and_not1_b32 s15, s15, exec_lo
	s_and_b32 s42, vcc_lo, exec_lo
	s_delay_alu instid0(SALU_CYCLE_1)
	s_or_b32 s15, s15, s42
	s_or_b32 exec_lo, exec_lo, s14
	v_mov_b32_e32 v1, v21
	s_and_saveexec_b32 s14, s15
	s_cbranch_execnz .LBB6_8159
	s_branch .LBB6_8160
.LBB6_8305:                             ;   in Loop: Header=BB6_7730 Depth=3
	s_or_saveexec_b32 s14, s14
	v_bfrev_b32_e32 v9, 1
	s_xor_b32 exec_lo, exec_lo, s14
	s_cbranch_execz .LBB6_8194
.LBB6_8306:                             ;   in Loop: Header=BB6_7730 Depth=3
	v_cmp_ne_u16_e32 vcc_lo, 0, v8
	v_mov_b32_e32 v9, 0
	s_and_not1_b32 s15, s15, exec_lo
	s_and_b32 s42, vcc_lo, exec_lo
	s_delay_alu instid0(SALU_CYCLE_1)
	s_or_b32 s15, s15, s42
	s_or_b32 exec_lo, exec_lo, s14
	s_and_saveexec_b32 s14, s15
	s_cbranch_execnz .LBB6_8195
	s_branch .LBB6_8196
.LBB6_8307:                             ;   in Loop: Header=BB6_7730 Depth=3
	s_or_saveexec_b32 s14, s14
	v_bfrev_b32_e32 v8, 1
	s_xor_b32 exec_lo, exec_lo, s14
	s_cbranch_execz .LBB6_8230
.LBB6_8308:                             ;   in Loop: Header=BB6_7730 Depth=3
	v_cmp_ne_u16_e32 vcc_lo, 0, v9
	v_mov_b32_e32 v8, 0
	s_and_not1_b32 s15, s15, exec_lo
	s_and_b32 s42, vcc_lo, exec_lo
	s_delay_alu instid0(SALU_CYCLE_1)
	s_or_b32 s15, s15, s42
	s_or_b32 exec_lo, exec_lo, s14
	s_and_saveexec_b32 s14, s15
	s_cbranch_execnz .LBB6_8231
	s_branch .LBB6_8232
.LBB6_8309:                             ;   in Loop: Header=BB6_5083 Depth=2
	s_or_b32 exec_lo, exec_lo, s74
.LBB6_8310:                             ;   in Loop: Header=BB6_5083 Depth=2
	s_delay_alu instid0(SALU_CYCLE_1)
	s_or_b32 exec_lo, exec_lo, s73
	scratch_load_b32 v0, off, s33 offset:296 ; 4-byte Folded Reload
	s_mov_b32 s14, 0
	s_mov_b32 s15, exec_lo
                                        ; implicit-def: $vgpr4
	s_wait_loadcnt 0x0
	v_dual_mov_b32 v6, 0 :: v_dual_bitop2_b32 v1, 15, v0 bitop3:0x40
                                        ; implicit-def: $vgpr0
	s_delay_alu instid0(VALU_DEP_1) | instskip(SKIP_1) | instid1(VALU_DEP_1)
	v_cndmask_b32_e64 v20, v29, v1, s13
	s_wait_xcnt 0x0
	v_cmpx_ne_u32_e32 0, v20
	s_cbranch_execz .LBB6_8312
; %bb.8311:                             ;   in Loop: Header=BB6_5083 Depth=2
	scratch_load_b64 v[2:3], off, s33 offset:188 ; 8-byte Folded Reload
	v_cmp_lt_i32_e32 vcc_lo, 0, v30
	s_mov_b32 s14, exec_lo
	v_sub_nc_u32_e32 v1, v29, v1
	s_delay_alu instid0(VALU_DEP_1) | instskip(NEXT) | instid1(VALU_DEP_1)
	v_cndmask_b32_e64 v1, 0, v1, s13
	v_add3_u32 v6, v27, v26, v1
	s_wait_loadcnt 0x0
	v_cndmask_b32_e32 v0, 0, v2, vcc_lo
	s_delay_alu instid0(VALU_DEP_1) | instskip(NEXT) | instid1(VALU_DEP_1)
	v_sub_nc_u32_e32 v0, v0, v30
	v_lshl_add_u32 v4, v0, 5, v28
	s_delay_alu instid0(VALU_DEP_1) | instskip(NEXT) | instid1(VALU_DEP_1)
	v_ashrrev_i32_e32 v0, 31, v4
	v_lshrrev_b32_e32 v0, 27, v0
	s_delay_alu instid0(VALU_DEP_1) | instskip(NEXT) | instid1(VALU_DEP_1)
	v_add_nc_u32_e32 v0, v4, v0
	v_ashrrev_i32_e32 v0, 5, v0
.LBB6_8312:                             ;   in Loop: Header=BB6_5083 Depth=2
	s_wait_xcnt 0x0
	s_or_b32 exec_lo, exec_lo, s15
	s_delay_alu instid0(SALU_CYCLE_1)
	s_and_b32 s13, s14, exec_lo
.LBB6_8313:                             ;   in Loop: Header=BB6_5083 Depth=2
	s_or_b32 exec_lo, exec_lo, s72
	scratch_load_b64 v[26:27], off, s33 offset:188 ; 8-byte Folded Reload
	s_wait_xcnt 0x0
	s_and_saveexec_b32 s15, s13
	s_cbranch_execz .LBB6_9776
.LBB6_8314:                             ;   in Loop: Header=BB6_5083 Depth=2
	s_wait_loadcnt 0x0
	v_ashrrev_i32_e32 v1, 31, v20
	s_mov_b32 s14, exec_lo
	s_delay_alu instid0(VALU_DEP_1) | instskip(NEXT) | instid1(VALU_DEP_1)
	v_lshrrev_b32_e32 v1, 22, v1
	v_add_nc_u32_e32 v1, v20, v1
	s_delay_alu instid0(VALU_DEP_1) | instskip(NEXT) | instid1(VALU_DEP_1)
	v_dual_ashrrev_i32 v2, 10, v1 :: v_dual_ashrrev_i32 v1, 31, v4
	v_dual_sub_nc_u32 v126, v2, v0 :: v_dual_lshrrev_b32 v1, 27, v1
	s_delay_alu instid0(VALU_DEP_1)
	v_cmpx_lt_i32_e32 0, v126
	s_cbranch_execz .LBB6_9726
; %bb.8315:                             ;   in Loop: Header=BB6_5083 Depth=2
	s_clause 0x7
	scratch_store_b32 off, v2, s33 offset:536
	scratch_store_b64 off, v[106:107], s33 offset:328
	scratch_store_b64 off, v[90:91], s33 offset:320
	;; [unrolled: 1-line block ×5, first 2 shown]
	scratch_store_b32 off, v81, s33 offset:268
	scratch_store_b32 off, v1, s33 offset:532
	s_wait_xcnt 0x0
	v_add_nc_u32_e32 v1, v4, v1
	s_trap 2
	ds_load_b64 v[2:3], v0
	v_lshlrev_b32_e32 v0, 10, v0
	s_clause 0x1
	scratch_store_b32 off, v4, s33 offset:516
	scratch_store_b32 off, v6, s33 offset:512
	v_and_b32_e32 v1, 0xffffffe0, v1
	s_mov_b32 s42, 0
	s_delay_alu instid0(VALU_DEP_1) | instskip(SKIP_2) | instid1(VALU_DEP_1)
	v_sub_nc_u32_e32 v1, v4, v1
	scratch_load_b64 v[4:5], off, s33 offset:304 ; 8-byte Folded Reload
	v_add3_u32 v0, v6, v1, v0
	v_ashrrev_i32_e32 v1, 31, v0
	s_delay_alu instid0(VALU_DEP_1)
	v_add_nc_u64_e32 v[10:11], v[0:1], v[92:93]
	s_wait_dscnt 0x0
	v_add_nc_u64_e32 v[76:77], v[2:3], v[0:1]
	s_wait_loadcnt 0x0
	v_add_nc_u64_e32 v[8:9], v[0:1], v[4:5]
	scratch_load_b64 v[4:5], off, s33 offset:312 ; 8-byte Folded Reload
	s_wait_loadcnt 0x0
	v_add_nc_u64_e32 v[12:13], v[0:1], v[4:5]
	s_branch .LBB6_8318
.LBB6_8316:                             ;   in Loop: Header=BB6_8318 Depth=3
	s_or_b32 exec_lo, exec_lo, s43
.LBB6_8317:                             ;   in Loop: Header=BB6_8318 Depth=3
	s_delay_alu instid0(SALU_CYCLE_1)
	s_or_b32 exec_lo, exec_lo, s13
	s_clause 0x1f
	flat_store_b8 v[8:9], v26 th:TH_STORE_NT
	flat_store_b8 v[8:9], v22 offset:32 th:TH_STORE_NT
	flat_store_b8 v[8:9], v16 offset:64 th:TH_STORE_NT
	;; [unrolled: 1-line block ×31, first 2 shown]
	s_clause 0x17
	flat_store_b8 v[10:11], v26 th:TH_STORE_NT
	flat_store_b8 v[10:11], v22 offset:32 th:TH_STORE_NT
	flat_store_b8 v[10:11], v16 offset:64 th:TH_STORE_NT
	;; [unrolled: 1-line block ×23, first 2 shown]
	scratch_load_b64 v[26:27], off, s33 offset:188 ; 8-byte Folded Reload
	s_clause 0x7
	flat_store_b8 v[10:11], v52 offset:768 th:TH_STORE_NT
	flat_store_b8 v[10:11], v53 offset:800 th:TH_STORE_NT
	;; [unrolled: 1-line block ×8, first 2 shown]
	scratch_load_b64 v[0:1], off, s33 offset:244 ; 8-byte Folded Reload
	s_wait_loadcnt 0x1
	v_sub_nc_u32_e32 v126, v126, v26
	s_wait_loadcnt 0x0
	v_add_nc_u64_e32 v[12:13], v[12:13], v[0:1]
	v_add_nc_u64_e32 v[76:77], v[76:77], v[0:1]
	;; [unrolled: 1-line block ×3, first 2 shown]
	v_cmp_gt_i32_e32 vcc_lo, 1, v126
	s_wait_xcnt 0x1
	v_add_nc_u64_e32 v[10:11], v[10:11], v[0:1]
	s_or_b32 s42, vcc_lo, s42
	s_wait_xcnt 0x0
	s_and_not1_b32 exec_lo, exec_lo, s42
	s_cbranch_execz .LBB6_9725
.LBB6_8318:                             ;   Parent Loop BB6_47 Depth=1
                                        ;     Parent Loop BB6_5083 Depth=2
                                        ; =>    This Inner Loop Header: Depth=3
	s_clause 0x1d
	flat_load_i8 v26, v[12:13] th:TH_LOAD_NT
	flat_load_i8 v22, v[12:13] offset:32 th:TH_LOAD_NT
	flat_load_i8 v16, v[12:13] offset:64 th:TH_LOAD_NT
	;; [unrolled: 1-line block ×29, first 2 shown]
	s_mov_b32 s43, exec_lo
	v_mov_b32_e32 v3, 0
	s_wait_loadcnt_dscnt 0x0
	scratch_store_b64 off, v[0:1], s33 offset:236 ; 8-byte Folded Spill
	flat_load_i8 v0, v[12:13] offset:960 th:TH_LOAD_NT
	s_wait_loadcnt_dscnt 0x0
	scratch_store_b64 off, v[0:1], s33 offset:220 ; 8-byte Folded Spill
	flat_load_i8 v0, v[12:13] offset:992 th:TH_LOAD_NT
	s_wait_loadcnt_dscnt 0x0
	scratch_store_b64 off, v[0:1], s33 offset:204 ; 8-byte Folded Spill
	s_clause 0x1c
	flat_load_i8 v24, v[76:77] th:TH_LOAD_NT
	flat_load_i8 v18, v[76:77] offset:32 th:TH_LOAD_NT
	flat_load_i8 v14, v[76:77] offset:64 th:TH_LOAD_NT
	;; [unrolled: 1-line block ×28, first 2 shown]
	v_mov_b32_e32 v1, 0
	s_wait_loadcnt_dscnt 0x0
	scratch_store_b64 off, v[32:33], s33 offset:260 ; 8-byte Folded Spill
	flat_load_i8 v32, v[76:77] offset:928 th:TH_LOAD_NT
	s_wait_loadcnt_dscnt 0x0
	scratch_store_b64 off, v[32:33], s33 offset:228 ; 8-byte Folded Spill
	flat_load_i8 v32, v[76:77] offset:960 th:TH_LOAD_NT
	;; [unrolled: 3-line block ×3, first 2 shown]
	s_wait_loadcnt_dscnt 0x0
	scratch_store_b64 off, v[32:33], s33 offset:196 ; 8-byte Folded Spill
	s_wait_xcnt 0x0
	v_cmpx_ne_u16_e32 0, v26
	s_cbranch_execz .LBB6_8328
; %bb.8319:                             ;   in Loop: Header=BB6_8318 Depth=3
	v_bfrev_b32_e32 v3, 1
	s_mov_b32 s72, exec_lo
	v_cmpx_ne_u16_e32 0xff80, v26
	s_cbranch_execz .LBB6_8327
; %bb.8320:                             ;   in Loop: Header=BB6_8318 Depth=3
	v_and_b32_e32 v3, 0x7c, v26
	v_and_b32_e32 v5, 3, v26
	s_delay_alu instid0(VALU_DEP_2) | instskip(SKIP_1) | instid1(SALU_CYCLE_1)
	v_cmp_ne_u32_e32 vcc_lo, 0x7c, v3
                                        ; implicit-def: $vgpr3
	s_and_saveexec_b32 s13, vcc_lo
	s_xor_b32 s13, exec_lo, s13
	s_cbranch_execz .LBB6_8324
; %bb.8321:                             ;   in Loop: Header=BB6_8318 Depth=3
	v_and_b32_e32 v3, 0xff, v26
	s_mov_b32 s73, exec_lo
	s_delay_alu instid0(VALU_DEP_1) | instskip(NEXT) | instid1(VALU_DEP_1)
	v_bfe_u32 v3, v3, 2, 5
	v_cmpx_eq_u32_e32 0, v3
	s_cbranch_execz .LBB6_8323
; %bb.8322:                             ;   in Loop: Header=BB6_8318 Depth=3
	v_clz_i32_u32_e32 v3, v5
	s_delay_alu instid0(VALU_DEP_1) | instskip(SKIP_1) | instid1(VALU_DEP_2)
	v_min_u32_e32 v3, 32, v3
	v_mov_b32_e32 v27, v21
	v_subrev_nc_u32_e32 v5, 29, v3
	v_sub_nc_u32_e32 v3, 30, v3
	s_delay_alu instid0(VALU_DEP_2) | instskip(NEXT) | instid1(VALU_DEP_1)
	v_lshlrev_b64_e32 v[32:33], v5, v[26:27]
	v_and_b32_e32 v5, 3, v32
.LBB6_8323:                             ;   in Loop: Header=BB6_8318 Depth=3
	s_or_b32 exec_lo, exec_lo, s73
	v_bfe_i32 v7, v26, 0, 16
                                        ; implicit-def: $vgpr26
	s_delay_alu instid0(VALU_DEP_1) | instskip(NEXT) | instid1(VALU_DEP_1)
	v_and_b32_e32 v7, 0x80000000, v7
	v_lshl_add_u32 v3, v3, 23, v7
	s_delay_alu instid0(VALU_DEP_1) | instskip(NEXT) | instid1(VALU_DEP_1)
	v_lshl_or_b32 v3, v5, 21, v3
                                        ; implicit-def: $vgpr5
	v_add_nc_u32_e32 v3, 0x38000000, v3
.LBB6_8324:                             ;   in Loop: Header=BB6_8318 Depth=3
	s_and_not1_saveexec_b32 s73, s13
; %bb.8325:                             ;   in Loop: Header=BB6_8318 Depth=3
	v_cmp_lt_i16_e64 s13, -1, v26
	v_mov_b32_e32 v3, 0x7f800000
	v_cmp_eq_u32_e32 vcc_lo, 0, v5
	s_delay_alu instid0(VALU_DEP_2) | instskip(NEXT) | instid1(VALU_DEP_1)
	v_cndmask_b32_e64 v3, 0xff800000, v3, s13
	v_cndmask_b32_e32 v3, 0x7f800001, v3, vcc_lo
; %bb.8326:                             ;   in Loop: Header=BB6_8318 Depth=3
	s_or_b32 exec_lo, exec_lo, s73
.LBB6_8327:                             ;   in Loop: Header=BB6_8318 Depth=3
	s_delay_alu instid0(SALU_CYCLE_1)
	s_or_b32 exec_lo, exec_lo, s72
.LBB6_8328:                             ;   in Loop: Header=BB6_8318 Depth=3
	s_delay_alu instid0(SALU_CYCLE_1) | instskip(NEXT) | instid1(SALU_CYCLE_1)
	s_or_b32 exec_lo, exec_lo, s43
	s_mov_b32 s43, exec_lo
	v_cmpx_ne_u16_e32 0, v24
	s_cbranch_execz .LBB6_8338
; %bb.8329:                             ;   in Loop: Header=BB6_8318 Depth=3
	v_bfrev_b32_e32 v1, 1
	s_mov_b32 s72, exec_lo
	v_cmpx_ne_u16_e32 0xff80, v24
	s_cbranch_execz .LBB6_8337
; %bb.8330:                             ;   in Loop: Header=BB6_8318 Depth=3
	v_and_b32_e32 v1, 0x7c, v24
	v_and_b32_e32 v5, 3, v24
	s_delay_alu instid0(VALU_DEP_2) | instskip(SKIP_1) | instid1(SALU_CYCLE_1)
	v_cmp_ne_u32_e32 vcc_lo, 0x7c, v1
                                        ; implicit-def: $vgpr1
	s_and_saveexec_b32 s13, vcc_lo
	s_xor_b32 s13, exec_lo, s13
	s_cbranch_execz .LBB6_8334
; %bb.8331:                             ;   in Loop: Header=BB6_8318 Depth=3
	v_and_b32_e32 v1, 0xff, v24
	s_mov_b32 s73, exec_lo
	s_delay_alu instid0(VALU_DEP_1) | instskip(NEXT) | instid1(VALU_DEP_1)
	v_bfe_u32 v1, v1, 2, 5
	v_cmpx_eq_u32_e32 0, v1
	s_cbranch_execz .LBB6_8333
; %bb.8332:                             ;   in Loop: Header=BB6_8318 Depth=3
	v_clz_i32_u32_e32 v1, v5
	s_delay_alu instid0(VALU_DEP_1) | instskip(SKIP_1) | instid1(VALU_DEP_2)
	v_min_u32_e32 v1, 32, v1
	v_mov_b32_e32 v25, v21
	v_subrev_nc_u32_e32 v5, 29, v1
	v_sub_nc_u32_e32 v1, 30, v1
	s_delay_alu instid0(VALU_DEP_2) | instskip(NEXT) | instid1(VALU_DEP_1)
	v_lshlrev_b64_e32 v[26:27], v5, v[24:25]
	v_and_b32_e32 v5, 3, v26
.LBB6_8333:                             ;   in Loop: Header=BB6_8318 Depth=3
	s_or_b32 exec_lo, exec_lo, s73
	v_bfe_i32 v7, v24, 0, 16
                                        ; implicit-def: $vgpr24
	s_delay_alu instid0(VALU_DEP_1) | instskip(NEXT) | instid1(VALU_DEP_1)
	v_and_b32_e32 v7, 0x80000000, v7
	v_lshl_add_u32 v1, v1, 23, v7
	s_delay_alu instid0(VALU_DEP_1) | instskip(NEXT) | instid1(VALU_DEP_1)
	v_lshl_or_b32 v1, v5, 21, v1
                                        ; implicit-def: $vgpr5
	v_add_nc_u32_e32 v1, 0x38000000, v1
.LBB6_8334:                             ;   in Loop: Header=BB6_8318 Depth=3
	s_and_not1_saveexec_b32 s73, s13
; %bb.8335:                             ;   in Loop: Header=BB6_8318 Depth=3
	v_cmp_lt_i16_e64 s13, -1, v24
	v_mov_b32_e32 v1, 0x7f800000
	v_cmp_eq_u32_e32 vcc_lo, 0, v5
	s_delay_alu instid0(VALU_DEP_2) | instskip(NEXT) | instid1(VALU_DEP_1)
	v_cndmask_b32_e64 v1, 0xff800000, v1, s13
	v_cndmask_b32_e32 v1, 0x7f800001, v1, vcc_lo
; %bb.8336:                             ;   in Loop: Header=BB6_8318 Depth=3
	s_or_b32 exec_lo, exec_lo, s73
.LBB6_8337:                             ;   in Loop: Header=BB6_8318 Depth=3
	s_delay_alu instid0(SALU_CYCLE_1)
	s_or_b32 exec_lo, exec_lo, s72
.LBB6_8338:                             ;   in Loop: Header=BB6_8318 Depth=3
	s_delay_alu instid0(SALU_CYCLE_1) | instskip(NEXT) | instid1(VALU_DEP_1)
	s_or_b32 exec_lo, exec_lo, s43
	v_dual_mul_f32 v3, v3, v1 :: v_dual_mov_b32 v25, v21
                                        ; implicit-def: $vgpr26
	s_delay_alu instid0(VALU_DEP_1) | instskip(NEXT) | instid1(VALU_DEP_1)
	v_and_b32_e32 v24, 0x7f800000, v3
	v_cmp_ne_u64_e32 vcc_lo, 0x7f800000, v[24:25]
	v_and_b32_e32 v24, 0x7fffff, v3
	s_and_saveexec_b32 s13, vcc_lo
	s_delay_alu instid0(SALU_CYCLE_1)
	s_xor_b32 s43, exec_lo, s13
	s_cbranch_execz .LBB6_8356
; %bb.8339:                             ;   in Loop: Header=BB6_8318 Depth=3
	v_and_b32_e32 v26, 0x7fffffff, v3
	v_dual_mov_b32 v27, v21 :: v_dual_lshrrev_b32 v1, 24, v3
	s_delay_alu instid0(VALU_DEP_1) | instskip(NEXT) | instid1(VALU_DEP_2)
	v_cmp_gt_u64_e32 vcc_lo, 0x47600001, v[26:27]
	v_and_b32_e32 v1, 0x80, v1
                                        ; implicit-def: $vgpr26
	s_and_saveexec_b32 s13, vcc_lo
	s_delay_alu instid0(SALU_CYCLE_1)
	s_xor_b32 s72, exec_lo, s13
	s_cbranch_execz .LBB6_8353
; %bb.8340:                             ;   in Loop: Header=BB6_8318 Depth=3
	v_mov_b32_e32 v26, 0
	s_mov_b32 s73, exec_lo
	v_cmpx_ne_u32_e32 0, v3
	s_cbranch_execz .LBB6_8352
; %bb.8341:                             ;   in Loop: Header=BB6_8318 Depth=3
	v_bfe_u32 v3, v3, 23, 8
	v_or_b32_e32 v7, 0x800000, v24
	s_delay_alu instid0(VALU_DEP_2) | instskip(SKIP_1) | instid1(VALU_DEP_3)
	v_cmp_eq_u32_e32 vcc_lo, 0, v3
	v_cmp_gt_u32_e64 s13, 0x72, v3
	v_dual_cndmask_b32 v24, v7, v24 :: v_dual_sub_nc_u32 v5, 0x71, v3
	s_delay_alu instid0(VALU_DEP_1) | instskip(NEXT) | instid1(VALU_DEP_1)
	v_cndmask_b32_e64 v5, 0, v5, s13
	v_cndmask_b32_e64 v5, v5, 0x70, vcc_lo
	s_delay_alu instid0(VALU_DEP_1) | instskip(NEXT) | instid1(VALU_DEP_1)
	v_add_nc_u32_e32 v7, 21, v5
	v_lshlrev_b64_e64 v[26:27], v7, -1
	v_add_nc_u32_e32 v7, 20, v5
	s_delay_alu instid0(VALU_DEP_1) | instskip(NEXT) | instid1(VALU_DEP_3)
	v_lshlrev_b64_e64 v[32:33], v7, 1
	v_bfi_b32 v26, v26, 0, v24
	v_lshrrev_b64 v[24:25], v5, v[24:25]
	v_bfi_b32 v27, v27, 0, 0
	s_delay_alu instid0(VALU_DEP_1) | instskip(NEXT) | instid1(VALU_DEP_3)
	v_cmp_eq_u64_e64 s13, v[26:27], v[32:33]
	v_mov_b64_e32 v[26:27], v[24:25]
	s_and_saveexec_b32 s74, s13
; %bb.8342:                             ;   in Loop: Header=BB6_8318 Depth=3
	v_bfe_u32 v26, v24, 21, 1
	v_mov_b32_e32 v27, v21
	s_delay_alu instid0(VALU_DEP_1) | instskip(NEXT) | instid1(VALU_DEP_1)
	v_add_nc_u64_e32 v[26:27], v[24:25], v[26:27]
	v_add_nc_u64_e32 v[26:27], -1, v[26:27]
; %bb.8343:                             ;   in Loop: Header=BB6_8318 Depth=3
	s_or_b32 exec_lo, exec_lo, s74
	v_add_nc_u32_e32 v3, 0xffffff81, v3
	v_lshrrev_b32_e32 v7, 23, v24
	s_mov_b32 s13, exec_lo
	v_mov_b32_e32 v25, v21
	s_delay_alu instid0(VALU_DEP_3) | instskip(NEXT) | instid1(VALU_DEP_1)
	v_cndmask_b32_e64 v3, v3, 0xffffff82, vcc_lo
	v_add3_u32 v7, v5, v3, v7
	v_and_b32_e32 v3, 0x1fffff, v26
	s_delay_alu instid0(VALU_DEP_1) | instskip(NEXT) | instid1(VALU_DEP_1)
	v_dual_add_nc_u32 v5, 14, v7 :: v_dual_add_nc_u32 v24, v3, v24
                                        ; implicit-def: $vgpr3
	v_cmpx_ne_u32_e32 0, v5
	s_xor_b32 s13, exec_lo, s13
; %bb.8344:                             ;   in Loop: Header=BB6_8318 Depth=3
	s_delay_alu instid0(VALU_DEP_2) | instskip(SKIP_1) | instid1(VALU_DEP_1)
	v_cmp_lt_u64_e32 vcc_lo, 0xffffff, v[24:25]
	v_add_nc_u32_e32 v3, 15, v7
	v_cndmask_b32_e32 v3, v5, v3, vcc_lo
	v_cndmask_b32_e64 v5, 0, 1, vcc_lo
	s_delay_alu instid0(VALU_DEP_1)
	v_lshrrev_b64 v[24:25], v5, v[24:25]
; %bb.8345:                             ;   in Loop: Header=BB6_8318 Depth=3
	s_and_not1_saveexec_b32 s13, s13
; %bb.8346:                             ;   in Loop: Header=BB6_8318 Depth=3
	s_delay_alu instid0(VALU_DEP_1)
	v_bfe_u32 v3, v24, 23, 1
; %bb.8347:                             ;   in Loop: Header=BB6_8318 Depth=3
	s_or_b32 exec_lo, exec_lo, s13
	s_delay_alu instid0(VALU_DEP_2) | instskip(NEXT) | instid1(VALU_DEP_2)
	v_lshrrev_b64 v[24:25], 21, v[24:25]
	v_cmp_gt_i32_e32 vcc_lo, 32, v3
	v_cmp_ne_u32_e64 s13, 0, v3
                                        ; implicit-def: $vgpr26
	s_delay_alu instid0(VALU_DEP_3) | instskip(NEXT) | instid1(VALU_DEP_1)
	v_dual_cndmask_b32 v25, 0, v25 :: v_dual_cndmask_b32 v24, 3, v24
	v_cmp_ne_u64_e32 vcc_lo, 0, v[24:25]
	s_or_b32 s13, s13, vcc_lo
	s_delay_alu instid0(SALU_CYCLE_1) | instskip(NEXT) | instid1(SALU_CYCLE_1)
	s_and_saveexec_b32 s74, s13
	s_xor_b32 s13, exec_lo, s74
; %bb.8348:                             ;   in Loop: Header=BB6_8318 Depth=3
	v_min_i32_e32 v3, 31, v3
	s_delay_alu instid0(VALU_DEP_1) | instskip(NEXT) | instid1(VALU_DEP_1)
	v_lshl_or_b32 v1, v3, 2, v1
	v_and_or_b32 v26, v24, 3, v1
                                        ; implicit-def: $vgpr1
; %bb.8349:                             ;   in Loop: Header=BB6_8318 Depth=3
	s_and_not1_saveexec_b32 s13, s13
; %bb.8350:                             ;   in Loop: Header=BB6_8318 Depth=3
	v_mov_b32_e32 v26, v1
; %bb.8351:                             ;   in Loop: Header=BB6_8318 Depth=3
	s_or_b32 exec_lo, exec_lo, s13
.LBB6_8352:                             ;   in Loop: Header=BB6_8318 Depth=3
	s_delay_alu instid0(SALU_CYCLE_1)
	s_or_b32 exec_lo, exec_lo, s73
                                        ; implicit-def: $vgpr1
.LBB6_8353:                             ;   in Loop: Header=BB6_8318 Depth=3
	s_and_not1_saveexec_b32 s13, s72
; %bb.8354:                             ;   in Loop: Header=BB6_8318 Depth=3
	v_or_b32_e32 v26, 0x7b, v1
; %bb.8355:                             ;   in Loop: Header=BB6_8318 Depth=3
	s_or_b32 exec_lo, exec_lo, s13
                                        ; implicit-def: $vgpr3
                                        ; implicit-def: $vgpr24_vgpr25
.LBB6_8356:                             ;   in Loop: Header=BB6_8318 Depth=3
	s_and_not1_saveexec_b32 s13, s43
	s_cbranch_execz .LBB6_8362
; %bb.8357:                             ;   in Loop: Header=BB6_8318 Depth=3
	s_mov_b32 s43, exec_lo
                                        ; implicit-def: $vgpr26
	v_cmpx_ne_u64_e32 0, v[24:25]
	s_xor_b32 s43, exec_lo, s43
; %bb.8358:                             ;   in Loop: Header=BB6_8318 Depth=3
	v_lshrrev_b32_e32 v1, 24, v3
                                        ; implicit-def: $vgpr3
	s_delay_alu instid0(VALU_DEP_1)
	v_or_b32_e32 v26, 0x7f, v1
; %bb.8359:                             ;   in Loop: Header=BB6_8318 Depth=3
	s_and_not1_saveexec_b32 s43, s43
; %bb.8360:                             ;   in Loop: Header=BB6_8318 Depth=3
	v_cmp_lt_i32_e32 vcc_lo, -1, v3
	v_cndmask_b32_e64 v26, -4, 0x7c, vcc_lo
; %bb.8361:                             ;   in Loop: Header=BB6_8318 Depth=3
	s_or_b32 exec_lo, exec_lo, s43
.LBB6_8362:                             ;   in Loop: Header=BB6_8318 Depth=3
	s_delay_alu instid0(SALU_CYCLE_1)
	s_or_b32 exec_lo, exec_lo, s13
	v_dual_mov_b32 v1, 0 :: v_dual_mov_b32 v3, 0
	s_mov_b32 s43, exec_lo
	v_cmpx_ne_u16_e32 0, v22
	s_cbranch_execz .LBB6_8372
; %bb.8363:                             ;   in Loop: Header=BB6_8318 Depth=3
	v_bfrev_b32_e32 v3, 1
	s_mov_b32 s72, exec_lo
	v_cmpx_ne_u16_e32 0xff80, v22
	s_cbranch_execz .LBB6_8371
; %bb.8364:                             ;   in Loop: Header=BB6_8318 Depth=3
	v_and_b32_e32 v3, 0x7c, v22
	v_and_b32_e32 v5, 3, v22
	s_delay_alu instid0(VALU_DEP_2) | instskip(SKIP_1) | instid1(SALU_CYCLE_1)
	v_cmp_ne_u32_e32 vcc_lo, 0x7c, v3
                                        ; implicit-def: $vgpr3
	s_and_saveexec_b32 s13, vcc_lo
	s_xor_b32 s13, exec_lo, s13
	s_cbranch_execz .LBB6_8368
; %bb.8365:                             ;   in Loop: Header=BB6_8318 Depth=3
	v_and_b32_e32 v3, 0xff, v22
	s_mov_b32 s73, exec_lo
	s_delay_alu instid0(VALU_DEP_1) | instskip(NEXT) | instid1(VALU_DEP_1)
	v_bfe_u32 v3, v3, 2, 5
	v_cmpx_eq_u32_e32 0, v3
	s_cbranch_execz .LBB6_8367
; %bb.8366:                             ;   in Loop: Header=BB6_8318 Depth=3
	v_clz_i32_u32_e32 v3, v5
	s_delay_alu instid0(VALU_DEP_1) | instskip(SKIP_1) | instid1(VALU_DEP_2)
	v_min_u32_e32 v3, 32, v3
	v_mov_b32_e32 v23, v21
	v_subrev_nc_u32_e32 v5, 29, v3
	v_sub_nc_u32_e32 v3, 30, v3
	s_delay_alu instid0(VALU_DEP_2) | instskip(NEXT) | instid1(VALU_DEP_1)
	v_lshlrev_b64_e32 v[24:25], v5, v[22:23]
	v_and_b32_e32 v5, 3, v24
.LBB6_8367:                             ;   in Loop: Header=BB6_8318 Depth=3
	s_or_b32 exec_lo, exec_lo, s73
	v_bfe_i32 v7, v22, 0, 16
                                        ; implicit-def: $vgpr22
	s_delay_alu instid0(VALU_DEP_1) | instskip(NEXT) | instid1(VALU_DEP_1)
	v_and_b32_e32 v7, 0x80000000, v7
	v_lshl_add_u32 v3, v3, 23, v7
	s_delay_alu instid0(VALU_DEP_1) | instskip(NEXT) | instid1(VALU_DEP_1)
	v_lshl_or_b32 v3, v5, 21, v3
                                        ; implicit-def: $vgpr5
	v_add_nc_u32_e32 v3, 0x38000000, v3
.LBB6_8368:                             ;   in Loop: Header=BB6_8318 Depth=3
	s_and_not1_saveexec_b32 s73, s13
; %bb.8369:                             ;   in Loop: Header=BB6_8318 Depth=3
	v_cmp_lt_i16_e64 s13, -1, v22
	v_mov_b32_e32 v3, 0x7f800000
	v_cmp_eq_u32_e32 vcc_lo, 0, v5
	s_delay_alu instid0(VALU_DEP_2) | instskip(NEXT) | instid1(VALU_DEP_1)
	v_cndmask_b32_e64 v3, 0xff800000, v3, s13
	v_cndmask_b32_e32 v3, 0x7f800001, v3, vcc_lo
; %bb.8370:                             ;   in Loop: Header=BB6_8318 Depth=3
	s_or_b32 exec_lo, exec_lo, s73
.LBB6_8371:                             ;   in Loop: Header=BB6_8318 Depth=3
	s_delay_alu instid0(SALU_CYCLE_1)
	s_or_b32 exec_lo, exec_lo, s72
.LBB6_8372:                             ;   in Loop: Header=BB6_8318 Depth=3
	s_delay_alu instid0(SALU_CYCLE_1) | instskip(NEXT) | instid1(SALU_CYCLE_1)
	s_or_b32 exec_lo, exec_lo, s43
	s_mov_b32 s43, exec_lo
	v_cmpx_ne_u16_e32 0, v18
	s_cbranch_execz .LBB6_8382
; %bb.8373:                             ;   in Loop: Header=BB6_8318 Depth=3
	v_bfrev_b32_e32 v1, 1
	s_mov_b32 s72, exec_lo
	v_cmpx_ne_u16_e32 0xff80, v18
	s_cbranch_execz .LBB6_8381
; %bb.8374:                             ;   in Loop: Header=BB6_8318 Depth=3
	v_and_b32_e32 v1, 0x7c, v18
	v_and_b32_e32 v5, 3, v18
	s_delay_alu instid0(VALU_DEP_2) | instskip(SKIP_1) | instid1(SALU_CYCLE_1)
	v_cmp_ne_u32_e32 vcc_lo, 0x7c, v1
                                        ; implicit-def: $vgpr1
	s_and_saveexec_b32 s13, vcc_lo
	s_xor_b32 s13, exec_lo, s13
	s_cbranch_execz .LBB6_8378
; %bb.8375:                             ;   in Loop: Header=BB6_8318 Depth=3
	v_and_b32_e32 v1, 0xff, v18
	s_mov_b32 s73, exec_lo
	s_delay_alu instid0(VALU_DEP_1) | instskip(NEXT) | instid1(VALU_DEP_1)
	v_bfe_u32 v1, v1, 2, 5
	v_cmpx_eq_u32_e32 0, v1
	s_cbranch_execz .LBB6_8377
; %bb.8376:                             ;   in Loop: Header=BB6_8318 Depth=3
	v_clz_i32_u32_e32 v1, v5
	s_delay_alu instid0(VALU_DEP_1) | instskip(SKIP_1) | instid1(VALU_DEP_2)
	v_min_u32_e32 v1, 32, v1
	v_mov_b32_e32 v19, v21
	v_subrev_nc_u32_e32 v5, 29, v1
	v_sub_nc_u32_e32 v1, 30, v1
	s_delay_alu instid0(VALU_DEP_2) | instskip(NEXT) | instid1(VALU_DEP_1)
	v_lshlrev_b64_e32 v[22:23], v5, v[18:19]
	v_and_b32_e32 v5, 3, v22
.LBB6_8377:                             ;   in Loop: Header=BB6_8318 Depth=3
	s_or_b32 exec_lo, exec_lo, s73
	v_bfe_i32 v7, v18, 0, 16
                                        ; implicit-def: $vgpr18
	s_delay_alu instid0(VALU_DEP_1) | instskip(NEXT) | instid1(VALU_DEP_1)
	v_and_b32_e32 v7, 0x80000000, v7
	v_lshl_add_u32 v1, v1, 23, v7
	s_delay_alu instid0(VALU_DEP_1) | instskip(NEXT) | instid1(VALU_DEP_1)
	v_lshl_or_b32 v1, v5, 21, v1
                                        ; implicit-def: $vgpr5
	v_add_nc_u32_e32 v1, 0x38000000, v1
.LBB6_8378:                             ;   in Loop: Header=BB6_8318 Depth=3
	s_and_not1_saveexec_b32 s73, s13
; %bb.8379:                             ;   in Loop: Header=BB6_8318 Depth=3
	v_cmp_lt_i16_e64 s13, -1, v18
	v_mov_b32_e32 v1, 0x7f800000
	v_cmp_eq_u32_e32 vcc_lo, 0, v5
	s_delay_alu instid0(VALU_DEP_2) | instskip(NEXT) | instid1(VALU_DEP_1)
	v_cndmask_b32_e64 v1, 0xff800000, v1, s13
	v_cndmask_b32_e32 v1, 0x7f800001, v1, vcc_lo
; %bb.8380:                             ;   in Loop: Header=BB6_8318 Depth=3
	s_or_b32 exec_lo, exec_lo, s73
.LBB6_8381:                             ;   in Loop: Header=BB6_8318 Depth=3
	s_delay_alu instid0(SALU_CYCLE_1)
	s_or_b32 exec_lo, exec_lo, s72
.LBB6_8382:                             ;   in Loop: Header=BB6_8318 Depth=3
	s_delay_alu instid0(SALU_CYCLE_1) | instskip(NEXT) | instid1(VALU_DEP_1)
	s_or_b32 exec_lo, exec_lo, s43
	v_dual_mul_f32 v3, v3, v1 :: v_dual_mov_b32 v19, v21
                                        ; implicit-def: $vgpr22
	s_delay_alu instid0(VALU_DEP_1) | instskip(NEXT) | instid1(VALU_DEP_1)
	v_and_b32_e32 v18, 0x7f800000, v3
	v_cmp_ne_u64_e32 vcc_lo, 0x7f800000, v[18:19]
	v_and_b32_e32 v18, 0x7fffff, v3
	s_and_saveexec_b32 s13, vcc_lo
	s_delay_alu instid0(SALU_CYCLE_1)
	s_xor_b32 s43, exec_lo, s13
	s_cbranch_execz .LBB6_8400
; %bb.8383:                             ;   in Loop: Header=BB6_8318 Depth=3
	v_and_b32_e32 v22, 0x7fffffff, v3
	v_dual_mov_b32 v23, v21 :: v_dual_lshrrev_b32 v1, 24, v3
	s_delay_alu instid0(VALU_DEP_1) | instskip(NEXT) | instid1(VALU_DEP_2)
	v_cmp_gt_u64_e32 vcc_lo, 0x47600001, v[22:23]
	v_and_b32_e32 v1, 0x80, v1
                                        ; implicit-def: $vgpr22
	s_and_saveexec_b32 s13, vcc_lo
	s_delay_alu instid0(SALU_CYCLE_1)
	s_xor_b32 s72, exec_lo, s13
	s_cbranch_execz .LBB6_8397
; %bb.8384:                             ;   in Loop: Header=BB6_8318 Depth=3
	v_mov_b32_e32 v22, 0
	s_mov_b32 s73, exec_lo
	v_cmpx_ne_u32_e32 0, v3
	s_cbranch_execz .LBB6_8396
; %bb.8385:                             ;   in Loop: Header=BB6_8318 Depth=3
	v_bfe_u32 v3, v3, 23, 8
	v_or_b32_e32 v7, 0x800000, v18
	s_delay_alu instid0(VALU_DEP_2) | instskip(SKIP_1) | instid1(VALU_DEP_3)
	v_cmp_eq_u32_e32 vcc_lo, 0, v3
	v_cmp_gt_u32_e64 s13, 0x72, v3
	v_dual_cndmask_b32 v18, v7, v18 :: v_dual_sub_nc_u32 v5, 0x71, v3
	s_delay_alu instid0(VALU_DEP_1) | instskip(NEXT) | instid1(VALU_DEP_1)
	v_cndmask_b32_e64 v5, 0, v5, s13
	v_cndmask_b32_e64 v5, v5, 0x70, vcc_lo
	s_delay_alu instid0(VALU_DEP_1) | instskip(NEXT) | instid1(VALU_DEP_1)
	v_add_nc_u32_e32 v7, 21, v5
	v_lshlrev_b64_e64 v[22:23], v7, -1
	v_add_nc_u32_e32 v7, 20, v5
	s_delay_alu instid0(VALU_DEP_1) | instskip(NEXT) | instid1(VALU_DEP_3)
	v_lshlrev_b64_e64 v[24:25], v7, 1
	v_bfi_b32 v22, v22, 0, v18
	v_lshrrev_b64 v[18:19], v5, v[18:19]
	v_bfi_b32 v23, v23, 0, 0
	s_delay_alu instid0(VALU_DEP_1) | instskip(NEXT) | instid1(VALU_DEP_3)
	v_cmp_eq_u64_e64 s13, v[22:23], v[24:25]
	v_mov_b64_e32 v[22:23], v[18:19]
	s_and_saveexec_b32 s74, s13
; %bb.8386:                             ;   in Loop: Header=BB6_8318 Depth=3
	v_bfe_u32 v22, v18, 21, 1
	v_mov_b32_e32 v23, v21
	s_delay_alu instid0(VALU_DEP_1) | instskip(NEXT) | instid1(VALU_DEP_1)
	v_add_nc_u64_e32 v[22:23], v[18:19], v[22:23]
	v_add_nc_u64_e32 v[22:23], -1, v[22:23]
; %bb.8387:                             ;   in Loop: Header=BB6_8318 Depth=3
	s_or_b32 exec_lo, exec_lo, s74
	v_add_nc_u32_e32 v3, 0xffffff81, v3
	v_lshrrev_b32_e32 v7, 23, v18
	s_mov_b32 s13, exec_lo
	v_mov_b32_e32 v19, v21
	s_delay_alu instid0(VALU_DEP_3) | instskip(NEXT) | instid1(VALU_DEP_1)
	v_cndmask_b32_e64 v3, v3, 0xffffff82, vcc_lo
	v_add3_u32 v7, v5, v3, v7
	v_and_b32_e32 v3, 0x1fffff, v22
	s_delay_alu instid0(VALU_DEP_1) | instskip(NEXT) | instid1(VALU_DEP_1)
	v_dual_add_nc_u32 v5, 14, v7 :: v_dual_add_nc_u32 v18, v3, v18
                                        ; implicit-def: $vgpr3
	v_cmpx_ne_u32_e32 0, v5
	s_xor_b32 s13, exec_lo, s13
; %bb.8388:                             ;   in Loop: Header=BB6_8318 Depth=3
	s_delay_alu instid0(VALU_DEP_2) | instskip(SKIP_1) | instid1(VALU_DEP_1)
	v_cmp_lt_u64_e32 vcc_lo, 0xffffff, v[18:19]
	v_add_nc_u32_e32 v3, 15, v7
	v_cndmask_b32_e32 v3, v5, v3, vcc_lo
	v_cndmask_b32_e64 v5, 0, 1, vcc_lo
	s_delay_alu instid0(VALU_DEP_1)
	v_lshrrev_b64 v[18:19], v5, v[18:19]
; %bb.8389:                             ;   in Loop: Header=BB6_8318 Depth=3
	s_and_not1_saveexec_b32 s13, s13
; %bb.8390:                             ;   in Loop: Header=BB6_8318 Depth=3
	s_delay_alu instid0(VALU_DEP_1)
	v_bfe_u32 v3, v18, 23, 1
; %bb.8391:                             ;   in Loop: Header=BB6_8318 Depth=3
	s_or_b32 exec_lo, exec_lo, s13
	s_delay_alu instid0(VALU_DEP_2) | instskip(NEXT) | instid1(VALU_DEP_2)
	v_lshrrev_b64 v[18:19], 21, v[18:19]
	v_cmp_gt_i32_e32 vcc_lo, 32, v3
	v_cmp_ne_u32_e64 s13, 0, v3
                                        ; implicit-def: $vgpr22
	s_delay_alu instid0(VALU_DEP_3) | instskip(NEXT) | instid1(VALU_DEP_1)
	v_dual_cndmask_b32 v19, 0, v19 :: v_dual_cndmask_b32 v18, 3, v18
	v_cmp_ne_u64_e32 vcc_lo, 0, v[18:19]
	s_or_b32 s13, s13, vcc_lo
	s_delay_alu instid0(SALU_CYCLE_1) | instskip(NEXT) | instid1(SALU_CYCLE_1)
	s_and_saveexec_b32 s74, s13
	s_xor_b32 s13, exec_lo, s74
; %bb.8392:                             ;   in Loop: Header=BB6_8318 Depth=3
	v_min_i32_e32 v3, 31, v3
	s_delay_alu instid0(VALU_DEP_1) | instskip(NEXT) | instid1(VALU_DEP_1)
	v_lshl_or_b32 v1, v3, 2, v1
	v_and_or_b32 v22, v18, 3, v1
                                        ; implicit-def: $vgpr1
; %bb.8393:                             ;   in Loop: Header=BB6_8318 Depth=3
	s_and_not1_saveexec_b32 s13, s13
; %bb.8394:                             ;   in Loop: Header=BB6_8318 Depth=3
	v_mov_b32_e32 v22, v1
; %bb.8395:                             ;   in Loop: Header=BB6_8318 Depth=3
	s_or_b32 exec_lo, exec_lo, s13
.LBB6_8396:                             ;   in Loop: Header=BB6_8318 Depth=3
	s_delay_alu instid0(SALU_CYCLE_1)
	s_or_b32 exec_lo, exec_lo, s73
                                        ; implicit-def: $vgpr1
.LBB6_8397:                             ;   in Loop: Header=BB6_8318 Depth=3
	s_and_not1_saveexec_b32 s13, s72
; %bb.8398:                             ;   in Loop: Header=BB6_8318 Depth=3
	v_or_b32_e32 v22, 0x7b, v1
; %bb.8399:                             ;   in Loop: Header=BB6_8318 Depth=3
	s_or_b32 exec_lo, exec_lo, s13
                                        ; implicit-def: $vgpr3
                                        ; implicit-def: $vgpr18_vgpr19
.LBB6_8400:                             ;   in Loop: Header=BB6_8318 Depth=3
	s_and_not1_saveexec_b32 s13, s43
	s_cbranch_execz .LBB6_8406
; %bb.8401:                             ;   in Loop: Header=BB6_8318 Depth=3
	s_mov_b32 s43, exec_lo
                                        ; implicit-def: $vgpr22
	v_cmpx_ne_u64_e32 0, v[18:19]
	s_xor_b32 s43, exec_lo, s43
; %bb.8402:                             ;   in Loop: Header=BB6_8318 Depth=3
	v_lshrrev_b32_e32 v1, 24, v3
                                        ; implicit-def: $vgpr3
	s_delay_alu instid0(VALU_DEP_1)
	v_or_b32_e32 v22, 0x7f, v1
; %bb.8403:                             ;   in Loop: Header=BB6_8318 Depth=3
	s_and_not1_saveexec_b32 s43, s43
; %bb.8404:                             ;   in Loop: Header=BB6_8318 Depth=3
	v_cmp_lt_i32_e32 vcc_lo, -1, v3
	v_cndmask_b32_e64 v22, -4, 0x7c, vcc_lo
; %bb.8405:                             ;   in Loop: Header=BB6_8318 Depth=3
	s_or_b32 exec_lo, exec_lo, s43
.LBB6_8406:                             ;   in Loop: Header=BB6_8318 Depth=3
	s_delay_alu instid0(SALU_CYCLE_1)
	s_or_b32 exec_lo, exec_lo, s13
	v_dual_mov_b32 v1, 0 :: v_dual_mov_b32 v3, 0
	s_mov_b32 s43, exec_lo
	v_cmpx_ne_u16_e32 0, v16
	s_cbranch_execz .LBB6_8416
; %bb.8407:                             ;   in Loop: Header=BB6_8318 Depth=3
	v_bfrev_b32_e32 v3, 1
	s_mov_b32 s72, exec_lo
	v_cmpx_ne_u16_e32 0xff80, v16
	s_cbranch_execz .LBB6_8415
; %bb.8408:                             ;   in Loop: Header=BB6_8318 Depth=3
	v_and_b32_e32 v3, 0x7c, v16
	v_and_b32_e32 v5, 3, v16
	s_delay_alu instid0(VALU_DEP_2) | instskip(SKIP_1) | instid1(SALU_CYCLE_1)
	v_cmp_ne_u32_e32 vcc_lo, 0x7c, v3
                                        ; implicit-def: $vgpr3
	s_and_saveexec_b32 s13, vcc_lo
	s_xor_b32 s13, exec_lo, s13
	s_cbranch_execz .LBB6_8412
; %bb.8409:                             ;   in Loop: Header=BB6_8318 Depth=3
	v_and_b32_e32 v3, 0xff, v16
	s_mov_b32 s73, exec_lo
	s_delay_alu instid0(VALU_DEP_1) | instskip(NEXT) | instid1(VALU_DEP_1)
	v_bfe_u32 v3, v3, 2, 5
	v_cmpx_eq_u32_e32 0, v3
	s_cbranch_execz .LBB6_8411
; %bb.8410:                             ;   in Loop: Header=BB6_8318 Depth=3
	v_clz_i32_u32_e32 v3, v5
	s_delay_alu instid0(VALU_DEP_1) | instskip(SKIP_1) | instid1(VALU_DEP_2)
	v_min_u32_e32 v3, 32, v3
	v_mov_b32_e32 v17, v21
	v_subrev_nc_u32_e32 v5, 29, v3
	v_sub_nc_u32_e32 v3, 30, v3
	s_delay_alu instid0(VALU_DEP_2) | instskip(NEXT) | instid1(VALU_DEP_1)
	v_lshlrev_b64_e32 v[18:19], v5, v[16:17]
	v_and_b32_e32 v5, 3, v18
.LBB6_8411:                             ;   in Loop: Header=BB6_8318 Depth=3
	s_or_b32 exec_lo, exec_lo, s73
	v_bfe_i32 v7, v16, 0, 16
                                        ; implicit-def: $vgpr16
	s_delay_alu instid0(VALU_DEP_1) | instskip(NEXT) | instid1(VALU_DEP_1)
	v_and_b32_e32 v7, 0x80000000, v7
	v_lshl_add_u32 v3, v3, 23, v7
	s_delay_alu instid0(VALU_DEP_1) | instskip(NEXT) | instid1(VALU_DEP_1)
	v_lshl_or_b32 v3, v5, 21, v3
                                        ; implicit-def: $vgpr5
	v_add_nc_u32_e32 v3, 0x38000000, v3
.LBB6_8412:                             ;   in Loop: Header=BB6_8318 Depth=3
	s_and_not1_saveexec_b32 s73, s13
; %bb.8413:                             ;   in Loop: Header=BB6_8318 Depth=3
	v_cmp_lt_i16_e64 s13, -1, v16
	v_mov_b32_e32 v3, 0x7f800000
	v_cmp_eq_u32_e32 vcc_lo, 0, v5
	s_delay_alu instid0(VALU_DEP_2) | instskip(NEXT) | instid1(VALU_DEP_1)
	v_cndmask_b32_e64 v3, 0xff800000, v3, s13
	v_cndmask_b32_e32 v3, 0x7f800001, v3, vcc_lo
; %bb.8414:                             ;   in Loop: Header=BB6_8318 Depth=3
	s_or_b32 exec_lo, exec_lo, s73
.LBB6_8415:                             ;   in Loop: Header=BB6_8318 Depth=3
	s_delay_alu instid0(SALU_CYCLE_1)
	s_or_b32 exec_lo, exec_lo, s72
.LBB6_8416:                             ;   in Loop: Header=BB6_8318 Depth=3
	s_delay_alu instid0(SALU_CYCLE_1) | instskip(NEXT) | instid1(SALU_CYCLE_1)
	s_or_b32 exec_lo, exec_lo, s43
	s_mov_b32 s43, exec_lo
	v_cmpx_ne_u16_e32 0, v14
	s_cbranch_execz .LBB6_8426
; %bb.8417:                             ;   in Loop: Header=BB6_8318 Depth=3
	v_bfrev_b32_e32 v1, 1
	s_mov_b32 s72, exec_lo
	v_cmpx_ne_u16_e32 0xff80, v14
	s_cbranch_execz .LBB6_8425
; %bb.8418:                             ;   in Loop: Header=BB6_8318 Depth=3
	v_and_b32_e32 v1, 0x7c, v14
	v_and_b32_e32 v5, 3, v14
	s_delay_alu instid0(VALU_DEP_2) | instskip(SKIP_1) | instid1(SALU_CYCLE_1)
	v_cmp_ne_u32_e32 vcc_lo, 0x7c, v1
                                        ; implicit-def: $vgpr1
	s_and_saveexec_b32 s13, vcc_lo
	s_xor_b32 s13, exec_lo, s13
	s_cbranch_execz .LBB6_8422
; %bb.8419:                             ;   in Loop: Header=BB6_8318 Depth=3
	v_and_b32_e32 v1, 0xff, v14
	s_mov_b32 s73, exec_lo
	s_delay_alu instid0(VALU_DEP_1) | instskip(NEXT) | instid1(VALU_DEP_1)
	v_bfe_u32 v1, v1, 2, 5
	v_cmpx_eq_u32_e32 0, v1
	s_cbranch_execz .LBB6_8421
; %bb.8420:                             ;   in Loop: Header=BB6_8318 Depth=3
	v_clz_i32_u32_e32 v1, v5
	s_delay_alu instid0(VALU_DEP_1) | instskip(SKIP_1) | instid1(VALU_DEP_2)
	v_min_u32_e32 v1, 32, v1
	v_mov_b32_e32 v15, v21
	v_subrev_nc_u32_e32 v5, 29, v1
	v_sub_nc_u32_e32 v1, 30, v1
	s_delay_alu instid0(VALU_DEP_2) | instskip(NEXT) | instid1(VALU_DEP_1)
	v_lshlrev_b64_e32 v[16:17], v5, v[14:15]
	v_and_b32_e32 v5, 3, v16
.LBB6_8421:                             ;   in Loop: Header=BB6_8318 Depth=3
	s_or_b32 exec_lo, exec_lo, s73
	v_bfe_i32 v7, v14, 0, 16
                                        ; implicit-def: $vgpr14
	s_delay_alu instid0(VALU_DEP_1) | instskip(NEXT) | instid1(VALU_DEP_1)
	v_and_b32_e32 v7, 0x80000000, v7
	v_lshl_add_u32 v1, v1, 23, v7
	s_delay_alu instid0(VALU_DEP_1) | instskip(NEXT) | instid1(VALU_DEP_1)
	v_lshl_or_b32 v1, v5, 21, v1
                                        ; implicit-def: $vgpr5
	v_add_nc_u32_e32 v1, 0x38000000, v1
.LBB6_8422:                             ;   in Loop: Header=BB6_8318 Depth=3
	s_and_not1_saveexec_b32 s73, s13
; %bb.8423:                             ;   in Loop: Header=BB6_8318 Depth=3
	v_cmp_lt_i16_e64 s13, -1, v14
	v_mov_b32_e32 v1, 0x7f800000
	v_cmp_eq_u32_e32 vcc_lo, 0, v5
	s_delay_alu instid0(VALU_DEP_2) | instskip(NEXT) | instid1(VALU_DEP_1)
	v_cndmask_b32_e64 v1, 0xff800000, v1, s13
	v_cndmask_b32_e32 v1, 0x7f800001, v1, vcc_lo
; %bb.8424:                             ;   in Loop: Header=BB6_8318 Depth=3
	s_or_b32 exec_lo, exec_lo, s73
.LBB6_8425:                             ;   in Loop: Header=BB6_8318 Depth=3
	s_delay_alu instid0(SALU_CYCLE_1)
	s_or_b32 exec_lo, exec_lo, s72
.LBB6_8426:                             ;   in Loop: Header=BB6_8318 Depth=3
	s_delay_alu instid0(SALU_CYCLE_1) | instskip(NEXT) | instid1(VALU_DEP_1)
	s_or_b32 exec_lo, exec_lo, s43
	v_dual_mul_f32 v3, v3, v1 :: v_dual_mov_b32 v15, v21
                                        ; implicit-def: $vgpr16
	s_delay_alu instid0(VALU_DEP_1) | instskip(NEXT) | instid1(VALU_DEP_1)
	v_and_b32_e32 v14, 0x7f800000, v3
	v_cmp_ne_u64_e32 vcc_lo, 0x7f800000, v[14:15]
	v_and_b32_e32 v14, 0x7fffff, v3
	s_and_saveexec_b32 s13, vcc_lo
	s_delay_alu instid0(SALU_CYCLE_1)
	s_xor_b32 s43, exec_lo, s13
	s_cbranch_execz .LBB6_8444
; %bb.8427:                             ;   in Loop: Header=BB6_8318 Depth=3
	v_and_b32_e32 v16, 0x7fffffff, v3
	v_dual_mov_b32 v17, v21 :: v_dual_lshrrev_b32 v1, 24, v3
	s_delay_alu instid0(VALU_DEP_1) | instskip(NEXT) | instid1(VALU_DEP_2)
	v_cmp_gt_u64_e32 vcc_lo, 0x47600001, v[16:17]
	v_and_b32_e32 v1, 0x80, v1
                                        ; implicit-def: $vgpr16
	s_and_saveexec_b32 s13, vcc_lo
	s_delay_alu instid0(SALU_CYCLE_1)
	s_xor_b32 s72, exec_lo, s13
	s_cbranch_execz .LBB6_8441
; %bb.8428:                             ;   in Loop: Header=BB6_8318 Depth=3
	v_mov_b32_e32 v16, 0
	s_mov_b32 s73, exec_lo
	v_cmpx_ne_u32_e32 0, v3
	s_cbranch_execz .LBB6_8440
; %bb.8429:                             ;   in Loop: Header=BB6_8318 Depth=3
	v_bfe_u32 v3, v3, 23, 8
	v_or_b32_e32 v7, 0x800000, v14
	s_delay_alu instid0(VALU_DEP_2) | instskip(SKIP_1) | instid1(VALU_DEP_3)
	v_cmp_eq_u32_e32 vcc_lo, 0, v3
	v_cmp_gt_u32_e64 s13, 0x72, v3
	v_dual_cndmask_b32 v14, v7, v14 :: v_dual_sub_nc_u32 v5, 0x71, v3
	s_delay_alu instid0(VALU_DEP_1) | instskip(NEXT) | instid1(VALU_DEP_1)
	v_cndmask_b32_e64 v5, 0, v5, s13
	v_cndmask_b32_e64 v5, v5, 0x70, vcc_lo
	s_delay_alu instid0(VALU_DEP_1) | instskip(NEXT) | instid1(VALU_DEP_1)
	v_add_nc_u32_e32 v7, 21, v5
	v_lshlrev_b64_e64 v[16:17], v7, -1
	v_add_nc_u32_e32 v7, 20, v5
	s_delay_alu instid0(VALU_DEP_1) | instskip(NEXT) | instid1(VALU_DEP_3)
	v_lshlrev_b64_e64 v[18:19], v7, 1
	v_bfi_b32 v16, v16, 0, v14
	v_lshrrev_b64 v[14:15], v5, v[14:15]
	v_bfi_b32 v17, v17, 0, 0
	s_delay_alu instid0(VALU_DEP_1) | instskip(NEXT) | instid1(VALU_DEP_3)
	v_cmp_eq_u64_e64 s13, v[16:17], v[18:19]
	v_mov_b64_e32 v[16:17], v[14:15]
	s_and_saveexec_b32 s74, s13
; %bb.8430:                             ;   in Loop: Header=BB6_8318 Depth=3
	v_bfe_u32 v16, v14, 21, 1
	v_mov_b32_e32 v17, v21
	s_delay_alu instid0(VALU_DEP_1) | instskip(NEXT) | instid1(VALU_DEP_1)
	v_add_nc_u64_e32 v[16:17], v[14:15], v[16:17]
	v_add_nc_u64_e32 v[16:17], -1, v[16:17]
; %bb.8431:                             ;   in Loop: Header=BB6_8318 Depth=3
	s_or_b32 exec_lo, exec_lo, s74
	v_add_nc_u32_e32 v3, 0xffffff81, v3
	v_lshrrev_b32_e32 v7, 23, v14
	s_mov_b32 s13, exec_lo
	v_mov_b32_e32 v15, v21
	s_delay_alu instid0(VALU_DEP_3) | instskip(NEXT) | instid1(VALU_DEP_1)
	v_cndmask_b32_e64 v3, v3, 0xffffff82, vcc_lo
	v_add3_u32 v7, v5, v3, v7
	v_and_b32_e32 v3, 0x1fffff, v16
	s_delay_alu instid0(VALU_DEP_1) | instskip(NEXT) | instid1(VALU_DEP_1)
	v_dual_add_nc_u32 v5, 14, v7 :: v_dual_add_nc_u32 v14, v3, v14
                                        ; implicit-def: $vgpr3
	v_cmpx_ne_u32_e32 0, v5
	s_xor_b32 s13, exec_lo, s13
; %bb.8432:                             ;   in Loop: Header=BB6_8318 Depth=3
	s_delay_alu instid0(VALU_DEP_2) | instskip(SKIP_1) | instid1(VALU_DEP_1)
	v_cmp_lt_u64_e32 vcc_lo, 0xffffff, v[14:15]
	v_add_nc_u32_e32 v3, 15, v7
	v_cndmask_b32_e32 v3, v5, v3, vcc_lo
	v_cndmask_b32_e64 v5, 0, 1, vcc_lo
	s_delay_alu instid0(VALU_DEP_1)
	v_lshrrev_b64 v[14:15], v5, v[14:15]
; %bb.8433:                             ;   in Loop: Header=BB6_8318 Depth=3
	s_and_not1_saveexec_b32 s13, s13
; %bb.8434:                             ;   in Loop: Header=BB6_8318 Depth=3
	s_delay_alu instid0(VALU_DEP_1)
	v_bfe_u32 v3, v14, 23, 1
; %bb.8435:                             ;   in Loop: Header=BB6_8318 Depth=3
	s_or_b32 exec_lo, exec_lo, s13
	s_delay_alu instid0(VALU_DEP_2) | instskip(NEXT) | instid1(VALU_DEP_2)
	v_lshrrev_b64 v[14:15], 21, v[14:15]
	v_cmp_gt_i32_e32 vcc_lo, 32, v3
	v_cmp_ne_u32_e64 s13, 0, v3
                                        ; implicit-def: $vgpr16
	s_delay_alu instid0(VALU_DEP_3) | instskip(NEXT) | instid1(VALU_DEP_1)
	v_dual_cndmask_b32 v15, 0, v15 :: v_dual_cndmask_b32 v14, 3, v14
	v_cmp_ne_u64_e32 vcc_lo, 0, v[14:15]
	s_or_b32 s13, s13, vcc_lo
	s_delay_alu instid0(SALU_CYCLE_1) | instskip(NEXT) | instid1(SALU_CYCLE_1)
	s_and_saveexec_b32 s74, s13
	s_xor_b32 s13, exec_lo, s74
; %bb.8436:                             ;   in Loop: Header=BB6_8318 Depth=3
	v_min_i32_e32 v3, 31, v3
	s_delay_alu instid0(VALU_DEP_1) | instskip(NEXT) | instid1(VALU_DEP_1)
	v_lshl_or_b32 v1, v3, 2, v1
	v_and_or_b32 v16, v14, 3, v1
                                        ; implicit-def: $vgpr1
; %bb.8437:                             ;   in Loop: Header=BB6_8318 Depth=3
	s_and_not1_saveexec_b32 s13, s13
; %bb.8438:                             ;   in Loop: Header=BB6_8318 Depth=3
	v_mov_b32_e32 v16, v1
; %bb.8439:                             ;   in Loop: Header=BB6_8318 Depth=3
	s_or_b32 exec_lo, exec_lo, s13
.LBB6_8440:                             ;   in Loop: Header=BB6_8318 Depth=3
	s_delay_alu instid0(SALU_CYCLE_1)
	s_or_b32 exec_lo, exec_lo, s73
                                        ; implicit-def: $vgpr1
.LBB6_8441:                             ;   in Loop: Header=BB6_8318 Depth=3
	s_and_not1_saveexec_b32 s13, s72
; %bb.8442:                             ;   in Loop: Header=BB6_8318 Depth=3
	v_or_b32_e32 v16, 0x7b, v1
; %bb.8443:                             ;   in Loop: Header=BB6_8318 Depth=3
	s_or_b32 exec_lo, exec_lo, s13
                                        ; implicit-def: $vgpr3
                                        ; implicit-def: $vgpr14_vgpr15
.LBB6_8444:                             ;   in Loop: Header=BB6_8318 Depth=3
	s_and_not1_saveexec_b32 s13, s43
	s_cbranch_execz .LBB6_8450
; %bb.8445:                             ;   in Loop: Header=BB6_8318 Depth=3
	s_mov_b32 s43, exec_lo
                                        ; implicit-def: $vgpr16
	v_cmpx_ne_u64_e32 0, v[14:15]
	s_xor_b32 s43, exec_lo, s43
; %bb.8446:                             ;   in Loop: Header=BB6_8318 Depth=3
	v_lshrrev_b32_e32 v1, 24, v3
                                        ; implicit-def: $vgpr3
	s_delay_alu instid0(VALU_DEP_1)
	v_or_b32_e32 v16, 0x7f, v1
; %bb.8447:                             ;   in Loop: Header=BB6_8318 Depth=3
	s_and_not1_saveexec_b32 s43, s43
; %bb.8448:                             ;   in Loop: Header=BB6_8318 Depth=3
	v_cmp_lt_i32_e32 vcc_lo, -1, v3
	v_cndmask_b32_e64 v16, -4, 0x7c, vcc_lo
; %bb.8449:                             ;   in Loop: Header=BB6_8318 Depth=3
	s_or_b32 exec_lo, exec_lo, s43
.LBB6_8450:                             ;   in Loop: Header=BB6_8318 Depth=3
	s_delay_alu instid0(SALU_CYCLE_1)
	s_or_b32 exec_lo, exec_lo, s13
	v_dual_mov_b32 v1, 0 :: v_dual_mov_b32 v3, 0
	s_mov_b32 s43, exec_lo
	v_cmpx_ne_u16_e32 0, v2
	s_cbranch_execz .LBB6_8460
; %bb.8451:                             ;   in Loop: Header=BB6_8318 Depth=3
	v_bfrev_b32_e32 v3, 1
	s_mov_b32 s72, exec_lo
	v_cmpx_ne_u16_e32 0xff80, v2
	s_cbranch_execz .LBB6_8459
; %bb.8452:                             ;   in Loop: Header=BB6_8318 Depth=3
	v_and_b32_e32 v3, 0x7c, v2
	v_and_b32_e32 v5, 3, v2
	s_delay_alu instid0(VALU_DEP_2) | instskip(SKIP_1) | instid1(SALU_CYCLE_1)
	v_cmp_ne_u32_e32 vcc_lo, 0x7c, v3
                                        ; implicit-def: $vgpr3
	s_and_saveexec_b32 s13, vcc_lo
	s_xor_b32 s13, exec_lo, s13
	s_cbranch_execz .LBB6_8456
; %bb.8453:                             ;   in Loop: Header=BB6_8318 Depth=3
	v_and_b32_e32 v3, 0xff, v2
	s_mov_b32 s73, exec_lo
	s_delay_alu instid0(VALU_DEP_1) | instskip(NEXT) | instid1(VALU_DEP_1)
	v_bfe_u32 v3, v3, 2, 5
	v_cmpx_eq_u32_e32 0, v3
; %bb.8454:                             ;   in Loop: Header=BB6_8318 Depth=3
	v_clz_i32_u32_e32 v3, v5
	s_delay_alu instid0(VALU_DEP_1) | instskip(SKIP_1) | instid1(VALU_DEP_2)
	v_min_u32_e32 v5, 32, v3
	v_mov_b32_e32 v3, v21
	v_subrev_nc_u32_e32 v7, 29, v5
	s_delay_alu instid0(VALU_DEP_1) | instskip(NEXT) | instid1(VALU_DEP_1)
	v_lshlrev_b64_e32 v[14:15], v7, v[2:3]
	v_dual_sub_nc_u32 v3, 30, v5 :: v_dual_bitop2_b32 v5, 3, v14 bitop3:0x40
; %bb.8455:                             ;   in Loop: Header=BB6_8318 Depth=3
	s_or_b32 exec_lo, exec_lo, s73
	v_bfe_i32 v2, v2, 0, 16
	s_delay_alu instid0(VALU_DEP_1) | instskip(NEXT) | instid1(VALU_DEP_1)
	v_and_b32_e32 v2, 0x80000000, v2
	v_lshl_add_u32 v2, v3, 23, v2
	s_delay_alu instid0(VALU_DEP_1) | instskip(NEXT) | instid1(VALU_DEP_1)
	v_lshl_or_b32 v2, v5, 21, v2
                                        ; implicit-def: $vgpr5
	v_add_nc_u32_e32 v3, 0x38000000, v2
                                        ; implicit-def: $vgpr2
.LBB6_8456:                             ;   in Loop: Header=BB6_8318 Depth=3
	s_and_not1_saveexec_b32 s73, s13
; %bb.8457:                             ;   in Loop: Header=BB6_8318 Depth=3
	v_cmp_lt_i16_e64 s13, -1, v2
	v_mov_b32_e32 v2, 0x7f800000
	v_cmp_eq_u32_e32 vcc_lo, 0, v5
	s_delay_alu instid0(VALU_DEP_2) | instskip(NEXT) | instid1(VALU_DEP_1)
	v_cndmask_b32_e64 v2, 0xff800000, v2, s13
	v_cndmask_b32_e32 v3, 0x7f800001, v2, vcc_lo
; %bb.8458:                             ;   in Loop: Header=BB6_8318 Depth=3
	s_or_b32 exec_lo, exec_lo, s73
.LBB6_8459:                             ;   in Loop: Header=BB6_8318 Depth=3
	s_delay_alu instid0(SALU_CYCLE_1)
	s_or_b32 exec_lo, exec_lo, s72
.LBB6_8460:                             ;   in Loop: Header=BB6_8318 Depth=3
	s_delay_alu instid0(SALU_CYCLE_1) | instskip(NEXT) | instid1(SALU_CYCLE_1)
	s_or_b32 exec_lo, exec_lo, s43
	s_mov_b32 s43, exec_lo
	v_cmpx_ne_u16_e32 0, v64
	s_cbranch_execz .LBB6_8470
; %bb.8461:                             ;   in Loop: Header=BB6_8318 Depth=3
	v_bfrev_b32_e32 v1, 1
	s_mov_b32 s72, exec_lo
	v_cmpx_ne_u16_e32 0xff80, v64
	s_cbranch_execz .LBB6_8469
; %bb.8462:                             ;   in Loop: Header=BB6_8318 Depth=3
	v_and_b32_e32 v1, 0x7c, v64
	v_and_b32_e32 v2, 3, v64
	s_delay_alu instid0(VALU_DEP_2) | instskip(SKIP_1) | instid1(SALU_CYCLE_1)
	v_cmp_ne_u32_e32 vcc_lo, 0x7c, v1
                                        ; implicit-def: $vgpr1
	s_and_saveexec_b32 s13, vcc_lo
	s_xor_b32 s13, exec_lo, s13
	s_cbranch_execz .LBB6_8466
; %bb.8463:                             ;   in Loop: Header=BB6_8318 Depth=3
	v_and_b32_e32 v1, 0xff, v64
	s_mov_b32 s73, exec_lo
	s_delay_alu instid0(VALU_DEP_1) | instskip(NEXT) | instid1(VALU_DEP_1)
	v_bfe_u32 v1, v1, 2, 5
	v_cmpx_eq_u32_e32 0, v1
	s_cbranch_execz .LBB6_8465
; %bb.8464:                             ;   in Loop: Header=BB6_8318 Depth=3
	v_clz_i32_u32_e32 v1, v2
	s_delay_alu instid0(VALU_DEP_1) | instskip(SKIP_1) | instid1(VALU_DEP_2)
	v_min_u32_e32 v1, 32, v1
	v_mov_b32_e32 v65, v21
	v_subrev_nc_u32_e32 v2, 29, v1
	v_sub_nc_u32_e32 v1, 30, v1
	s_delay_alu instid0(VALU_DEP_2) | instskip(NEXT) | instid1(VALU_DEP_1)
	v_lshlrev_b64_e32 v[14:15], v2, v[64:65]
	v_and_b32_e32 v2, 3, v14
.LBB6_8465:                             ;   in Loop: Header=BB6_8318 Depth=3
	s_or_b32 exec_lo, exec_lo, s73
	v_bfe_i32 v5, v64, 0, 16
                                        ; implicit-def: $vgpr64
	s_delay_alu instid0(VALU_DEP_1) | instskip(NEXT) | instid1(VALU_DEP_1)
	v_and_b32_e32 v5, 0x80000000, v5
	v_lshl_add_u32 v1, v1, 23, v5
	s_delay_alu instid0(VALU_DEP_1) | instskip(NEXT) | instid1(VALU_DEP_1)
	v_lshl_or_b32 v1, v2, 21, v1
                                        ; implicit-def: $vgpr2
	v_add_nc_u32_e32 v1, 0x38000000, v1
.LBB6_8466:                             ;   in Loop: Header=BB6_8318 Depth=3
	s_and_not1_saveexec_b32 s73, s13
; %bb.8467:                             ;   in Loop: Header=BB6_8318 Depth=3
	v_cmp_lt_i16_e64 s13, -1, v64
	v_mov_b32_e32 v1, 0x7f800000
	v_cmp_eq_u32_e32 vcc_lo, 0, v2
	s_delay_alu instid0(VALU_DEP_2) | instskip(NEXT) | instid1(VALU_DEP_1)
	v_cndmask_b32_e64 v1, 0xff800000, v1, s13
	v_cndmask_b32_e32 v1, 0x7f800001, v1, vcc_lo
; %bb.8468:                             ;   in Loop: Header=BB6_8318 Depth=3
	s_or_b32 exec_lo, exec_lo, s73
.LBB6_8469:                             ;   in Loop: Header=BB6_8318 Depth=3
	s_delay_alu instid0(SALU_CYCLE_1)
	s_or_b32 exec_lo, exec_lo, s72
.LBB6_8470:                             ;   in Loop: Header=BB6_8318 Depth=3
	s_delay_alu instid0(SALU_CYCLE_1) | instskip(NEXT) | instid1(VALU_DEP_1)
	s_or_b32 exec_lo, exec_lo, s43
	v_dual_mul_f32 v5, v3, v1 :: v_dual_mov_b32 v3, v21
                                        ; implicit-def: $vgpr17
	s_delay_alu instid0(VALU_DEP_1) | instskip(NEXT) | instid1(VALU_DEP_1)
	v_and_b32_e32 v2, 0x7f800000, v5
	v_cmp_ne_u64_e32 vcc_lo, 0x7f800000, v[2:3]
	v_and_b32_e32 v2, 0x7fffff, v5
	s_and_saveexec_b32 s13, vcc_lo
	s_delay_alu instid0(SALU_CYCLE_1)
	s_xor_b32 s43, exec_lo, s13
	s_cbranch_execz .LBB6_8488
; %bb.8471:                             ;   in Loop: Header=BB6_8318 Depth=3
	v_dual_mov_b32 v15, v21 :: v_dual_lshrrev_b32 v1, 24, v5
	v_and_b32_e32 v14, 0x7fffffff, v5
                                        ; implicit-def: $vgpr17
	s_mov_b32 s13, exec_lo
	s_delay_alu instid0(VALU_DEP_2) | instskip(NEXT) | instid1(VALU_DEP_2)
	v_and_b32_e32 v1, 0x80, v1
	v_cmpx_gt_u64_e32 0x47600001, v[14:15]
	s_xor_b32 s72, exec_lo, s13
	s_cbranch_execz .LBB6_8485
; %bb.8472:                             ;   in Loop: Header=BB6_8318 Depth=3
	v_mov_b32_e32 v17, 0
	s_mov_b32 s73, exec_lo
	v_cmpx_ne_u32_e32 0, v5
	s_cbranch_execz .LBB6_8484
; %bb.8473:                             ;   in Loop: Header=BB6_8318 Depth=3
	v_bfe_u32 v5, v5, 23, 8
	v_or_b32_e32 v14, 0x800000, v2
	s_delay_alu instid0(VALU_DEP_2) | instskip(SKIP_1) | instid1(VALU_DEP_3)
	v_cmp_eq_u32_e32 vcc_lo, 0, v5
	v_cmp_gt_u32_e64 s13, 0x72, v5
	v_dual_cndmask_b32 v2, v14, v2 :: v_dual_sub_nc_u32 v7, 0x71, v5
	s_delay_alu instid0(VALU_DEP_1) | instskip(NEXT) | instid1(VALU_DEP_1)
	v_cndmask_b32_e64 v7, 0, v7, s13
	v_cndmask_b32_e64 v7, v7, 0x70, vcc_lo
	s_delay_alu instid0(VALU_DEP_1) | instskip(NEXT) | instid1(VALU_DEP_1)
	v_dual_add_nc_u32 v14, 21, v7 :: v_dual_add_nc_u32 v17, 20, v7
	v_lshlrev_b64_e64 v[14:15], v14, -1
	s_delay_alu instid0(VALU_DEP_2) | instskip(NEXT) | instid1(VALU_DEP_2)
	v_lshlrev_b64_e64 v[18:19], v17, 1
	v_bfi_b32 v14, v14, 0, v2
	v_lshrrev_b64 v[2:3], v7, v[2:3]
	s_delay_alu instid0(VALU_DEP_4) | instskip(NEXT) | instid1(VALU_DEP_1)
	v_bfi_b32 v15, v15, 0, 0
	v_cmp_eq_u64_e64 s13, v[14:15], v[18:19]
	s_delay_alu instid0(VALU_DEP_3)
	v_mov_b64_e32 v[14:15], v[2:3]
	s_and_saveexec_b32 s74, s13
; %bb.8474:                             ;   in Loop: Header=BB6_8318 Depth=3
	v_bfe_u32 v14, v2, 21, 1
	v_mov_b32_e32 v15, v21
	s_delay_alu instid0(VALU_DEP_1) | instskip(NEXT) | instid1(VALU_DEP_1)
	v_add_nc_u64_e32 v[14:15], v[2:3], v[14:15]
	v_add_nc_u64_e32 v[14:15], -1, v[14:15]
; %bb.8475:                             ;   in Loop: Header=BB6_8318 Depth=3
	s_or_b32 exec_lo, exec_lo, s74
	v_add_nc_u32_e32 v3, 0xffffff81, v5
	v_lshrrev_b32_e32 v5, 23, v2
	s_mov_b32 s13, exec_lo
	s_delay_alu instid0(VALU_DEP_2) | instskip(NEXT) | instid1(VALU_DEP_1)
	v_cndmask_b32_e64 v3, v3, 0xffffff82, vcc_lo
	v_add3_u32 v15, v7, v3, v5
	v_and_b32_e32 v3, 0x1fffff, v14
                                        ; implicit-def: $vgpr5
	s_delay_alu instid0(VALU_DEP_1) | instskip(SKIP_1) | instid1(VALU_DEP_2)
	v_dual_add_nc_u32 v7, 14, v15 :: v_dual_add_nc_u32 v2, v3, v2
	v_mov_b32_e32 v3, v21
	v_cmpx_ne_u32_e32 0, v7
	s_xor_b32 s13, exec_lo, s13
; %bb.8476:                             ;   in Loop: Header=BB6_8318 Depth=3
	s_delay_alu instid0(VALU_DEP_2) | instskip(SKIP_1) | instid1(VALU_DEP_1)
	v_cmp_lt_u64_e32 vcc_lo, 0xffffff, v[2:3]
	v_add_nc_u32_e32 v5, 15, v15
	v_cndmask_b32_e32 v5, v7, v5, vcc_lo
	v_cndmask_b32_e64 v7, 0, 1, vcc_lo
	s_delay_alu instid0(VALU_DEP_1)
	v_lshrrev_b64 v[2:3], v7, v[2:3]
; %bb.8477:                             ;   in Loop: Header=BB6_8318 Depth=3
	s_and_not1_saveexec_b32 s13, s13
; %bb.8478:                             ;   in Loop: Header=BB6_8318 Depth=3
	s_delay_alu instid0(VALU_DEP_1)
	v_bfe_u32 v5, v2, 23, 1
; %bb.8479:                             ;   in Loop: Header=BB6_8318 Depth=3
	s_or_b32 exec_lo, exec_lo, s13
	s_delay_alu instid0(VALU_DEP_2) | instskip(NEXT) | instid1(VALU_DEP_2)
	v_lshrrev_b64 v[2:3], 21, v[2:3]
	v_cmp_gt_i32_e32 vcc_lo, 32, v5
	v_cmp_ne_u32_e64 s13, 0, v5
                                        ; implicit-def: $vgpr17
	s_delay_alu instid0(VALU_DEP_3) | instskip(NEXT) | instid1(VALU_DEP_1)
	v_dual_cndmask_b32 v3, 0, v3 :: v_dual_cndmask_b32 v2, 3, v2
	v_cmp_ne_u64_e32 vcc_lo, 0, v[2:3]
	s_or_b32 s13, s13, vcc_lo
	s_delay_alu instid0(SALU_CYCLE_1) | instskip(NEXT) | instid1(SALU_CYCLE_1)
	s_and_saveexec_b32 s74, s13
	s_xor_b32 s13, exec_lo, s74
; %bb.8480:                             ;   in Loop: Header=BB6_8318 Depth=3
	v_min_i32_e32 v3, 31, v5
	s_delay_alu instid0(VALU_DEP_1) | instskip(NEXT) | instid1(VALU_DEP_1)
	v_lshl_or_b32 v1, v3, 2, v1
	v_and_or_b32 v17, v2, 3, v1
                                        ; implicit-def: $vgpr1
; %bb.8481:                             ;   in Loop: Header=BB6_8318 Depth=3
	s_and_not1_saveexec_b32 s13, s13
; %bb.8482:                             ;   in Loop: Header=BB6_8318 Depth=3
	v_mov_b32_e32 v17, v1
; %bb.8483:                             ;   in Loop: Header=BB6_8318 Depth=3
	s_or_b32 exec_lo, exec_lo, s13
.LBB6_8484:                             ;   in Loop: Header=BB6_8318 Depth=3
	s_delay_alu instid0(SALU_CYCLE_1)
	s_or_b32 exec_lo, exec_lo, s73
                                        ; implicit-def: $vgpr1
.LBB6_8485:                             ;   in Loop: Header=BB6_8318 Depth=3
	s_and_not1_saveexec_b32 s13, s72
; %bb.8486:                             ;   in Loop: Header=BB6_8318 Depth=3
	v_or_b32_e32 v17, 0x7b, v1
; %bb.8487:                             ;   in Loop: Header=BB6_8318 Depth=3
	s_or_b32 exec_lo, exec_lo, s13
                                        ; implicit-def: $vgpr5
                                        ; implicit-def: $vgpr2_vgpr3
.LBB6_8488:                             ;   in Loop: Header=BB6_8318 Depth=3
	s_and_not1_saveexec_b32 s13, s43
	s_cbranch_execz .LBB6_8494
; %bb.8489:                             ;   in Loop: Header=BB6_8318 Depth=3
	s_mov_b32 s43, exec_lo
                                        ; implicit-def: $vgpr17
	v_cmpx_ne_u64_e32 0, v[2:3]
	s_xor_b32 s43, exec_lo, s43
; %bb.8490:                             ;   in Loop: Header=BB6_8318 Depth=3
	v_lshrrev_b32_e32 v1, 24, v5
                                        ; implicit-def: $vgpr5
	s_delay_alu instid0(VALU_DEP_1)
	v_or_b32_e32 v17, 0x7f, v1
; %bb.8491:                             ;   in Loop: Header=BB6_8318 Depth=3
	s_and_not1_saveexec_b32 s43, s43
; %bb.8492:                             ;   in Loop: Header=BB6_8318 Depth=3
	v_cmp_lt_i32_e32 vcc_lo, -1, v5
	v_cndmask_b32_e64 v17, -4, 0x7c, vcc_lo
; %bb.8493:                             ;   in Loop: Header=BB6_8318 Depth=3
	s_or_b32 exec_lo, exec_lo, s43
.LBB6_8494:                             ;   in Loop: Header=BB6_8318 Depth=3
	s_delay_alu instid0(SALU_CYCLE_1)
	s_or_b32 exec_lo, exec_lo, s13
	v_dual_mov_b32 v1, 0 :: v_dual_mov_b32 v2, 0
	s_mov_b32 s43, exec_lo
	v_cmpx_ne_u16_e32 0, v82
	s_cbranch_execz .LBB6_8504
; %bb.8495:                             ;   in Loop: Header=BB6_8318 Depth=3
	v_bfrev_b32_e32 v2, 1
	s_mov_b32 s72, exec_lo
	v_cmpx_ne_u16_e32 0xff80, v82
	s_cbranch_execz .LBB6_8503
; %bb.8496:                             ;   in Loop: Header=BB6_8318 Depth=3
	v_and_b32_e32 v2, 0x7c, v82
	v_and_b32_e32 v3, 3, v82
	s_delay_alu instid0(VALU_DEP_2) | instskip(SKIP_1) | instid1(SALU_CYCLE_1)
	v_cmp_ne_u32_e32 vcc_lo, 0x7c, v2
                                        ; implicit-def: $vgpr2
	s_and_saveexec_b32 s13, vcc_lo
	s_xor_b32 s13, exec_lo, s13
	s_cbranch_execz .LBB6_8500
; %bb.8497:                             ;   in Loop: Header=BB6_8318 Depth=3
	v_and_b32_e32 v2, 0xff, v82
	s_mov_b32 s73, exec_lo
	s_delay_alu instid0(VALU_DEP_1) | instskip(NEXT) | instid1(VALU_DEP_1)
	v_bfe_u32 v2, v2, 2, 5
	v_cmpx_eq_u32_e32 0, v2
	s_cbranch_execz .LBB6_8499
; %bb.8498:                             ;   in Loop: Header=BB6_8318 Depth=3
	v_clz_i32_u32_e32 v2, v3
	s_delay_alu instid0(VALU_DEP_1) | instskip(SKIP_1) | instid1(VALU_DEP_2)
	v_min_u32_e32 v2, 32, v2
	v_mov_b32_e32 v83, v21
	v_subrev_nc_u32_e32 v3, 29, v2
	v_sub_nc_u32_e32 v2, 30, v2
	s_delay_alu instid0(VALU_DEP_2) | instskip(NEXT) | instid1(VALU_DEP_1)
	v_lshlrev_b64_e32 v[14:15], v3, v[82:83]
	v_and_b32_e32 v3, 3, v14
.LBB6_8499:                             ;   in Loop: Header=BB6_8318 Depth=3
	s_or_b32 exec_lo, exec_lo, s73
	v_bfe_i32 v5, v82, 0, 16
                                        ; implicit-def: $vgpr82
	s_delay_alu instid0(VALU_DEP_1) | instskip(NEXT) | instid1(VALU_DEP_1)
	v_and_b32_e32 v5, 0x80000000, v5
	v_lshl_add_u32 v2, v2, 23, v5
	s_delay_alu instid0(VALU_DEP_1) | instskip(NEXT) | instid1(VALU_DEP_1)
	v_lshl_or_b32 v2, v3, 21, v2
                                        ; implicit-def: $vgpr3
	v_add_nc_u32_e32 v2, 0x38000000, v2
.LBB6_8500:                             ;   in Loop: Header=BB6_8318 Depth=3
	s_and_not1_saveexec_b32 s73, s13
; %bb.8501:                             ;   in Loop: Header=BB6_8318 Depth=3
	v_cmp_lt_i16_e64 s13, -1, v82
	v_mov_b32_e32 v2, 0x7f800000
	v_cmp_eq_u32_e32 vcc_lo, 0, v3
	s_delay_alu instid0(VALU_DEP_2) | instskip(NEXT) | instid1(VALU_DEP_1)
	v_cndmask_b32_e64 v2, 0xff800000, v2, s13
	v_cndmask_b32_e32 v2, 0x7f800001, v2, vcc_lo
; %bb.8502:                             ;   in Loop: Header=BB6_8318 Depth=3
	s_or_b32 exec_lo, exec_lo, s73
.LBB6_8503:                             ;   in Loop: Header=BB6_8318 Depth=3
	s_delay_alu instid0(SALU_CYCLE_1)
	s_or_b32 exec_lo, exec_lo, s72
.LBB6_8504:                             ;   in Loop: Header=BB6_8318 Depth=3
	s_delay_alu instid0(SALU_CYCLE_1) | instskip(NEXT) | instid1(SALU_CYCLE_1)
	s_or_b32 exec_lo, exec_lo, s43
	s_mov_b32 s43, exec_lo
	v_cmpx_ne_u16_e32 0, v112
	s_cbranch_execz .LBB6_8514
; %bb.8505:                             ;   in Loop: Header=BB6_8318 Depth=3
	v_bfrev_b32_e32 v1, 1
	s_mov_b32 s72, exec_lo
	v_cmpx_ne_u16_e32 0xff80, v112
	s_cbranch_execz .LBB6_8513
; %bb.8506:                             ;   in Loop: Header=BB6_8318 Depth=3
	v_and_b32_e32 v1, 0x7c, v112
	v_and_b32_e32 v3, 3, v112
	s_delay_alu instid0(VALU_DEP_2) | instskip(SKIP_1) | instid1(SALU_CYCLE_1)
	v_cmp_ne_u32_e32 vcc_lo, 0x7c, v1
                                        ; implicit-def: $vgpr1
	s_and_saveexec_b32 s13, vcc_lo
	s_xor_b32 s13, exec_lo, s13
	s_cbranch_execz .LBB6_8510
; %bb.8507:                             ;   in Loop: Header=BB6_8318 Depth=3
	v_and_b32_e32 v1, 0xff, v112
	s_mov_b32 s73, exec_lo
	s_delay_alu instid0(VALU_DEP_1) | instskip(NEXT) | instid1(VALU_DEP_1)
	v_bfe_u32 v1, v1, 2, 5
	v_cmpx_eq_u32_e32 0, v1
	s_cbranch_execz .LBB6_8509
; %bb.8508:                             ;   in Loop: Header=BB6_8318 Depth=3
	v_clz_i32_u32_e32 v1, v3
	s_delay_alu instid0(VALU_DEP_1) | instskip(SKIP_1) | instid1(VALU_DEP_2)
	v_min_u32_e32 v1, 32, v1
	v_mov_b32_e32 v113, v21
	v_subrev_nc_u32_e32 v3, 29, v1
	v_sub_nc_u32_e32 v1, 30, v1
	s_delay_alu instid0(VALU_DEP_2) | instskip(NEXT) | instid1(VALU_DEP_1)
	v_lshlrev_b64_e32 v[14:15], v3, v[112:113]
	v_and_b32_e32 v3, 3, v14
.LBB6_8509:                             ;   in Loop: Header=BB6_8318 Depth=3
	s_or_b32 exec_lo, exec_lo, s73
	v_bfe_i32 v5, v112, 0, 16
                                        ; implicit-def: $vgpr112
	s_delay_alu instid0(VALU_DEP_1) | instskip(NEXT) | instid1(VALU_DEP_1)
	v_and_b32_e32 v5, 0x80000000, v5
	v_lshl_add_u32 v1, v1, 23, v5
	s_delay_alu instid0(VALU_DEP_1) | instskip(NEXT) | instid1(VALU_DEP_1)
	v_lshl_or_b32 v1, v3, 21, v1
                                        ; implicit-def: $vgpr3
	v_add_nc_u32_e32 v1, 0x38000000, v1
.LBB6_8510:                             ;   in Loop: Header=BB6_8318 Depth=3
	s_and_not1_saveexec_b32 s73, s13
; %bb.8511:                             ;   in Loop: Header=BB6_8318 Depth=3
	v_cmp_lt_i16_e64 s13, -1, v112
	v_mov_b32_e32 v1, 0x7f800000
	v_cmp_eq_u32_e32 vcc_lo, 0, v3
	s_delay_alu instid0(VALU_DEP_2) | instskip(NEXT) | instid1(VALU_DEP_1)
	v_cndmask_b32_e64 v1, 0xff800000, v1, s13
	v_cndmask_b32_e32 v1, 0x7f800001, v1, vcc_lo
; %bb.8512:                             ;   in Loop: Header=BB6_8318 Depth=3
	s_or_b32 exec_lo, exec_lo, s73
.LBB6_8513:                             ;   in Loop: Header=BB6_8318 Depth=3
	s_delay_alu instid0(SALU_CYCLE_1)
	s_or_b32 exec_lo, exec_lo, s72
.LBB6_8514:                             ;   in Loop: Header=BB6_8318 Depth=3
	s_delay_alu instid0(SALU_CYCLE_1) | instskip(NEXT) | instid1(VALU_DEP_1)
	s_or_b32 exec_lo, exec_lo, s43
	v_dual_mul_f32 v5, v2, v1 :: v_dual_mov_b32 v3, v21
                                        ; implicit-def: $vgpr18
	s_delay_alu instid0(VALU_DEP_1) | instskip(NEXT) | instid1(VALU_DEP_1)
	v_and_b32_e32 v2, 0x7f800000, v5
	v_cmp_ne_u64_e32 vcc_lo, 0x7f800000, v[2:3]
	v_and_b32_e32 v2, 0x7fffff, v5
	s_and_saveexec_b32 s13, vcc_lo
	s_delay_alu instid0(SALU_CYCLE_1)
	s_xor_b32 s43, exec_lo, s13
	s_cbranch_execz .LBB6_8532
; %bb.8515:                             ;   in Loop: Header=BB6_8318 Depth=3
	v_dual_mov_b32 v15, v21 :: v_dual_lshrrev_b32 v1, 24, v5
	v_and_b32_e32 v14, 0x7fffffff, v5
                                        ; implicit-def: $vgpr18
	s_mov_b32 s13, exec_lo
	s_delay_alu instid0(VALU_DEP_2) | instskip(NEXT) | instid1(VALU_DEP_2)
	v_and_b32_e32 v1, 0x80, v1
	v_cmpx_gt_u64_e32 0x47600001, v[14:15]
	s_xor_b32 s72, exec_lo, s13
	s_cbranch_execz .LBB6_8529
; %bb.8516:                             ;   in Loop: Header=BB6_8318 Depth=3
	v_mov_b32_e32 v18, 0
	s_mov_b32 s73, exec_lo
	v_cmpx_ne_u32_e32 0, v5
	s_cbranch_execz .LBB6_8528
; %bb.8517:                             ;   in Loop: Header=BB6_8318 Depth=3
	v_bfe_u32 v5, v5, 23, 8
	v_or_b32_e32 v14, 0x800000, v2
	s_delay_alu instid0(VALU_DEP_2) | instskip(SKIP_1) | instid1(VALU_DEP_3)
	v_cmp_eq_u32_e32 vcc_lo, 0, v5
	v_cmp_gt_u32_e64 s13, 0x72, v5
	v_dual_cndmask_b32 v2, v14, v2 :: v_dual_sub_nc_u32 v7, 0x71, v5
	s_delay_alu instid0(VALU_DEP_1) | instskip(NEXT) | instid1(VALU_DEP_1)
	v_cndmask_b32_e64 v7, 0, v7, s13
	v_cndmask_b32_e64 v7, v7, 0x70, vcc_lo
	s_delay_alu instid0(VALU_DEP_1) | instskip(NEXT) | instid1(VALU_DEP_1)
	v_dual_add_nc_u32 v14, 21, v7 :: v_dual_add_nc_u32 v18, 20, v7
	v_lshlrev_b64_e64 v[14:15], v14, -1
	s_delay_alu instid0(VALU_DEP_2) | instskip(NEXT) | instid1(VALU_DEP_2)
	v_lshlrev_b64_e64 v[18:19], v18, 1
	v_bfi_b32 v14, v14, 0, v2
	v_lshrrev_b64 v[2:3], v7, v[2:3]
	s_delay_alu instid0(VALU_DEP_4) | instskip(NEXT) | instid1(VALU_DEP_1)
	v_bfi_b32 v15, v15, 0, 0
	v_cmp_eq_u64_e64 s13, v[14:15], v[18:19]
	s_delay_alu instid0(VALU_DEP_3)
	v_mov_b64_e32 v[14:15], v[2:3]
	s_and_saveexec_b32 s74, s13
; %bb.8518:                             ;   in Loop: Header=BB6_8318 Depth=3
	v_bfe_u32 v14, v2, 21, 1
	v_mov_b32_e32 v15, v21
	s_delay_alu instid0(VALU_DEP_1) | instskip(NEXT) | instid1(VALU_DEP_1)
	v_add_nc_u64_e32 v[14:15], v[2:3], v[14:15]
	v_add_nc_u64_e32 v[14:15], -1, v[14:15]
; %bb.8519:                             ;   in Loop: Header=BB6_8318 Depth=3
	s_or_b32 exec_lo, exec_lo, s74
	v_add_nc_u32_e32 v3, 0xffffff81, v5
	v_lshrrev_b32_e32 v5, 23, v2
	s_mov_b32 s13, exec_lo
	s_delay_alu instid0(VALU_DEP_2) | instskip(NEXT) | instid1(VALU_DEP_1)
	v_cndmask_b32_e64 v3, v3, 0xffffff82, vcc_lo
	v_add3_u32 v15, v7, v3, v5
	v_and_b32_e32 v3, 0x1fffff, v14
                                        ; implicit-def: $vgpr5
	s_delay_alu instid0(VALU_DEP_1) | instskip(SKIP_1) | instid1(VALU_DEP_2)
	v_dual_add_nc_u32 v7, 14, v15 :: v_dual_add_nc_u32 v2, v3, v2
	v_mov_b32_e32 v3, v21
	v_cmpx_ne_u32_e32 0, v7
	s_xor_b32 s13, exec_lo, s13
; %bb.8520:                             ;   in Loop: Header=BB6_8318 Depth=3
	s_delay_alu instid0(VALU_DEP_2) | instskip(SKIP_1) | instid1(VALU_DEP_1)
	v_cmp_lt_u64_e32 vcc_lo, 0xffffff, v[2:3]
	v_add_nc_u32_e32 v5, 15, v15
	v_cndmask_b32_e32 v5, v7, v5, vcc_lo
	v_cndmask_b32_e64 v7, 0, 1, vcc_lo
	s_delay_alu instid0(VALU_DEP_1)
	v_lshrrev_b64 v[2:3], v7, v[2:3]
; %bb.8521:                             ;   in Loop: Header=BB6_8318 Depth=3
	s_and_not1_saveexec_b32 s13, s13
; %bb.8522:                             ;   in Loop: Header=BB6_8318 Depth=3
	s_delay_alu instid0(VALU_DEP_1)
	v_bfe_u32 v5, v2, 23, 1
; %bb.8523:                             ;   in Loop: Header=BB6_8318 Depth=3
	s_or_b32 exec_lo, exec_lo, s13
	s_delay_alu instid0(VALU_DEP_2) | instskip(NEXT) | instid1(VALU_DEP_2)
	v_lshrrev_b64 v[2:3], 21, v[2:3]
	v_cmp_gt_i32_e32 vcc_lo, 32, v5
	v_cmp_ne_u32_e64 s13, 0, v5
                                        ; implicit-def: $vgpr18
	s_delay_alu instid0(VALU_DEP_3) | instskip(NEXT) | instid1(VALU_DEP_1)
	v_dual_cndmask_b32 v3, 0, v3 :: v_dual_cndmask_b32 v2, 3, v2
	v_cmp_ne_u64_e32 vcc_lo, 0, v[2:3]
	s_or_b32 s13, s13, vcc_lo
	s_delay_alu instid0(SALU_CYCLE_1) | instskip(NEXT) | instid1(SALU_CYCLE_1)
	s_and_saveexec_b32 s74, s13
	s_xor_b32 s13, exec_lo, s74
; %bb.8524:                             ;   in Loop: Header=BB6_8318 Depth=3
	v_min_i32_e32 v3, 31, v5
	s_delay_alu instid0(VALU_DEP_1) | instskip(NEXT) | instid1(VALU_DEP_1)
	v_lshl_or_b32 v1, v3, 2, v1
	v_and_or_b32 v18, v2, 3, v1
                                        ; implicit-def: $vgpr1
; %bb.8525:                             ;   in Loop: Header=BB6_8318 Depth=3
	s_and_not1_saveexec_b32 s13, s13
; %bb.8526:                             ;   in Loop: Header=BB6_8318 Depth=3
	v_mov_b32_e32 v18, v1
; %bb.8527:                             ;   in Loop: Header=BB6_8318 Depth=3
	s_or_b32 exec_lo, exec_lo, s13
.LBB6_8528:                             ;   in Loop: Header=BB6_8318 Depth=3
	s_delay_alu instid0(SALU_CYCLE_1)
	s_or_b32 exec_lo, exec_lo, s73
                                        ; implicit-def: $vgpr1
.LBB6_8529:                             ;   in Loop: Header=BB6_8318 Depth=3
	s_and_not1_saveexec_b32 s13, s72
; %bb.8530:                             ;   in Loop: Header=BB6_8318 Depth=3
	v_or_b32_e32 v18, 0x7b, v1
; %bb.8531:                             ;   in Loop: Header=BB6_8318 Depth=3
	s_or_b32 exec_lo, exec_lo, s13
                                        ; implicit-def: $vgpr5
                                        ; implicit-def: $vgpr2_vgpr3
.LBB6_8532:                             ;   in Loop: Header=BB6_8318 Depth=3
	s_and_not1_saveexec_b32 s13, s43
	s_cbranch_execz .LBB6_8538
; %bb.8533:                             ;   in Loop: Header=BB6_8318 Depth=3
	s_mov_b32 s43, exec_lo
                                        ; implicit-def: $vgpr18
	v_cmpx_ne_u64_e32 0, v[2:3]
	s_xor_b32 s43, exec_lo, s43
; %bb.8534:                             ;   in Loop: Header=BB6_8318 Depth=3
	v_lshrrev_b32_e32 v1, 24, v5
                                        ; implicit-def: $vgpr5
	s_delay_alu instid0(VALU_DEP_1)
	v_or_b32_e32 v18, 0x7f, v1
; %bb.8535:                             ;   in Loop: Header=BB6_8318 Depth=3
	s_and_not1_saveexec_b32 s43, s43
; %bb.8536:                             ;   in Loop: Header=BB6_8318 Depth=3
	v_cmp_lt_i32_e32 vcc_lo, -1, v5
	v_cndmask_b32_e64 v18, -4, 0x7c, vcc_lo
; %bb.8537:                             ;   in Loop: Header=BB6_8318 Depth=3
	s_or_b32 exec_lo, exec_lo, s43
.LBB6_8538:                             ;   in Loop: Header=BB6_8318 Depth=3
	s_delay_alu instid0(SALU_CYCLE_1)
	s_or_b32 exec_lo, exec_lo, s13
	v_dual_mov_b32 v1, 0 :: v_dual_mov_b32 v2, 0
	s_mov_b32 s43, exec_lo
	v_cmpx_ne_u16_e32 0, v80
	s_cbranch_execz .LBB6_8548
; %bb.8539:                             ;   in Loop: Header=BB6_8318 Depth=3
	v_bfrev_b32_e32 v2, 1
	s_mov_b32 s72, exec_lo
	v_cmpx_ne_u16_e32 0xff80, v80
	s_cbranch_execz .LBB6_8547
; %bb.8540:                             ;   in Loop: Header=BB6_8318 Depth=3
	v_and_b32_e32 v2, 0x7c, v80
	v_and_b32_e32 v3, 3, v80
	s_delay_alu instid0(VALU_DEP_2) | instskip(SKIP_1) | instid1(SALU_CYCLE_1)
	v_cmp_ne_u32_e32 vcc_lo, 0x7c, v2
                                        ; implicit-def: $vgpr2
	s_and_saveexec_b32 s13, vcc_lo
	s_xor_b32 s13, exec_lo, s13
	s_cbranch_execz .LBB6_8544
; %bb.8541:                             ;   in Loop: Header=BB6_8318 Depth=3
	v_and_b32_e32 v2, 0xff, v80
	s_mov_b32 s73, exec_lo
	s_delay_alu instid0(VALU_DEP_1) | instskip(NEXT) | instid1(VALU_DEP_1)
	v_bfe_u32 v2, v2, 2, 5
	v_cmpx_eq_u32_e32 0, v2
	s_cbranch_execz .LBB6_8543
; %bb.8542:                             ;   in Loop: Header=BB6_8318 Depth=3
	v_clz_i32_u32_e32 v2, v3
	s_delay_alu instid0(VALU_DEP_1) | instskip(SKIP_1) | instid1(VALU_DEP_2)
	v_min_u32_e32 v2, 32, v2
	v_mov_b32_e32 v81, v21
	v_subrev_nc_u32_e32 v3, 29, v2
	v_sub_nc_u32_e32 v2, 30, v2
	s_delay_alu instid0(VALU_DEP_2) | instskip(NEXT) | instid1(VALU_DEP_1)
	v_lshlrev_b64_e32 v[14:15], v3, v[80:81]
	v_and_b32_e32 v3, 3, v14
.LBB6_8543:                             ;   in Loop: Header=BB6_8318 Depth=3
	s_or_b32 exec_lo, exec_lo, s73
	v_bfe_i32 v5, v80, 0, 16
                                        ; implicit-def: $vgpr80
	s_delay_alu instid0(VALU_DEP_1) | instskip(NEXT) | instid1(VALU_DEP_1)
	v_and_b32_e32 v5, 0x80000000, v5
	v_lshl_add_u32 v2, v2, 23, v5
	s_delay_alu instid0(VALU_DEP_1) | instskip(NEXT) | instid1(VALU_DEP_1)
	v_lshl_or_b32 v2, v3, 21, v2
                                        ; implicit-def: $vgpr3
	v_add_nc_u32_e32 v2, 0x38000000, v2
.LBB6_8544:                             ;   in Loop: Header=BB6_8318 Depth=3
	s_and_not1_saveexec_b32 s73, s13
; %bb.8545:                             ;   in Loop: Header=BB6_8318 Depth=3
	v_cmp_lt_i16_e64 s13, -1, v80
	v_mov_b32_e32 v2, 0x7f800000
	v_cmp_eq_u32_e32 vcc_lo, 0, v3
	s_delay_alu instid0(VALU_DEP_2) | instskip(NEXT) | instid1(VALU_DEP_1)
	v_cndmask_b32_e64 v2, 0xff800000, v2, s13
	v_cndmask_b32_e32 v2, 0x7f800001, v2, vcc_lo
; %bb.8546:                             ;   in Loop: Header=BB6_8318 Depth=3
	s_or_b32 exec_lo, exec_lo, s73
.LBB6_8547:                             ;   in Loop: Header=BB6_8318 Depth=3
	s_delay_alu instid0(SALU_CYCLE_1)
	s_or_b32 exec_lo, exec_lo, s72
.LBB6_8548:                             ;   in Loop: Header=BB6_8318 Depth=3
	s_delay_alu instid0(SALU_CYCLE_1) | instskip(NEXT) | instid1(SALU_CYCLE_1)
	s_or_b32 exec_lo, exec_lo, s43
	s_mov_b32 s43, exec_lo
	v_cmpx_ne_u16_e32 0, v84
	s_cbranch_execz .LBB6_8558
; %bb.8549:                             ;   in Loop: Header=BB6_8318 Depth=3
	v_bfrev_b32_e32 v1, 1
	s_mov_b32 s72, exec_lo
	v_cmpx_ne_u16_e32 0xff80, v84
	s_cbranch_execz .LBB6_8557
; %bb.8550:                             ;   in Loop: Header=BB6_8318 Depth=3
	v_and_b32_e32 v1, 0x7c, v84
	v_and_b32_e32 v3, 3, v84
	s_delay_alu instid0(VALU_DEP_2) | instskip(SKIP_1) | instid1(SALU_CYCLE_1)
	v_cmp_ne_u32_e32 vcc_lo, 0x7c, v1
                                        ; implicit-def: $vgpr1
	s_and_saveexec_b32 s13, vcc_lo
	s_xor_b32 s13, exec_lo, s13
	s_cbranch_execz .LBB6_8554
; %bb.8551:                             ;   in Loop: Header=BB6_8318 Depth=3
	v_and_b32_e32 v1, 0xff, v84
	s_mov_b32 s73, exec_lo
	s_delay_alu instid0(VALU_DEP_1) | instskip(NEXT) | instid1(VALU_DEP_1)
	v_bfe_u32 v1, v1, 2, 5
	v_cmpx_eq_u32_e32 0, v1
	s_cbranch_execz .LBB6_8553
; %bb.8552:                             ;   in Loop: Header=BB6_8318 Depth=3
	v_clz_i32_u32_e32 v1, v3
	s_delay_alu instid0(VALU_DEP_1) | instskip(SKIP_1) | instid1(VALU_DEP_2)
	v_min_u32_e32 v1, 32, v1
	v_mov_b32_e32 v85, v21
	v_subrev_nc_u32_e32 v3, 29, v1
	v_sub_nc_u32_e32 v1, 30, v1
	s_delay_alu instid0(VALU_DEP_2) | instskip(NEXT) | instid1(VALU_DEP_1)
	v_lshlrev_b64_e32 v[14:15], v3, v[84:85]
	v_and_b32_e32 v3, 3, v14
.LBB6_8553:                             ;   in Loop: Header=BB6_8318 Depth=3
	s_or_b32 exec_lo, exec_lo, s73
	v_bfe_i32 v5, v84, 0, 16
                                        ; implicit-def: $vgpr84
	s_delay_alu instid0(VALU_DEP_1) | instskip(NEXT) | instid1(VALU_DEP_1)
	v_and_b32_e32 v5, 0x80000000, v5
	v_lshl_add_u32 v1, v1, 23, v5
	s_delay_alu instid0(VALU_DEP_1) | instskip(NEXT) | instid1(VALU_DEP_1)
	v_lshl_or_b32 v1, v3, 21, v1
                                        ; implicit-def: $vgpr3
	v_add_nc_u32_e32 v1, 0x38000000, v1
.LBB6_8554:                             ;   in Loop: Header=BB6_8318 Depth=3
	s_and_not1_saveexec_b32 s73, s13
; %bb.8555:                             ;   in Loop: Header=BB6_8318 Depth=3
	v_cmp_lt_i16_e64 s13, -1, v84
	v_mov_b32_e32 v1, 0x7f800000
	v_cmp_eq_u32_e32 vcc_lo, 0, v3
	s_delay_alu instid0(VALU_DEP_2) | instskip(NEXT) | instid1(VALU_DEP_1)
	v_cndmask_b32_e64 v1, 0xff800000, v1, s13
	v_cndmask_b32_e32 v1, 0x7f800001, v1, vcc_lo
; %bb.8556:                             ;   in Loop: Header=BB6_8318 Depth=3
	s_or_b32 exec_lo, exec_lo, s73
.LBB6_8557:                             ;   in Loop: Header=BB6_8318 Depth=3
	s_delay_alu instid0(SALU_CYCLE_1)
	s_or_b32 exec_lo, exec_lo, s72
.LBB6_8558:                             ;   in Loop: Header=BB6_8318 Depth=3
	s_delay_alu instid0(SALU_CYCLE_1) | instskip(NEXT) | instid1(VALU_DEP_1)
	s_or_b32 exec_lo, exec_lo, s43
	v_dual_mul_f32 v5, v2, v1 :: v_dual_mov_b32 v3, v21
                                        ; implicit-def: $vgpr19
	s_delay_alu instid0(VALU_DEP_1) | instskip(NEXT) | instid1(VALU_DEP_1)
	v_and_b32_e32 v2, 0x7f800000, v5
	v_cmp_ne_u64_e32 vcc_lo, 0x7f800000, v[2:3]
	v_and_b32_e32 v2, 0x7fffff, v5
	s_and_saveexec_b32 s13, vcc_lo
	s_delay_alu instid0(SALU_CYCLE_1)
	s_xor_b32 s43, exec_lo, s13
	s_cbranch_execz .LBB6_8576
; %bb.8559:                             ;   in Loop: Header=BB6_8318 Depth=3
	v_dual_mov_b32 v15, v21 :: v_dual_lshrrev_b32 v1, 24, v5
	v_and_b32_e32 v14, 0x7fffffff, v5
                                        ; implicit-def: $vgpr19
	s_mov_b32 s13, exec_lo
	s_delay_alu instid0(VALU_DEP_2) | instskip(NEXT) | instid1(VALU_DEP_2)
	v_and_b32_e32 v1, 0x80, v1
	v_cmpx_gt_u64_e32 0x47600001, v[14:15]
	s_xor_b32 s72, exec_lo, s13
	s_cbranch_execz .LBB6_8573
; %bb.8560:                             ;   in Loop: Header=BB6_8318 Depth=3
	v_mov_b32_e32 v19, 0
	s_mov_b32 s73, exec_lo
	v_cmpx_ne_u32_e32 0, v5
	s_cbranch_execz .LBB6_8572
; %bb.8561:                             ;   in Loop: Header=BB6_8318 Depth=3
	v_bfe_u32 v5, v5, 23, 8
	v_or_b32_e32 v14, 0x800000, v2
	s_delay_alu instid0(VALU_DEP_2) | instskip(SKIP_1) | instid1(VALU_DEP_3)
	v_cmp_eq_u32_e32 vcc_lo, 0, v5
	v_cmp_gt_u32_e64 s13, 0x72, v5
	v_dual_cndmask_b32 v2, v14, v2 :: v_dual_sub_nc_u32 v7, 0x71, v5
	s_delay_alu instid0(VALU_DEP_1) | instskip(NEXT) | instid1(VALU_DEP_1)
	v_cndmask_b32_e64 v7, 0, v7, s13
	v_cndmask_b32_e64 v7, v7, 0x70, vcc_lo
	s_delay_alu instid0(VALU_DEP_1) | instskip(NEXT) | instid1(VALU_DEP_1)
	v_dual_add_nc_u32 v14, 21, v7 :: v_dual_add_nc_u32 v19, 20, v7
	v_lshlrev_b64_e64 v[14:15], v14, -1
	s_delay_alu instid0(VALU_DEP_2) | instskip(NEXT) | instid1(VALU_DEP_2)
	v_lshlrev_b64_e64 v[24:25], v19, 1
	v_bfi_b32 v14, v14, 0, v2
	v_lshrrev_b64 v[2:3], v7, v[2:3]
	s_delay_alu instid0(VALU_DEP_4) | instskip(NEXT) | instid1(VALU_DEP_1)
	v_bfi_b32 v15, v15, 0, 0
	v_cmp_eq_u64_e64 s13, v[14:15], v[24:25]
	s_delay_alu instid0(VALU_DEP_3)
	v_mov_b64_e32 v[14:15], v[2:3]
	s_and_saveexec_b32 s74, s13
; %bb.8562:                             ;   in Loop: Header=BB6_8318 Depth=3
	v_bfe_u32 v14, v2, 21, 1
	v_mov_b32_e32 v15, v21
	s_delay_alu instid0(VALU_DEP_1) | instskip(NEXT) | instid1(VALU_DEP_1)
	v_add_nc_u64_e32 v[14:15], v[2:3], v[14:15]
	v_add_nc_u64_e32 v[14:15], -1, v[14:15]
; %bb.8563:                             ;   in Loop: Header=BB6_8318 Depth=3
	s_or_b32 exec_lo, exec_lo, s74
	v_add_nc_u32_e32 v3, 0xffffff81, v5
	v_lshrrev_b32_e32 v5, 23, v2
	s_mov_b32 s13, exec_lo
	s_delay_alu instid0(VALU_DEP_2) | instskip(NEXT) | instid1(VALU_DEP_1)
	v_cndmask_b32_e64 v3, v3, 0xffffff82, vcc_lo
	v_add3_u32 v15, v7, v3, v5
	v_and_b32_e32 v3, 0x1fffff, v14
                                        ; implicit-def: $vgpr5
	s_delay_alu instid0(VALU_DEP_1) | instskip(SKIP_1) | instid1(VALU_DEP_2)
	v_dual_add_nc_u32 v7, 14, v15 :: v_dual_add_nc_u32 v2, v3, v2
	v_mov_b32_e32 v3, v21
	v_cmpx_ne_u32_e32 0, v7
	s_xor_b32 s13, exec_lo, s13
; %bb.8564:                             ;   in Loop: Header=BB6_8318 Depth=3
	s_delay_alu instid0(VALU_DEP_2) | instskip(SKIP_1) | instid1(VALU_DEP_1)
	v_cmp_lt_u64_e32 vcc_lo, 0xffffff, v[2:3]
	v_add_nc_u32_e32 v5, 15, v15
	v_cndmask_b32_e32 v5, v7, v5, vcc_lo
	v_cndmask_b32_e64 v7, 0, 1, vcc_lo
	s_delay_alu instid0(VALU_DEP_1)
	v_lshrrev_b64 v[2:3], v7, v[2:3]
; %bb.8565:                             ;   in Loop: Header=BB6_8318 Depth=3
	s_and_not1_saveexec_b32 s13, s13
; %bb.8566:                             ;   in Loop: Header=BB6_8318 Depth=3
	s_delay_alu instid0(VALU_DEP_1)
	v_bfe_u32 v5, v2, 23, 1
; %bb.8567:                             ;   in Loop: Header=BB6_8318 Depth=3
	s_or_b32 exec_lo, exec_lo, s13
	s_delay_alu instid0(VALU_DEP_2) | instskip(NEXT) | instid1(VALU_DEP_2)
	v_lshrrev_b64 v[2:3], 21, v[2:3]
	v_cmp_gt_i32_e32 vcc_lo, 32, v5
	v_cmp_ne_u32_e64 s13, 0, v5
                                        ; implicit-def: $vgpr19
	s_delay_alu instid0(VALU_DEP_3) | instskip(NEXT) | instid1(VALU_DEP_1)
	v_dual_cndmask_b32 v3, 0, v3 :: v_dual_cndmask_b32 v2, 3, v2
	v_cmp_ne_u64_e32 vcc_lo, 0, v[2:3]
	s_or_b32 s13, s13, vcc_lo
	s_delay_alu instid0(SALU_CYCLE_1) | instskip(NEXT) | instid1(SALU_CYCLE_1)
	s_and_saveexec_b32 s74, s13
	s_xor_b32 s13, exec_lo, s74
; %bb.8568:                             ;   in Loop: Header=BB6_8318 Depth=3
	v_min_i32_e32 v3, 31, v5
	s_delay_alu instid0(VALU_DEP_1) | instskip(NEXT) | instid1(VALU_DEP_1)
	v_lshl_or_b32 v1, v3, 2, v1
	v_and_or_b32 v19, v2, 3, v1
                                        ; implicit-def: $vgpr1
; %bb.8569:                             ;   in Loop: Header=BB6_8318 Depth=3
	s_and_not1_saveexec_b32 s13, s13
; %bb.8570:                             ;   in Loop: Header=BB6_8318 Depth=3
	v_mov_b32_e32 v19, v1
; %bb.8571:                             ;   in Loop: Header=BB6_8318 Depth=3
	s_or_b32 exec_lo, exec_lo, s13
.LBB6_8572:                             ;   in Loop: Header=BB6_8318 Depth=3
	s_delay_alu instid0(SALU_CYCLE_1)
	s_or_b32 exec_lo, exec_lo, s73
                                        ; implicit-def: $vgpr1
.LBB6_8573:                             ;   in Loop: Header=BB6_8318 Depth=3
	s_and_not1_saveexec_b32 s13, s72
; %bb.8574:                             ;   in Loop: Header=BB6_8318 Depth=3
	v_or_b32_e32 v19, 0x7b, v1
; %bb.8575:                             ;   in Loop: Header=BB6_8318 Depth=3
	s_or_b32 exec_lo, exec_lo, s13
                                        ; implicit-def: $vgpr5
                                        ; implicit-def: $vgpr2_vgpr3
.LBB6_8576:                             ;   in Loop: Header=BB6_8318 Depth=3
	s_and_not1_saveexec_b32 s13, s43
	s_cbranch_execz .LBB6_8582
; %bb.8577:                             ;   in Loop: Header=BB6_8318 Depth=3
	s_mov_b32 s43, exec_lo
                                        ; implicit-def: $vgpr19
	v_cmpx_ne_u64_e32 0, v[2:3]
	s_xor_b32 s43, exec_lo, s43
; %bb.8578:                             ;   in Loop: Header=BB6_8318 Depth=3
	v_lshrrev_b32_e32 v1, 24, v5
                                        ; implicit-def: $vgpr5
	s_delay_alu instid0(VALU_DEP_1)
	v_or_b32_e32 v19, 0x7f, v1
; %bb.8579:                             ;   in Loop: Header=BB6_8318 Depth=3
	s_and_not1_saveexec_b32 s43, s43
; %bb.8580:                             ;   in Loop: Header=BB6_8318 Depth=3
	v_cmp_lt_i32_e32 vcc_lo, -1, v5
	v_cndmask_b32_e64 v19, -4, 0x7c, vcc_lo
; %bb.8581:                             ;   in Loop: Header=BB6_8318 Depth=3
	s_or_b32 exec_lo, exec_lo, s43
.LBB6_8582:                             ;   in Loop: Header=BB6_8318 Depth=3
	s_delay_alu instid0(SALU_CYCLE_1)
	s_or_b32 exec_lo, exec_lo, s13
	v_dual_mov_b32 v1, 0 :: v_dual_mov_b32 v2, 0
	s_mov_b32 s43, exec_lo
	v_cmpx_ne_u16_e32 0, v60
	s_cbranch_execz .LBB6_8592
; %bb.8583:                             ;   in Loop: Header=BB6_8318 Depth=3
	v_bfrev_b32_e32 v2, 1
	s_mov_b32 s72, exec_lo
	v_cmpx_ne_u16_e32 0xff80, v60
	s_cbranch_execz .LBB6_8591
; %bb.8584:                             ;   in Loop: Header=BB6_8318 Depth=3
	v_and_b32_e32 v2, 0x7c, v60
	v_and_b32_e32 v3, 3, v60
	s_delay_alu instid0(VALU_DEP_2) | instskip(SKIP_1) | instid1(SALU_CYCLE_1)
	v_cmp_ne_u32_e32 vcc_lo, 0x7c, v2
                                        ; implicit-def: $vgpr2
	s_and_saveexec_b32 s13, vcc_lo
	s_xor_b32 s13, exec_lo, s13
	s_cbranch_execz .LBB6_8588
; %bb.8585:                             ;   in Loop: Header=BB6_8318 Depth=3
	v_and_b32_e32 v2, 0xff, v60
	s_mov_b32 s73, exec_lo
	s_delay_alu instid0(VALU_DEP_1) | instskip(NEXT) | instid1(VALU_DEP_1)
	v_bfe_u32 v2, v2, 2, 5
	v_cmpx_eq_u32_e32 0, v2
	s_cbranch_execz .LBB6_8587
; %bb.8586:                             ;   in Loop: Header=BB6_8318 Depth=3
	v_clz_i32_u32_e32 v2, v3
	s_delay_alu instid0(VALU_DEP_1) | instskip(SKIP_1) | instid1(VALU_DEP_2)
	v_min_u32_e32 v2, 32, v2
	v_mov_b32_e32 v61, v21
	v_subrev_nc_u32_e32 v3, 29, v2
	v_sub_nc_u32_e32 v2, 30, v2
	s_delay_alu instid0(VALU_DEP_2) | instskip(NEXT) | instid1(VALU_DEP_1)
	v_lshlrev_b64_e32 v[14:15], v3, v[60:61]
	v_and_b32_e32 v3, 3, v14
.LBB6_8587:                             ;   in Loop: Header=BB6_8318 Depth=3
	s_or_b32 exec_lo, exec_lo, s73
	v_bfe_i32 v5, v60, 0, 16
                                        ; implicit-def: $vgpr60
	s_delay_alu instid0(VALU_DEP_1) | instskip(NEXT) | instid1(VALU_DEP_1)
	v_and_b32_e32 v5, 0x80000000, v5
	v_lshl_add_u32 v2, v2, 23, v5
	s_delay_alu instid0(VALU_DEP_1) | instskip(NEXT) | instid1(VALU_DEP_1)
	v_lshl_or_b32 v2, v3, 21, v2
                                        ; implicit-def: $vgpr3
	v_add_nc_u32_e32 v2, 0x38000000, v2
.LBB6_8588:                             ;   in Loop: Header=BB6_8318 Depth=3
	s_and_not1_saveexec_b32 s73, s13
; %bb.8589:                             ;   in Loop: Header=BB6_8318 Depth=3
	v_cmp_lt_i16_e64 s13, -1, v60
	v_mov_b32_e32 v2, 0x7f800000
	v_cmp_eq_u32_e32 vcc_lo, 0, v3
	s_delay_alu instid0(VALU_DEP_2) | instskip(NEXT) | instid1(VALU_DEP_1)
	v_cndmask_b32_e64 v2, 0xff800000, v2, s13
	v_cndmask_b32_e32 v2, 0x7f800001, v2, vcc_lo
; %bb.8590:                             ;   in Loop: Header=BB6_8318 Depth=3
	s_or_b32 exec_lo, exec_lo, s73
.LBB6_8591:                             ;   in Loop: Header=BB6_8318 Depth=3
	s_delay_alu instid0(SALU_CYCLE_1)
	s_or_b32 exec_lo, exec_lo, s72
.LBB6_8592:                             ;   in Loop: Header=BB6_8318 Depth=3
	s_delay_alu instid0(SALU_CYCLE_1) | instskip(NEXT) | instid1(SALU_CYCLE_1)
	s_or_b32 exec_lo, exec_lo, s43
	s_mov_b32 s43, exec_lo
	v_cmpx_ne_u16_e32 0, v114
	s_cbranch_execz .LBB6_8602
; %bb.8593:                             ;   in Loop: Header=BB6_8318 Depth=3
	v_bfrev_b32_e32 v1, 1
	s_mov_b32 s72, exec_lo
	v_cmpx_ne_u16_e32 0xff80, v114
	s_cbranch_execz .LBB6_8601
; %bb.8594:                             ;   in Loop: Header=BB6_8318 Depth=3
	v_and_b32_e32 v1, 0x7c, v114
	v_and_b32_e32 v3, 3, v114
	s_delay_alu instid0(VALU_DEP_2) | instskip(SKIP_1) | instid1(SALU_CYCLE_1)
	v_cmp_ne_u32_e32 vcc_lo, 0x7c, v1
                                        ; implicit-def: $vgpr1
	s_and_saveexec_b32 s13, vcc_lo
	s_xor_b32 s13, exec_lo, s13
	s_cbranch_execz .LBB6_8598
; %bb.8595:                             ;   in Loop: Header=BB6_8318 Depth=3
	v_and_b32_e32 v1, 0xff, v114
	s_mov_b32 s73, exec_lo
	s_delay_alu instid0(VALU_DEP_1) | instskip(NEXT) | instid1(VALU_DEP_1)
	v_bfe_u32 v1, v1, 2, 5
	v_cmpx_eq_u32_e32 0, v1
	s_cbranch_execz .LBB6_8597
; %bb.8596:                             ;   in Loop: Header=BB6_8318 Depth=3
	v_clz_i32_u32_e32 v1, v3
	s_delay_alu instid0(VALU_DEP_1) | instskip(SKIP_1) | instid1(VALU_DEP_2)
	v_min_u32_e32 v1, 32, v1
	v_mov_b32_e32 v115, v21
	v_subrev_nc_u32_e32 v3, 29, v1
	v_sub_nc_u32_e32 v1, 30, v1
	s_delay_alu instid0(VALU_DEP_2) | instskip(NEXT) | instid1(VALU_DEP_1)
	v_lshlrev_b64_e32 v[14:15], v3, v[114:115]
	v_and_b32_e32 v3, 3, v14
.LBB6_8597:                             ;   in Loop: Header=BB6_8318 Depth=3
	s_or_b32 exec_lo, exec_lo, s73
	v_bfe_i32 v5, v114, 0, 16
                                        ; implicit-def: $vgpr114
	s_delay_alu instid0(VALU_DEP_1) | instskip(NEXT) | instid1(VALU_DEP_1)
	v_and_b32_e32 v5, 0x80000000, v5
	v_lshl_add_u32 v1, v1, 23, v5
	s_delay_alu instid0(VALU_DEP_1) | instskip(NEXT) | instid1(VALU_DEP_1)
	v_lshl_or_b32 v1, v3, 21, v1
                                        ; implicit-def: $vgpr3
	v_add_nc_u32_e32 v1, 0x38000000, v1
.LBB6_8598:                             ;   in Loop: Header=BB6_8318 Depth=3
	s_and_not1_saveexec_b32 s73, s13
; %bb.8599:                             ;   in Loop: Header=BB6_8318 Depth=3
	v_cmp_lt_i16_e64 s13, -1, v114
	v_mov_b32_e32 v1, 0x7f800000
	v_cmp_eq_u32_e32 vcc_lo, 0, v3
	s_delay_alu instid0(VALU_DEP_2) | instskip(NEXT) | instid1(VALU_DEP_1)
	v_cndmask_b32_e64 v1, 0xff800000, v1, s13
	v_cndmask_b32_e32 v1, 0x7f800001, v1, vcc_lo
; %bb.8600:                             ;   in Loop: Header=BB6_8318 Depth=3
	s_or_b32 exec_lo, exec_lo, s73
.LBB6_8601:                             ;   in Loop: Header=BB6_8318 Depth=3
	s_delay_alu instid0(SALU_CYCLE_1)
	s_or_b32 exec_lo, exec_lo, s72
.LBB6_8602:                             ;   in Loop: Header=BB6_8318 Depth=3
	s_delay_alu instid0(SALU_CYCLE_1) | instskip(NEXT) | instid1(VALU_DEP_1)
	s_or_b32 exec_lo, exec_lo, s43
	v_dual_mul_f32 v5, v2, v1 :: v_dual_mov_b32 v3, v21
                                        ; implicit-def: $vgpr23
	s_delay_alu instid0(VALU_DEP_1) | instskip(NEXT) | instid1(VALU_DEP_1)
	v_and_b32_e32 v2, 0x7f800000, v5
	v_cmp_ne_u64_e32 vcc_lo, 0x7f800000, v[2:3]
	v_and_b32_e32 v2, 0x7fffff, v5
	s_and_saveexec_b32 s13, vcc_lo
	s_delay_alu instid0(SALU_CYCLE_1)
	s_xor_b32 s43, exec_lo, s13
	s_cbranch_execz .LBB6_8620
; %bb.8603:                             ;   in Loop: Header=BB6_8318 Depth=3
	v_dual_mov_b32 v15, v21 :: v_dual_lshrrev_b32 v1, 24, v5
	v_and_b32_e32 v14, 0x7fffffff, v5
                                        ; implicit-def: $vgpr23
	s_mov_b32 s13, exec_lo
	s_delay_alu instid0(VALU_DEP_2) | instskip(NEXT) | instid1(VALU_DEP_2)
	v_and_b32_e32 v1, 0x80, v1
	v_cmpx_gt_u64_e32 0x47600001, v[14:15]
	s_xor_b32 s72, exec_lo, s13
	s_cbranch_execz .LBB6_8617
; %bb.8604:                             ;   in Loop: Header=BB6_8318 Depth=3
	v_mov_b32_e32 v23, 0
	s_mov_b32 s73, exec_lo
	v_cmpx_ne_u32_e32 0, v5
	s_cbranch_execz .LBB6_8616
; %bb.8605:                             ;   in Loop: Header=BB6_8318 Depth=3
	v_bfe_u32 v5, v5, 23, 8
	v_or_b32_e32 v14, 0x800000, v2
	s_delay_alu instid0(VALU_DEP_2) | instskip(SKIP_1) | instid1(VALU_DEP_3)
	v_cmp_eq_u32_e32 vcc_lo, 0, v5
	v_cmp_gt_u32_e64 s13, 0x72, v5
	v_dual_cndmask_b32 v2, v14, v2 :: v_dual_sub_nc_u32 v7, 0x71, v5
	s_delay_alu instid0(VALU_DEP_1) | instskip(NEXT) | instid1(VALU_DEP_1)
	v_cndmask_b32_e64 v7, 0, v7, s13
	v_cndmask_b32_e64 v7, v7, 0x70, vcc_lo
	s_delay_alu instid0(VALU_DEP_1) | instskip(NEXT) | instid1(VALU_DEP_1)
	v_dual_add_nc_u32 v14, 21, v7 :: v_dual_add_nc_u32 v23, 20, v7
	v_lshlrev_b64_e64 v[14:15], v14, -1
	s_delay_alu instid0(VALU_DEP_2) | instskip(NEXT) | instid1(VALU_DEP_2)
	v_lshlrev_b64_e64 v[24:25], v23, 1
	v_bfi_b32 v14, v14, 0, v2
	v_lshrrev_b64 v[2:3], v7, v[2:3]
	s_delay_alu instid0(VALU_DEP_4) | instskip(NEXT) | instid1(VALU_DEP_1)
	v_bfi_b32 v15, v15, 0, 0
	v_cmp_eq_u64_e64 s13, v[14:15], v[24:25]
	s_delay_alu instid0(VALU_DEP_3)
	v_mov_b64_e32 v[14:15], v[2:3]
	s_and_saveexec_b32 s74, s13
; %bb.8606:                             ;   in Loop: Header=BB6_8318 Depth=3
	v_bfe_u32 v14, v2, 21, 1
	v_mov_b32_e32 v15, v21
	s_delay_alu instid0(VALU_DEP_1) | instskip(NEXT) | instid1(VALU_DEP_1)
	v_add_nc_u64_e32 v[14:15], v[2:3], v[14:15]
	v_add_nc_u64_e32 v[14:15], -1, v[14:15]
; %bb.8607:                             ;   in Loop: Header=BB6_8318 Depth=3
	s_or_b32 exec_lo, exec_lo, s74
	v_add_nc_u32_e32 v3, 0xffffff81, v5
	v_lshrrev_b32_e32 v5, 23, v2
	s_mov_b32 s13, exec_lo
	s_delay_alu instid0(VALU_DEP_2) | instskip(NEXT) | instid1(VALU_DEP_1)
	v_cndmask_b32_e64 v3, v3, 0xffffff82, vcc_lo
	v_add3_u32 v15, v7, v3, v5
	v_and_b32_e32 v3, 0x1fffff, v14
                                        ; implicit-def: $vgpr5
	s_delay_alu instid0(VALU_DEP_1) | instskip(SKIP_1) | instid1(VALU_DEP_2)
	v_dual_add_nc_u32 v7, 14, v15 :: v_dual_add_nc_u32 v2, v3, v2
	v_mov_b32_e32 v3, v21
	v_cmpx_ne_u32_e32 0, v7
	s_xor_b32 s13, exec_lo, s13
; %bb.8608:                             ;   in Loop: Header=BB6_8318 Depth=3
	s_delay_alu instid0(VALU_DEP_2) | instskip(SKIP_1) | instid1(VALU_DEP_1)
	v_cmp_lt_u64_e32 vcc_lo, 0xffffff, v[2:3]
	v_add_nc_u32_e32 v5, 15, v15
	v_cndmask_b32_e32 v5, v7, v5, vcc_lo
	v_cndmask_b32_e64 v7, 0, 1, vcc_lo
	s_delay_alu instid0(VALU_DEP_1)
	v_lshrrev_b64 v[2:3], v7, v[2:3]
; %bb.8609:                             ;   in Loop: Header=BB6_8318 Depth=3
	s_and_not1_saveexec_b32 s13, s13
; %bb.8610:                             ;   in Loop: Header=BB6_8318 Depth=3
	s_delay_alu instid0(VALU_DEP_1)
	v_bfe_u32 v5, v2, 23, 1
; %bb.8611:                             ;   in Loop: Header=BB6_8318 Depth=3
	s_or_b32 exec_lo, exec_lo, s13
	s_delay_alu instid0(VALU_DEP_2) | instskip(NEXT) | instid1(VALU_DEP_2)
	v_lshrrev_b64 v[2:3], 21, v[2:3]
	v_cmp_gt_i32_e32 vcc_lo, 32, v5
	v_cmp_ne_u32_e64 s13, 0, v5
                                        ; implicit-def: $vgpr23
	s_delay_alu instid0(VALU_DEP_3) | instskip(NEXT) | instid1(VALU_DEP_1)
	v_dual_cndmask_b32 v3, 0, v3 :: v_dual_cndmask_b32 v2, 3, v2
	v_cmp_ne_u64_e32 vcc_lo, 0, v[2:3]
	s_or_b32 s13, s13, vcc_lo
	s_delay_alu instid0(SALU_CYCLE_1) | instskip(NEXT) | instid1(SALU_CYCLE_1)
	s_and_saveexec_b32 s74, s13
	s_xor_b32 s13, exec_lo, s74
; %bb.8612:                             ;   in Loop: Header=BB6_8318 Depth=3
	v_min_i32_e32 v3, 31, v5
	s_delay_alu instid0(VALU_DEP_1) | instskip(NEXT) | instid1(VALU_DEP_1)
	v_lshl_or_b32 v1, v3, 2, v1
	v_and_or_b32 v23, v2, 3, v1
                                        ; implicit-def: $vgpr1
; %bb.8613:                             ;   in Loop: Header=BB6_8318 Depth=3
	s_and_not1_saveexec_b32 s13, s13
; %bb.8614:                             ;   in Loop: Header=BB6_8318 Depth=3
	v_mov_b32_e32 v23, v1
; %bb.8615:                             ;   in Loop: Header=BB6_8318 Depth=3
	s_or_b32 exec_lo, exec_lo, s13
.LBB6_8616:                             ;   in Loop: Header=BB6_8318 Depth=3
	s_delay_alu instid0(SALU_CYCLE_1)
	s_or_b32 exec_lo, exec_lo, s73
                                        ; implicit-def: $vgpr1
.LBB6_8617:                             ;   in Loop: Header=BB6_8318 Depth=3
	s_and_not1_saveexec_b32 s13, s72
; %bb.8618:                             ;   in Loop: Header=BB6_8318 Depth=3
	v_or_b32_e32 v23, 0x7b, v1
; %bb.8619:                             ;   in Loop: Header=BB6_8318 Depth=3
	s_or_b32 exec_lo, exec_lo, s13
                                        ; implicit-def: $vgpr5
                                        ; implicit-def: $vgpr2_vgpr3
.LBB6_8620:                             ;   in Loop: Header=BB6_8318 Depth=3
	s_and_not1_saveexec_b32 s13, s43
	s_cbranch_execz .LBB6_8626
; %bb.8621:                             ;   in Loop: Header=BB6_8318 Depth=3
	s_mov_b32 s43, exec_lo
                                        ; implicit-def: $vgpr23
	v_cmpx_ne_u64_e32 0, v[2:3]
	s_xor_b32 s43, exec_lo, s43
; %bb.8622:                             ;   in Loop: Header=BB6_8318 Depth=3
	v_lshrrev_b32_e32 v1, 24, v5
                                        ; implicit-def: $vgpr5
	s_delay_alu instid0(VALU_DEP_1)
	v_or_b32_e32 v23, 0x7f, v1
; %bb.8623:                             ;   in Loop: Header=BB6_8318 Depth=3
	s_and_not1_saveexec_b32 s43, s43
; %bb.8624:                             ;   in Loop: Header=BB6_8318 Depth=3
	v_cmp_lt_i32_e32 vcc_lo, -1, v5
	v_cndmask_b32_e64 v23, -4, 0x7c, vcc_lo
; %bb.8625:                             ;   in Loop: Header=BB6_8318 Depth=3
	s_or_b32 exec_lo, exec_lo, s43
.LBB6_8626:                             ;   in Loop: Header=BB6_8318 Depth=3
	s_delay_alu instid0(SALU_CYCLE_1)
	s_or_b32 exec_lo, exec_lo, s13
	v_dual_mov_b32 v1, 0 :: v_dual_mov_b32 v2, 0
	s_mov_b32 s43, exec_lo
	v_cmpx_ne_u16_e32 0, v86
	s_cbranch_execz .LBB6_8636
; %bb.8627:                             ;   in Loop: Header=BB6_8318 Depth=3
	v_bfrev_b32_e32 v2, 1
	s_mov_b32 s72, exec_lo
	v_cmpx_ne_u16_e32 0xff80, v86
	s_cbranch_execz .LBB6_8635
; %bb.8628:                             ;   in Loop: Header=BB6_8318 Depth=3
	v_and_b32_e32 v2, 0x7c, v86
	v_and_b32_e32 v3, 3, v86
	s_delay_alu instid0(VALU_DEP_2) | instskip(SKIP_1) | instid1(SALU_CYCLE_1)
	v_cmp_ne_u32_e32 vcc_lo, 0x7c, v2
                                        ; implicit-def: $vgpr2
	s_and_saveexec_b32 s13, vcc_lo
	s_xor_b32 s13, exec_lo, s13
	s_cbranch_execz .LBB6_8632
; %bb.8629:                             ;   in Loop: Header=BB6_8318 Depth=3
	v_and_b32_e32 v2, 0xff, v86
	s_mov_b32 s73, exec_lo
	s_delay_alu instid0(VALU_DEP_1) | instskip(NEXT) | instid1(VALU_DEP_1)
	v_bfe_u32 v2, v2, 2, 5
	v_cmpx_eq_u32_e32 0, v2
	s_cbranch_execz .LBB6_8631
; %bb.8630:                             ;   in Loop: Header=BB6_8318 Depth=3
	v_clz_i32_u32_e32 v2, v3
	s_delay_alu instid0(VALU_DEP_1) | instskip(SKIP_1) | instid1(VALU_DEP_2)
	v_min_u32_e32 v2, 32, v2
	v_mov_b32_e32 v87, v21
	v_subrev_nc_u32_e32 v3, 29, v2
	v_sub_nc_u32_e32 v2, 30, v2
	s_delay_alu instid0(VALU_DEP_2) | instskip(NEXT) | instid1(VALU_DEP_1)
	v_lshlrev_b64_e32 v[14:15], v3, v[86:87]
	v_and_b32_e32 v3, 3, v14
.LBB6_8631:                             ;   in Loop: Header=BB6_8318 Depth=3
	s_or_b32 exec_lo, exec_lo, s73
	v_bfe_i32 v5, v86, 0, 16
                                        ; implicit-def: $vgpr86
	s_delay_alu instid0(VALU_DEP_1) | instskip(NEXT) | instid1(VALU_DEP_1)
	v_and_b32_e32 v5, 0x80000000, v5
	v_lshl_add_u32 v2, v2, 23, v5
	s_delay_alu instid0(VALU_DEP_1) | instskip(NEXT) | instid1(VALU_DEP_1)
	v_lshl_or_b32 v2, v3, 21, v2
                                        ; implicit-def: $vgpr3
	v_add_nc_u32_e32 v2, 0x38000000, v2
.LBB6_8632:                             ;   in Loop: Header=BB6_8318 Depth=3
	s_and_not1_saveexec_b32 s73, s13
; %bb.8633:                             ;   in Loop: Header=BB6_8318 Depth=3
	v_cmp_lt_i16_e64 s13, -1, v86
	v_mov_b32_e32 v2, 0x7f800000
	v_cmp_eq_u32_e32 vcc_lo, 0, v3
	s_delay_alu instid0(VALU_DEP_2) | instskip(NEXT) | instid1(VALU_DEP_1)
	v_cndmask_b32_e64 v2, 0xff800000, v2, s13
	v_cndmask_b32_e32 v2, 0x7f800001, v2, vcc_lo
; %bb.8634:                             ;   in Loop: Header=BB6_8318 Depth=3
	s_or_b32 exec_lo, exec_lo, s73
.LBB6_8635:                             ;   in Loop: Header=BB6_8318 Depth=3
	s_delay_alu instid0(SALU_CYCLE_1)
	s_or_b32 exec_lo, exec_lo, s72
.LBB6_8636:                             ;   in Loop: Header=BB6_8318 Depth=3
	s_delay_alu instid0(SALU_CYCLE_1) | instskip(NEXT) | instid1(SALU_CYCLE_1)
	s_or_b32 exec_lo, exec_lo, s43
	s_mov_b32 s43, exec_lo
	v_cmpx_ne_u16_e32 0, v102
	s_cbranch_execz .LBB6_8646
; %bb.8637:                             ;   in Loop: Header=BB6_8318 Depth=3
	v_bfrev_b32_e32 v1, 1
	s_mov_b32 s72, exec_lo
	v_cmpx_ne_u16_e32 0xff80, v102
	s_cbranch_execz .LBB6_8645
; %bb.8638:                             ;   in Loop: Header=BB6_8318 Depth=3
	v_and_b32_e32 v1, 0x7c, v102
	v_and_b32_e32 v3, 3, v102
	s_delay_alu instid0(VALU_DEP_2) | instskip(SKIP_1) | instid1(SALU_CYCLE_1)
	v_cmp_ne_u32_e32 vcc_lo, 0x7c, v1
                                        ; implicit-def: $vgpr1
	s_and_saveexec_b32 s13, vcc_lo
	s_xor_b32 s13, exec_lo, s13
	s_cbranch_execz .LBB6_8642
; %bb.8639:                             ;   in Loop: Header=BB6_8318 Depth=3
	v_and_b32_e32 v1, 0xff, v102
	s_mov_b32 s73, exec_lo
	s_delay_alu instid0(VALU_DEP_1) | instskip(NEXT) | instid1(VALU_DEP_1)
	v_bfe_u32 v1, v1, 2, 5
	v_cmpx_eq_u32_e32 0, v1
	s_cbranch_execz .LBB6_8641
; %bb.8640:                             ;   in Loop: Header=BB6_8318 Depth=3
	v_clz_i32_u32_e32 v1, v3
	s_delay_alu instid0(VALU_DEP_1) | instskip(SKIP_1) | instid1(VALU_DEP_2)
	v_min_u32_e32 v1, 32, v1
	v_mov_b32_e32 v103, v21
	v_subrev_nc_u32_e32 v3, 29, v1
	v_sub_nc_u32_e32 v1, 30, v1
	s_delay_alu instid0(VALU_DEP_2) | instskip(NEXT) | instid1(VALU_DEP_1)
	v_lshlrev_b64_e32 v[14:15], v3, v[102:103]
	v_and_b32_e32 v3, 3, v14
.LBB6_8641:                             ;   in Loop: Header=BB6_8318 Depth=3
	s_or_b32 exec_lo, exec_lo, s73
	v_bfe_i32 v5, v102, 0, 16
                                        ; implicit-def: $vgpr102
	s_delay_alu instid0(VALU_DEP_1) | instskip(NEXT) | instid1(VALU_DEP_1)
	v_and_b32_e32 v5, 0x80000000, v5
	v_lshl_add_u32 v1, v1, 23, v5
	s_delay_alu instid0(VALU_DEP_1) | instskip(NEXT) | instid1(VALU_DEP_1)
	v_lshl_or_b32 v1, v3, 21, v1
                                        ; implicit-def: $vgpr3
	v_add_nc_u32_e32 v1, 0x38000000, v1
.LBB6_8642:                             ;   in Loop: Header=BB6_8318 Depth=3
	s_and_not1_saveexec_b32 s73, s13
; %bb.8643:                             ;   in Loop: Header=BB6_8318 Depth=3
	v_cmp_lt_i16_e64 s13, -1, v102
	v_mov_b32_e32 v1, 0x7f800000
	v_cmp_eq_u32_e32 vcc_lo, 0, v3
	s_delay_alu instid0(VALU_DEP_2) | instskip(NEXT) | instid1(VALU_DEP_1)
	v_cndmask_b32_e64 v1, 0xff800000, v1, s13
	v_cndmask_b32_e32 v1, 0x7f800001, v1, vcc_lo
; %bb.8644:                             ;   in Loop: Header=BB6_8318 Depth=3
	s_or_b32 exec_lo, exec_lo, s73
.LBB6_8645:                             ;   in Loop: Header=BB6_8318 Depth=3
	s_delay_alu instid0(SALU_CYCLE_1)
	s_or_b32 exec_lo, exec_lo, s72
.LBB6_8646:                             ;   in Loop: Header=BB6_8318 Depth=3
	s_delay_alu instid0(SALU_CYCLE_1) | instskip(NEXT) | instid1(VALU_DEP_1)
	s_or_b32 exec_lo, exec_lo, s43
	v_dual_mul_f32 v5, v2, v1 :: v_dual_mov_b32 v3, v21
                                        ; implicit-def: $vgpr24
	s_delay_alu instid0(VALU_DEP_1) | instskip(NEXT) | instid1(VALU_DEP_1)
	v_and_b32_e32 v2, 0x7f800000, v5
	v_cmp_ne_u64_e32 vcc_lo, 0x7f800000, v[2:3]
	v_and_b32_e32 v2, 0x7fffff, v5
	s_and_saveexec_b32 s13, vcc_lo
	s_delay_alu instid0(SALU_CYCLE_1)
	s_xor_b32 s43, exec_lo, s13
	s_cbranch_execz .LBB6_8664
; %bb.8647:                             ;   in Loop: Header=BB6_8318 Depth=3
	v_dual_mov_b32 v15, v21 :: v_dual_lshrrev_b32 v1, 24, v5
	v_and_b32_e32 v14, 0x7fffffff, v5
                                        ; implicit-def: $vgpr24
	s_mov_b32 s13, exec_lo
	s_delay_alu instid0(VALU_DEP_2) | instskip(NEXT) | instid1(VALU_DEP_2)
	v_and_b32_e32 v1, 0x80, v1
	v_cmpx_gt_u64_e32 0x47600001, v[14:15]
	s_xor_b32 s72, exec_lo, s13
	s_cbranch_execz .LBB6_8661
; %bb.8648:                             ;   in Loop: Header=BB6_8318 Depth=3
	v_mov_b32_e32 v24, 0
	s_mov_b32 s73, exec_lo
	v_cmpx_ne_u32_e32 0, v5
	s_cbranch_execz .LBB6_8660
; %bb.8649:                             ;   in Loop: Header=BB6_8318 Depth=3
	v_bfe_u32 v5, v5, 23, 8
	v_or_b32_e32 v14, 0x800000, v2
	s_delay_alu instid0(VALU_DEP_2) | instskip(SKIP_1) | instid1(VALU_DEP_3)
	v_cmp_eq_u32_e32 vcc_lo, 0, v5
	v_cmp_gt_u32_e64 s13, 0x72, v5
	v_dual_cndmask_b32 v2, v14, v2 :: v_dual_sub_nc_u32 v7, 0x71, v5
	s_delay_alu instid0(VALU_DEP_1) | instskip(NEXT) | instid1(VALU_DEP_1)
	v_cndmask_b32_e64 v7, 0, v7, s13
	v_cndmask_b32_e64 v7, v7, 0x70, vcc_lo
	s_delay_alu instid0(VALU_DEP_1) | instskip(NEXT) | instid1(VALU_DEP_1)
	v_dual_add_nc_u32 v14, 21, v7 :: v_dual_add_nc_u32 v24, 20, v7
	v_lshlrev_b64_e64 v[14:15], v14, -1
	s_delay_alu instid0(VALU_DEP_2) | instskip(NEXT) | instid1(VALU_DEP_2)
	v_lshlrev_b64_e64 v[24:25], v24, 1
	v_bfi_b32 v14, v14, 0, v2
	v_lshrrev_b64 v[2:3], v7, v[2:3]
	s_delay_alu instid0(VALU_DEP_4) | instskip(NEXT) | instid1(VALU_DEP_1)
	v_bfi_b32 v15, v15, 0, 0
	v_cmp_eq_u64_e64 s13, v[14:15], v[24:25]
	s_delay_alu instid0(VALU_DEP_3)
	v_mov_b64_e32 v[14:15], v[2:3]
	s_and_saveexec_b32 s74, s13
; %bb.8650:                             ;   in Loop: Header=BB6_8318 Depth=3
	v_bfe_u32 v14, v2, 21, 1
	v_mov_b32_e32 v15, v21
	s_delay_alu instid0(VALU_DEP_1) | instskip(NEXT) | instid1(VALU_DEP_1)
	v_add_nc_u64_e32 v[14:15], v[2:3], v[14:15]
	v_add_nc_u64_e32 v[14:15], -1, v[14:15]
; %bb.8651:                             ;   in Loop: Header=BB6_8318 Depth=3
	s_or_b32 exec_lo, exec_lo, s74
	v_add_nc_u32_e32 v3, 0xffffff81, v5
	v_lshrrev_b32_e32 v5, 23, v2
	s_mov_b32 s13, exec_lo
	s_delay_alu instid0(VALU_DEP_2) | instskip(NEXT) | instid1(VALU_DEP_1)
	v_cndmask_b32_e64 v3, v3, 0xffffff82, vcc_lo
	v_add3_u32 v15, v7, v3, v5
	v_and_b32_e32 v3, 0x1fffff, v14
                                        ; implicit-def: $vgpr5
	s_delay_alu instid0(VALU_DEP_1) | instskip(SKIP_1) | instid1(VALU_DEP_2)
	v_dual_add_nc_u32 v7, 14, v15 :: v_dual_add_nc_u32 v2, v3, v2
	v_mov_b32_e32 v3, v21
	v_cmpx_ne_u32_e32 0, v7
	s_xor_b32 s13, exec_lo, s13
; %bb.8652:                             ;   in Loop: Header=BB6_8318 Depth=3
	s_delay_alu instid0(VALU_DEP_2) | instskip(SKIP_1) | instid1(VALU_DEP_1)
	v_cmp_lt_u64_e32 vcc_lo, 0xffffff, v[2:3]
	v_add_nc_u32_e32 v5, 15, v15
	v_cndmask_b32_e32 v5, v7, v5, vcc_lo
	v_cndmask_b32_e64 v7, 0, 1, vcc_lo
	s_delay_alu instid0(VALU_DEP_1)
	v_lshrrev_b64 v[2:3], v7, v[2:3]
; %bb.8653:                             ;   in Loop: Header=BB6_8318 Depth=3
	s_and_not1_saveexec_b32 s13, s13
; %bb.8654:                             ;   in Loop: Header=BB6_8318 Depth=3
	s_delay_alu instid0(VALU_DEP_1)
	v_bfe_u32 v5, v2, 23, 1
; %bb.8655:                             ;   in Loop: Header=BB6_8318 Depth=3
	s_or_b32 exec_lo, exec_lo, s13
	s_delay_alu instid0(VALU_DEP_2) | instskip(NEXT) | instid1(VALU_DEP_2)
	v_lshrrev_b64 v[2:3], 21, v[2:3]
	v_cmp_gt_i32_e32 vcc_lo, 32, v5
	v_cmp_ne_u32_e64 s13, 0, v5
                                        ; implicit-def: $vgpr24
	s_delay_alu instid0(VALU_DEP_3) | instskip(NEXT) | instid1(VALU_DEP_1)
	v_dual_cndmask_b32 v3, 0, v3 :: v_dual_cndmask_b32 v2, 3, v2
	v_cmp_ne_u64_e32 vcc_lo, 0, v[2:3]
	s_or_b32 s13, s13, vcc_lo
	s_delay_alu instid0(SALU_CYCLE_1) | instskip(NEXT) | instid1(SALU_CYCLE_1)
	s_and_saveexec_b32 s74, s13
	s_xor_b32 s13, exec_lo, s74
; %bb.8656:                             ;   in Loop: Header=BB6_8318 Depth=3
	v_min_i32_e32 v3, 31, v5
	s_delay_alu instid0(VALU_DEP_1) | instskip(NEXT) | instid1(VALU_DEP_1)
	v_lshl_or_b32 v1, v3, 2, v1
	v_and_or_b32 v24, v2, 3, v1
                                        ; implicit-def: $vgpr1
; %bb.8657:                             ;   in Loop: Header=BB6_8318 Depth=3
	s_and_not1_saveexec_b32 s13, s13
; %bb.8658:                             ;   in Loop: Header=BB6_8318 Depth=3
	v_mov_b32_e32 v24, v1
; %bb.8659:                             ;   in Loop: Header=BB6_8318 Depth=3
	s_or_b32 exec_lo, exec_lo, s13
.LBB6_8660:                             ;   in Loop: Header=BB6_8318 Depth=3
	s_delay_alu instid0(SALU_CYCLE_1)
	s_or_b32 exec_lo, exec_lo, s73
                                        ; implicit-def: $vgpr1
.LBB6_8661:                             ;   in Loop: Header=BB6_8318 Depth=3
	s_and_not1_saveexec_b32 s13, s72
; %bb.8662:                             ;   in Loop: Header=BB6_8318 Depth=3
	v_or_b32_e32 v24, 0x7b, v1
; %bb.8663:                             ;   in Loop: Header=BB6_8318 Depth=3
	s_or_b32 exec_lo, exec_lo, s13
                                        ; implicit-def: $vgpr5
                                        ; implicit-def: $vgpr2_vgpr3
.LBB6_8664:                             ;   in Loop: Header=BB6_8318 Depth=3
	s_and_not1_saveexec_b32 s13, s43
	s_cbranch_execz .LBB6_8670
; %bb.8665:                             ;   in Loop: Header=BB6_8318 Depth=3
	s_mov_b32 s43, exec_lo
                                        ; implicit-def: $vgpr24
	v_cmpx_ne_u64_e32 0, v[2:3]
	s_xor_b32 s43, exec_lo, s43
; %bb.8666:                             ;   in Loop: Header=BB6_8318 Depth=3
	v_lshrrev_b32_e32 v1, 24, v5
                                        ; implicit-def: $vgpr5
	s_delay_alu instid0(VALU_DEP_1)
	v_or_b32_e32 v24, 0x7f, v1
; %bb.8667:                             ;   in Loop: Header=BB6_8318 Depth=3
	s_and_not1_saveexec_b32 s43, s43
; %bb.8668:                             ;   in Loop: Header=BB6_8318 Depth=3
	v_cmp_lt_i32_e32 vcc_lo, -1, v5
	v_cndmask_b32_e64 v24, -4, 0x7c, vcc_lo
; %bb.8669:                             ;   in Loop: Header=BB6_8318 Depth=3
	s_or_b32 exec_lo, exec_lo, s43
.LBB6_8670:                             ;   in Loop: Header=BB6_8318 Depth=3
	s_delay_alu instid0(SALU_CYCLE_1)
	s_or_b32 exec_lo, exec_lo, s13
	v_dual_mov_b32 v1, 0 :: v_dual_mov_b32 v2, 0
	s_mov_b32 s43, exec_lo
	v_cmpx_ne_u16_e32 0, v100
	s_cbranch_execz .LBB6_8680
; %bb.8671:                             ;   in Loop: Header=BB6_8318 Depth=3
	v_bfrev_b32_e32 v2, 1
	s_mov_b32 s72, exec_lo
	v_cmpx_ne_u16_e32 0xff80, v100
	s_cbranch_execz .LBB6_8679
; %bb.8672:                             ;   in Loop: Header=BB6_8318 Depth=3
	v_and_b32_e32 v2, 0x7c, v100
	v_and_b32_e32 v3, 3, v100
	s_delay_alu instid0(VALU_DEP_2) | instskip(SKIP_1) | instid1(SALU_CYCLE_1)
	v_cmp_ne_u32_e32 vcc_lo, 0x7c, v2
                                        ; implicit-def: $vgpr2
	s_and_saveexec_b32 s13, vcc_lo
	s_xor_b32 s13, exec_lo, s13
	s_cbranch_execz .LBB6_8676
; %bb.8673:                             ;   in Loop: Header=BB6_8318 Depth=3
	v_and_b32_e32 v2, 0xff, v100
	s_mov_b32 s73, exec_lo
	s_delay_alu instid0(VALU_DEP_1) | instskip(NEXT) | instid1(VALU_DEP_1)
	v_bfe_u32 v2, v2, 2, 5
	v_cmpx_eq_u32_e32 0, v2
	s_cbranch_execz .LBB6_8675
; %bb.8674:                             ;   in Loop: Header=BB6_8318 Depth=3
	v_clz_i32_u32_e32 v2, v3
	s_delay_alu instid0(VALU_DEP_1) | instskip(SKIP_1) | instid1(VALU_DEP_2)
	v_min_u32_e32 v2, 32, v2
	v_mov_b32_e32 v101, v21
	v_subrev_nc_u32_e32 v3, 29, v2
	v_sub_nc_u32_e32 v2, 30, v2
	s_delay_alu instid0(VALU_DEP_2) | instskip(NEXT) | instid1(VALU_DEP_1)
	v_lshlrev_b64_e32 v[14:15], v3, v[100:101]
	v_and_b32_e32 v3, 3, v14
.LBB6_8675:                             ;   in Loop: Header=BB6_8318 Depth=3
	s_or_b32 exec_lo, exec_lo, s73
	v_bfe_i32 v5, v100, 0, 16
                                        ; implicit-def: $vgpr100
	s_delay_alu instid0(VALU_DEP_1) | instskip(NEXT) | instid1(VALU_DEP_1)
	v_and_b32_e32 v5, 0x80000000, v5
	v_lshl_add_u32 v2, v2, 23, v5
	s_delay_alu instid0(VALU_DEP_1) | instskip(NEXT) | instid1(VALU_DEP_1)
	v_lshl_or_b32 v2, v3, 21, v2
                                        ; implicit-def: $vgpr3
	v_add_nc_u32_e32 v2, 0x38000000, v2
.LBB6_8676:                             ;   in Loop: Header=BB6_8318 Depth=3
	s_and_not1_saveexec_b32 s73, s13
; %bb.8677:                             ;   in Loop: Header=BB6_8318 Depth=3
	v_cmp_lt_i16_e64 s13, -1, v100
	v_mov_b32_e32 v2, 0x7f800000
	v_cmp_eq_u32_e32 vcc_lo, 0, v3
	s_delay_alu instid0(VALU_DEP_2) | instskip(NEXT) | instid1(VALU_DEP_1)
	v_cndmask_b32_e64 v2, 0xff800000, v2, s13
	v_cndmask_b32_e32 v2, 0x7f800001, v2, vcc_lo
; %bb.8678:                             ;   in Loop: Header=BB6_8318 Depth=3
	s_or_b32 exec_lo, exec_lo, s73
.LBB6_8679:                             ;   in Loop: Header=BB6_8318 Depth=3
	s_delay_alu instid0(SALU_CYCLE_1)
	s_or_b32 exec_lo, exec_lo, s72
.LBB6_8680:                             ;   in Loop: Header=BB6_8318 Depth=3
	s_delay_alu instid0(SALU_CYCLE_1) | instskip(NEXT) | instid1(SALU_CYCLE_1)
	s_or_b32 exec_lo, exec_lo, s43
	s_mov_b32 s43, exec_lo
	v_cmpx_ne_u16_e32 0, v44
	s_cbranch_execz .LBB6_8690
; %bb.8681:                             ;   in Loop: Header=BB6_8318 Depth=3
	v_bfrev_b32_e32 v1, 1
	s_mov_b32 s72, exec_lo
	v_cmpx_ne_u16_e32 0xff80, v44
	s_cbranch_execz .LBB6_8689
; %bb.8682:                             ;   in Loop: Header=BB6_8318 Depth=3
	v_and_b32_e32 v1, 0x7c, v44
	v_and_b32_e32 v3, 3, v44
	s_delay_alu instid0(VALU_DEP_2) | instskip(SKIP_1) | instid1(SALU_CYCLE_1)
	v_cmp_ne_u32_e32 vcc_lo, 0x7c, v1
                                        ; implicit-def: $vgpr1
	s_and_saveexec_b32 s13, vcc_lo
	s_xor_b32 s13, exec_lo, s13
	s_cbranch_execz .LBB6_8686
; %bb.8683:                             ;   in Loop: Header=BB6_8318 Depth=3
	v_and_b32_e32 v1, 0xff, v44
	s_mov_b32 s73, exec_lo
	s_delay_alu instid0(VALU_DEP_1) | instskip(NEXT) | instid1(VALU_DEP_1)
	v_bfe_u32 v1, v1, 2, 5
	v_cmpx_eq_u32_e32 0, v1
	s_cbranch_execz .LBB6_8685
; %bb.8684:                             ;   in Loop: Header=BB6_8318 Depth=3
	v_clz_i32_u32_e32 v1, v3
	s_delay_alu instid0(VALU_DEP_1) | instskip(SKIP_1) | instid1(VALU_DEP_2)
	v_min_u32_e32 v1, 32, v1
	v_mov_b32_e32 v45, v21
	v_subrev_nc_u32_e32 v3, 29, v1
	v_sub_nc_u32_e32 v1, 30, v1
	s_delay_alu instid0(VALU_DEP_2) | instskip(NEXT) | instid1(VALU_DEP_1)
	v_lshlrev_b64_e32 v[14:15], v3, v[44:45]
	v_and_b32_e32 v3, 3, v14
.LBB6_8685:                             ;   in Loop: Header=BB6_8318 Depth=3
	s_or_b32 exec_lo, exec_lo, s73
	v_bfe_i32 v5, v44, 0, 16
                                        ; implicit-def: $vgpr44
	s_delay_alu instid0(VALU_DEP_1) | instskip(NEXT) | instid1(VALU_DEP_1)
	v_and_b32_e32 v5, 0x80000000, v5
	v_lshl_add_u32 v1, v1, 23, v5
	s_delay_alu instid0(VALU_DEP_1) | instskip(NEXT) | instid1(VALU_DEP_1)
	v_lshl_or_b32 v1, v3, 21, v1
                                        ; implicit-def: $vgpr3
	v_add_nc_u32_e32 v1, 0x38000000, v1
.LBB6_8686:                             ;   in Loop: Header=BB6_8318 Depth=3
	s_and_not1_saveexec_b32 s73, s13
; %bb.8687:                             ;   in Loop: Header=BB6_8318 Depth=3
	v_cmp_lt_i16_e64 s13, -1, v44
	v_mov_b32_e32 v1, 0x7f800000
	v_cmp_eq_u32_e32 vcc_lo, 0, v3
	s_delay_alu instid0(VALU_DEP_2) | instskip(NEXT) | instid1(VALU_DEP_1)
	v_cndmask_b32_e64 v1, 0xff800000, v1, s13
	v_cndmask_b32_e32 v1, 0x7f800001, v1, vcc_lo
; %bb.8688:                             ;   in Loop: Header=BB6_8318 Depth=3
	s_or_b32 exec_lo, exec_lo, s73
.LBB6_8689:                             ;   in Loop: Header=BB6_8318 Depth=3
	s_delay_alu instid0(SALU_CYCLE_1)
	s_or_b32 exec_lo, exec_lo, s72
.LBB6_8690:                             ;   in Loop: Header=BB6_8318 Depth=3
	s_delay_alu instid0(SALU_CYCLE_1) | instskip(NEXT) | instid1(VALU_DEP_1)
	s_or_b32 exec_lo, exec_lo, s43
	v_dual_mul_f32 v5, v2, v1 :: v_dual_mov_b32 v3, v21
                                        ; implicit-def: $vgpr14
	s_delay_alu instid0(VALU_DEP_1) | instskip(NEXT) | instid1(VALU_DEP_1)
	v_and_b32_e32 v2, 0x7f800000, v5
	v_cmp_ne_u64_e32 vcc_lo, 0x7f800000, v[2:3]
	v_and_b32_e32 v2, 0x7fffff, v5
	s_and_saveexec_b32 s13, vcc_lo
	s_delay_alu instid0(SALU_CYCLE_1)
	s_xor_b32 s43, exec_lo, s13
	s_cbranch_execz .LBB6_8708
; %bb.8691:                             ;   in Loop: Header=BB6_8318 Depth=3
	v_and_b32_e32 v14, 0x7fffffff, v5
	v_dual_mov_b32 v15, v21 :: v_dual_lshrrev_b32 v1, 24, v5
	s_delay_alu instid0(VALU_DEP_1) | instskip(NEXT) | instid1(VALU_DEP_2)
	v_cmp_gt_u64_e32 vcc_lo, 0x47600001, v[14:15]
	v_and_b32_e32 v1, 0x80, v1
                                        ; implicit-def: $vgpr14
	s_and_saveexec_b32 s13, vcc_lo
	s_delay_alu instid0(SALU_CYCLE_1)
	s_xor_b32 s72, exec_lo, s13
	s_cbranch_execz .LBB6_8705
; %bb.8692:                             ;   in Loop: Header=BB6_8318 Depth=3
	v_mov_b32_e32 v14, 0
	s_mov_b32 s73, exec_lo
	v_cmpx_ne_u32_e32 0, v5
	s_cbranch_execz .LBB6_8704
; %bb.8693:                             ;   in Loop: Header=BB6_8318 Depth=3
	v_bfe_u32 v5, v5, 23, 8
	v_or_b32_e32 v14, 0x800000, v2
	s_delay_alu instid0(VALU_DEP_2) | instskip(SKIP_1) | instid1(VALU_DEP_3)
	v_cmp_eq_u32_e32 vcc_lo, 0, v5
	v_cmp_gt_u32_e64 s13, 0x72, v5
	v_dual_cndmask_b32 v2, v14, v2 :: v_dual_sub_nc_u32 v7, 0x71, v5
	s_delay_alu instid0(VALU_DEP_1) | instskip(NEXT) | instid1(VALU_DEP_1)
	v_cndmask_b32_e64 v7, 0, v7, s13
	v_cndmask_b32_e64 v7, v7, 0x70, vcc_lo
	s_delay_alu instid0(VALU_DEP_1) | instskip(NEXT) | instid1(VALU_DEP_1)
	v_dual_add_nc_u32 v14, 21, v7 :: v_dual_add_nc_u32 v25, 20, v7
	v_lshlrev_b64_e64 v[14:15], v14, -1
	s_delay_alu instid0(VALU_DEP_2) | instskip(NEXT) | instid1(VALU_DEP_2)
	v_lshlrev_b64_e64 v[32:33], v25, 1
	v_bfi_b32 v14, v14, 0, v2
	v_lshrrev_b64 v[2:3], v7, v[2:3]
	s_delay_alu instid0(VALU_DEP_4) | instskip(NEXT) | instid1(VALU_DEP_1)
	v_bfi_b32 v15, v15, 0, 0
	v_cmp_eq_u64_e64 s13, v[14:15], v[32:33]
	s_delay_alu instid0(VALU_DEP_3)
	v_mov_b64_e32 v[14:15], v[2:3]
	s_and_saveexec_b32 s74, s13
; %bb.8694:                             ;   in Loop: Header=BB6_8318 Depth=3
	v_bfe_u32 v14, v2, 21, 1
	v_mov_b32_e32 v15, v21
	s_delay_alu instid0(VALU_DEP_1) | instskip(NEXT) | instid1(VALU_DEP_1)
	v_add_nc_u64_e32 v[14:15], v[2:3], v[14:15]
	v_add_nc_u64_e32 v[14:15], -1, v[14:15]
; %bb.8695:                             ;   in Loop: Header=BB6_8318 Depth=3
	s_or_b32 exec_lo, exec_lo, s74
	v_add_nc_u32_e32 v3, 0xffffff81, v5
	v_lshrrev_b32_e32 v5, 23, v2
	s_mov_b32 s13, exec_lo
	s_delay_alu instid0(VALU_DEP_2) | instskip(NEXT) | instid1(VALU_DEP_1)
	v_cndmask_b32_e64 v3, v3, 0xffffff82, vcc_lo
	v_add3_u32 v15, v7, v3, v5
	v_and_b32_e32 v3, 0x1fffff, v14
                                        ; implicit-def: $vgpr5
	s_delay_alu instid0(VALU_DEP_1) | instskip(SKIP_1) | instid1(VALU_DEP_2)
	v_dual_add_nc_u32 v7, 14, v15 :: v_dual_add_nc_u32 v2, v3, v2
	v_mov_b32_e32 v3, v21
	v_cmpx_ne_u32_e32 0, v7
	s_xor_b32 s13, exec_lo, s13
; %bb.8696:                             ;   in Loop: Header=BB6_8318 Depth=3
	s_delay_alu instid0(VALU_DEP_2) | instskip(SKIP_1) | instid1(VALU_DEP_1)
	v_cmp_lt_u64_e32 vcc_lo, 0xffffff, v[2:3]
	v_add_nc_u32_e32 v5, 15, v15
	v_cndmask_b32_e32 v5, v7, v5, vcc_lo
	v_cndmask_b32_e64 v7, 0, 1, vcc_lo
	s_delay_alu instid0(VALU_DEP_1)
	v_lshrrev_b64 v[2:3], v7, v[2:3]
; %bb.8697:                             ;   in Loop: Header=BB6_8318 Depth=3
	s_and_not1_saveexec_b32 s13, s13
; %bb.8698:                             ;   in Loop: Header=BB6_8318 Depth=3
	s_delay_alu instid0(VALU_DEP_1)
	v_bfe_u32 v5, v2, 23, 1
; %bb.8699:                             ;   in Loop: Header=BB6_8318 Depth=3
	s_or_b32 exec_lo, exec_lo, s13
	s_delay_alu instid0(VALU_DEP_2) | instskip(NEXT) | instid1(VALU_DEP_2)
	v_lshrrev_b64 v[2:3], 21, v[2:3]
	v_cmp_gt_i32_e32 vcc_lo, 32, v5
	v_cmp_ne_u32_e64 s13, 0, v5
                                        ; implicit-def: $vgpr14
	s_delay_alu instid0(VALU_DEP_3) | instskip(NEXT) | instid1(VALU_DEP_1)
	v_dual_cndmask_b32 v3, 0, v3 :: v_dual_cndmask_b32 v2, 3, v2
	v_cmp_ne_u64_e32 vcc_lo, 0, v[2:3]
	s_or_b32 s13, s13, vcc_lo
	s_delay_alu instid0(SALU_CYCLE_1) | instskip(NEXT) | instid1(SALU_CYCLE_1)
	s_and_saveexec_b32 s74, s13
	s_xor_b32 s13, exec_lo, s74
; %bb.8700:                             ;   in Loop: Header=BB6_8318 Depth=3
	v_min_i32_e32 v3, 31, v5
	s_delay_alu instid0(VALU_DEP_1) | instskip(NEXT) | instid1(VALU_DEP_1)
	v_lshl_or_b32 v1, v3, 2, v1
	v_and_or_b32 v14, v2, 3, v1
                                        ; implicit-def: $vgpr1
; %bb.8701:                             ;   in Loop: Header=BB6_8318 Depth=3
	s_and_not1_saveexec_b32 s13, s13
; %bb.8702:                             ;   in Loop: Header=BB6_8318 Depth=3
	v_mov_b32_e32 v14, v1
; %bb.8703:                             ;   in Loop: Header=BB6_8318 Depth=3
	s_or_b32 exec_lo, exec_lo, s13
.LBB6_8704:                             ;   in Loop: Header=BB6_8318 Depth=3
	s_delay_alu instid0(SALU_CYCLE_1)
	s_or_b32 exec_lo, exec_lo, s73
                                        ; implicit-def: $vgpr1
.LBB6_8705:                             ;   in Loop: Header=BB6_8318 Depth=3
	s_and_not1_saveexec_b32 s13, s72
; %bb.8706:                             ;   in Loop: Header=BB6_8318 Depth=3
	v_or_b32_e32 v14, 0x7b, v1
; %bb.8707:                             ;   in Loop: Header=BB6_8318 Depth=3
	s_or_b32 exec_lo, exec_lo, s13
                                        ; implicit-def: $vgpr5
                                        ; implicit-def: $vgpr2_vgpr3
.LBB6_8708:                             ;   in Loop: Header=BB6_8318 Depth=3
	s_and_not1_saveexec_b32 s13, s43
	s_cbranch_execz .LBB6_8714
; %bb.8709:                             ;   in Loop: Header=BB6_8318 Depth=3
	s_mov_b32 s43, exec_lo
                                        ; implicit-def: $vgpr14
	v_cmpx_ne_u64_e32 0, v[2:3]
	s_xor_b32 s43, exec_lo, s43
; %bb.8710:                             ;   in Loop: Header=BB6_8318 Depth=3
	v_lshrrev_b32_e32 v1, 24, v5
                                        ; implicit-def: $vgpr5
	s_delay_alu instid0(VALU_DEP_1)
	v_or_b32_e32 v14, 0x7f, v1
; %bb.8711:                             ;   in Loop: Header=BB6_8318 Depth=3
	s_and_not1_saveexec_b32 s43, s43
; %bb.8712:                             ;   in Loop: Header=BB6_8318 Depth=3
	v_cmp_lt_i32_e32 vcc_lo, -1, v5
	v_cndmask_b32_e64 v14, -4, 0x7c, vcc_lo
; %bb.8713:                             ;   in Loop: Header=BB6_8318 Depth=3
	s_or_b32 exec_lo, exec_lo, s43
.LBB6_8714:                             ;   in Loop: Header=BB6_8318 Depth=3
	s_delay_alu instid0(SALU_CYCLE_1)
	s_or_b32 exec_lo, exec_lo, s13
	v_dual_mov_b32 v1, 0 :: v_dual_mov_b32 v2, 0
	s_mov_b32 s43, exec_lo
	v_cmpx_ne_u16_e32 0, v68
	s_cbranch_execz .LBB6_8724
; %bb.8715:                             ;   in Loop: Header=BB6_8318 Depth=3
	v_bfrev_b32_e32 v2, 1
	s_mov_b32 s72, exec_lo
	v_cmpx_ne_u16_e32 0xff80, v68
	s_cbranch_execz .LBB6_8723
; %bb.8716:                             ;   in Loop: Header=BB6_8318 Depth=3
	v_and_b32_e32 v2, 0x7c, v68
	v_and_b32_e32 v3, 3, v68
	s_delay_alu instid0(VALU_DEP_2) | instskip(SKIP_1) | instid1(SALU_CYCLE_1)
	v_cmp_ne_u32_e32 vcc_lo, 0x7c, v2
                                        ; implicit-def: $vgpr2
	s_and_saveexec_b32 s13, vcc_lo
	s_xor_b32 s13, exec_lo, s13
	s_cbranch_execz .LBB6_8720
; %bb.8717:                             ;   in Loop: Header=BB6_8318 Depth=3
	v_and_b32_e32 v2, 0xff, v68
	s_mov_b32 s73, exec_lo
	s_delay_alu instid0(VALU_DEP_1) | instskip(NEXT) | instid1(VALU_DEP_1)
	v_bfe_u32 v2, v2, 2, 5
	v_cmpx_eq_u32_e32 0, v2
	s_cbranch_execz .LBB6_8719
; %bb.8718:                             ;   in Loop: Header=BB6_8318 Depth=3
	v_clz_i32_u32_e32 v2, v3
	s_delay_alu instid0(VALU_DEP_1) | instskip(SKIP_1) | instid1(VALU_DEP_2)
	v_min_u32_e32 v2, 32, v2
	v_mov_b32_e32 v69, v21
	v_subrev_nc_u32_e32 v3, 29, v2
	v_sub_nc_u32_e32 v2, 30, v2
	s_delay_alu instid0(VALU_DEP_2) | instskip(NEXT) | instid1(VALU_DEP_1)
	v_lshlrev_b64_e32 v[32:33], v3, v[68:69]
	v_and_b32_e32 v3, 3, v32
.LBB6_8719:                             ;   in Loop: Header=BB6_8318 Depth=3
	s_or_b32 exec_lo, exec_lo, s73
	v_bfe_i32 v5, v68, 0, 16
                                        ; implicit-def: $vgpr68
	s_delay_alu instid0(VALU_DEP_1) | instskip(NEXT) | instid1(VALU_DEP_1)
	v_and_b32_e32 v5, 0x80000000, v5
	v_lshl_add_u32 v2, v2, 23, v5
	s_delay_alu instid0(VALU_DEP_1) | instskip(NEXT) | instid1(VALU_DEP_1)
	v_lshl_or_b32 v2, v3, 21, v2
                                        ; implicit-def: $vgpr3
	v_add_nc_u32_e32 v2, 0x38000000, v2
.LBB6_8720:                             ;   in Loop: Header=BB6_8318 Depth=3
	s_and_not1_saveexec_b32 s73, s13
; %bb.8721:                             ;   in Loop: Header=BB6_8318 Depth=3
	v_cmp_lt_i16_e64 s13, -1, v68
	v_mov_b32_e32 v2, 0x7f800000
	v_cmp_eq_u32_e32 vcc_lo, 0, v3
	s_delay_alu instid0(VALU_DEP_2) | instskip(NEXT) | instid1(VALU_DEP_1)
	v_cndmask_b32_e64 v2, 0xff800000, v2, s13
	v_cndmask_b32_e32 v2, 0x7f800001, v2, vcc_lo
; %bb.8722:                             ;   in Loop: Header=BB6_8318 Depth=3
	s_or_b32 exec_lo, exec_lo, s73
.LBB6_8723:                             ;   in Loop: Header=BB6_8318 Depth=3
	s_delay_alu instid0(SALU_CYCLE_1)
	s_or_b32 exec_lo, exec_lo, s72
.LBB6_8724:                             ;   in Loop: Header=BB6_8318 Depth=3
	s_delay_alu instid0(SALU_CYCLE_1) | instskip(NEXT) | instid1(SALU_CYCLE_1)
	s_or_b32 exec_lo, exec_lo, s43
	s_mov_b32 s43, exec_lo
	v_cmpx_ne_u16_e32 0, v6
	s_cbranch_execz .LBB6_8734
; %bb.8725:                             ;   in Loop: Header=BB6_8318 Depth=3
	v_bfrev_b32_e32 v1, 1
	s_mov_b32 s72, exec_lo
	v_cmpx_ne_u16_e32 0xff80, v6
	s_cbranch_execz .LBB6_8733
; %bb.8726:                             ;   in Loop: Header=BB6_8318 Depth=3
	v_and_b32_e32 v1, 0x7c, v6
	v_and_b32_e32 v3, 3, v6
	s_delay_alu instid0(VALU_DEP_2) | instskip(SKIP_1) | instid1(SALU_CYCLE_1)
	v_cmp_ne_u32_e32 vcc_lo, 0x7c, v1
                                        ; implicit-def: $vgpr1
	s_and_saveexec_b32 s13, vcc_lo
	s_xor_b32 s13, exec_lo, s13
	s_cbranch_execz .LBB6_8730
; %bb.8727:                             ;   in Loop: Header=BB6_8318 Depth=3
	v_and_b32_e32 v1, 0xff, v6
	s_mov_b32 s73, exec_lo
	s_delay_alu instid0(VALU_DEP_1) | instskip(NEXT) | instid1(VALU_DEP_1)
	v_bfe_u32 v1, v1, 2, 5
	v_cmpx_eq_u32_e32 0, v1
	s_cbranch_execz .LBB6_8729
; %bb.8728:                             ;   in Loop: Header=BB6_8318 Depth=3
	v_clz_i32_u32_e32 v1, v3
	s_delay_alu instid0(VALU_DEP_1) | instskip(SKIP_1) | instid1(VALU_DEP_2)
	v_min_u32_e32 v1, 32, v1
	v_mov_b32_e32 v7, v21
	v_subrev_nc_u32_e32 v3, 29, v1
	v_sub_nc_u32_e32 v1, 30, v1
	s_delay_alu instid0(VALU_DEP_2) | instskip(NEXT) | instid1(VALU_DEP_1)
	v_lshlrev_b64_e32 v[32:33], v3, v[6:7]
	v_and_b32_e32 v3, 3, v32
.LBB6_8729:                             ;   in Loop: Header=BB6_8318 Depth=3
	s_or_b32 exec_lo, exec_lo, s73
	v_bfe_i32 v5, v6, 0, 16
                                        ; implicit-def: $vgpr6
	s_delay_alu instid0(VALU_DEP_1) | instskip(NEXT) | instid1(VALU_DEP_1)
	v_and_b32_e32 v5, 0x80000000, v5
	v_lshl_add_u32 v1, v1, 23, v5
	s_delay_alu instid0(VALU_DEP_1) | instskip(NEXT) | instid1(VALU_DEP_1)
	v_lshl_or_b32 v1, v3, 21, v1
                                        ; implicit-def: $vgpr3
	v_add_nc_u32_e32 v1, 0x38000000, v1
.LBB6_8730:                             ;   in Loop: Header=BB6_8318 Depth=3
	s_and_not1_saveexec_b32 s73, s13
; %bb.8731:                             ;   in Loop: Header=BB6_8318 Depth=3
	v_cmp_lt_i16_e64 s13, -1, v6
	v_mov_b32_e32 v1, 0x7f800000
	v_cmp_eq_u32_e32 vcc_lo, 0, v3
	s_delay_alu instid0(VALU_DEP_2) | instskip(NEXT) | instid1(VALU_DEP_1)
	v_cndmask_b32_e64 v1, 0xff800000, v1, s13
	v_cndmask_b32_e32 v1, 0x7f800001, v1, vcc_lo
; %bb.8732:                             ;   in Loop: Header=BB6_8318 Depth=3
	s_or_b32 exec_lo, exec_lo, s73
.LBB6_8733:                             ;   in Loop: Header=BB6_8318 Depth=3
	s_delay_alu instid0(SALU_CYCLE_1)
	s_or_b32 exec_lo, exec_lo, s72
.LBB6_8734:                             ;   in Loop: Header=BB6_8318 Depth=3
	s_delay_alu instid0(SALU_CYCLE_1) | instskip(NEXT) | instid1(VALU_DEP_1)
	s_or_b32 exec_lo, exec_lo, s43
	v_dual_mul_f32 v5, v2, v1 :: v_dual_mov_b32 v3, v21
                                        ; implicit-def: $vgpr15
	s_delay_alu instid0(VALU_DEP_1) | instskip(NEXT) | instid1(VALU_DEP_1)
	v_and_b32_e32 v2, 0x7f800000, v5
	v_cmp_ne_u64_e32 vcc_lo, 0x7f800000, v[2:3]
	v_and_b32_e32 v2, 0x7fffff, v5
	s_and_saveexec_b32 s13, vcc_lo
	s_delay_alu instid0(SALU_CYCLE_1)
	s_xor_b32 s43, exec_lo, s13
	s_cbranch_execz .LBB6_8752
; %bb.8735:                             ;   in Loop: Header=BB6_8318 Depth=3
	v_dual_mov_b32 v7, v21 :: v_dual_lshrrev_b32 v1, 24, v5
	v_and_b32_e32 v6, 0x7fffffff, v5
                                        ; implicit-def: $vgpr15
	s_mov_b32 s13, exec_lo
	s_delay_alu instid0(VALU_DEP_2) | instskip(NEXT) | instid1(VALU_DEP_2)
	v_and_b32_e32 v1, 0x80, v1
	v_cmpx_gt_u64_e32 0x47600001, v[6:7]
	s_xor_b32 s72, exec_lo, s13
	s_cbranch_execz .LBB6_8749
; %bb.8736:                             ;   in Loop: Header=BB6_8318 Depth=3
	v_mov_b32_e32 v15, 0
	s_mov_b32 s73, exec_lo
	v_cmpx_ne_u32_e32 0, v5
	s_cbranch_execz .LBB6_8748
; %bb.8737:                             ;   in Loop: Header=BB6_8318 Depth=3
	v_bfe_u32 v5, v5, 23, 8
	v_or_b32_e32 v7, 0x800000, v2
	s_delay_alu instid0(VALU_DEP_2) | instskip(SKIP_2) | instid1(VALU_DEP_2)
	v_cmp_gt_u32_e64 s13, 0x72, v5
	v_sub_nc_u32_e32 v6, 0x71, v5
	v_cmp_eq_u32_e32 vcc_lo, 0, v5
	v_cndmask_b32_e64 v6, 0, v6, s13
	s_delay_alu instid0(VALU_DEP_1) | instskip(NEXT) | instid1(VALU_DEP_1)
	v_cndmask_b32_e64 v15, v6, 0x70, vcc_lo
	v_dual_cndmask_b32 v2, v7, v2, vcc_lo :: v_dual_add_nc_u32 v6, 21, v15
	v_add_nc_u32_e32 v25, 20, v15
	s_delay_alu instid0(VALU_DEP_2) | instskip(NEXT) | instid1(VALU_DEP_2)
	v_lshlrev_b64_e64 v[6:7], v6, -1
	v_lshlrev_b64_e64 v[32:33], v25, 1
	s_delay_alu instid0(VALU_DEP_2) | instskip(SKIP_1) | instid1(VALU_DEP_4)
	v_bfi_b32 v6, v6, 0, v2
	v_lshrrev_b64 v[2:3], v15, v[2:3]
	v_bfi_b32 v7, v7, 0, 0
	s_delay_alu instid0(VALU_DEP_1) | instskip(NEXT) | instid1(VALU_DEP_3)
	v_cmp_eq_u64_e64 s13, v[6:7], v[32:33]
	v_mov_b64_e32 v[6:7], v[2:3]
	s_and_saveexec_b32 s74, s13
; %bb.8738:                             ;   in Loop: Header=BB6_8318 Depth=3
	v_bfe_u32 v6, v2, 21, 1
	v_mov_b32_e32 v7, v21
	s_delay_alu instid0(VALU_DEP_1) | instskip(NEXT) | instid1(VALU_DEP_1)
	v_add_nc_u64_e32 v[6:7], v[2:3], v[6:7]
	v_add_nc_u64_e32 v[6:7], -1, v[6:7]
; %bb.8739:                             ;   in Loop: Header=BB6_8318 Depth=3
	s_or_b32 exec_lo, exec_lo, s74
	v_add_nc_u32_e32 v3, 0xffffff81, v5
	v_lshrrev_b32_e32 v5, 23, v2
	s_mov_b32 s13, exec_lo
	s_delay_alu instid0(VALU_DEP_2) | instskip(NEXT) | instid1(VALU_DEP_1)
	v_cndmask_b32_e64 v3, v3, 0xffffff82, vcc_lo
	v_add3_u32 v7, v15, v3, v5
	v_and_b32_e32 v3, 0x1fffff, v6
                                        ; implicit-def: $vgpr5
	s_delay_alu instid0(VALU_DEP_1) | instskip(SKIP_1) | instid1(VALU_DEP_2)
	v_dual_add_nc_u32 v6, 14, v7 :: v_dual_add_nc_u32 v2, v3, v2
	v_mov_b32_e32 v3, v21
	v_cmpx_ne_u32_e32 0, v6
	s_xor_b32 s13, exec_lo, s13
; %bb.8740:                             ;   in Loop: Header=BB6_8318 Depth=3
	s_delay_alu instid0(VALU_DEP_2) | instskip(SKIP_1) | instid1(VALU_DEP_1)
	v_cmp_lt_u64_e32 vcc_lo, 0xffffff, v[2:3]
	v_add_nc_u32_e32 v5, 15, v7
	v_cndmask_b32_e32 v5, v6, v5, vcc_lo
	v_cndmask_b32_e64 v6, 0, 1, vcc_lo
	s_delay_alu instid0(VALU_DEP_1)
	v_lshrrev_b64 v[2:3], v6, v[2:3]
; %bb.8741:                             ;   in Loop: Header=BB6_8318 Depth=3
	s_and_not1_saveexec_b32 s13, s13
; %bb.8742:                             ;   in Loop: Header=BB6_8318 Depth=3
	s_delay_alu instid0(VALU_DEP_1)
	v_bfe_u32 v5, v2, 23, 1
; %bb.8743:                             ;   in Loop: Header=BB6_8318 Depth=3
	s_or_b32 exec_lo, exec_lo, s13
	s_delay_alu instid0(VALU_DEP_2) | instskip(NEXT) | instid1(VALU_DEP_2)
	v_lshrrev_b64 v[2:3], 21, v[2:3]
	v_cmp_gt_i32_e32 vcc_lo, 32, v5
	v_cmp_ne_u32_e64 s13, 0, v5
                                        ; implicit-def: $vgpr15
	s_delay_alu instid0(VALU_DEP_3) | instskip(NEXT) | instid1(VALU_DEP_1)
	v_dual_cndmask_b32 v3, 0, v3 :: v_dual_cndmask_b32 v2, 3, v2
	v_cmp_ne_u64_e32 vcc_lo, 0, v[2:3]
	s_or_b32 s13, s13, vcc_lo
	s_delay_alu instid0(SALU_CYCLE_1) | instskip(NEXT) | instid1(SALU_CYCLE_1)
	s_and_saveexec_b32 s74, s13
	s_xor_b32 s13, exec_lo, s74
; %bb.8744:                             ;   in Loop: Header=BB6_8318 Depth=3
	v_min_i32_e32 v3, 31, v5
	s_delay_alu instid0(VALU_DEP_1) | instskip(NEXT) | instid1(VALU_DEP_1)
	v_lshl_or_b32 v1, v3, 2, v1
	v_and_or_b32 v15, v2, 3, v1
                                        ; implicit-def: $vgpr1
; %bb.8745:                             ;   in Loop: Header=BB6_8318 Depth=3
	s_and_not1_saveexec_b32 s13, s13
; %bb.8746:                             ;   in Loop: Header=BB6_8318 Depth=3
	v_mov_b32_e32 v15, v1
; %bb.8747:                             ;   in Loop: Header=BB6_8318 Depth=3
	s_or_b32 exec_lo, exec_lo, s13
.LBB6_8748:                             ;   in Loop: Header=BB6_8318 Depth=3
	s_delay_alu instid0(SALU_CYCLE_1)
	s_or_b32 exec_lo, exec_lo, s73
                                        ; implicit-def: $vgpr1
.LBB6_8749:                             ;   in Loop: Header=BB6_8318 Depth=3
	s_and_not1_saveexec_b32 s13, s72
; %bb.8750:                             ;   in Loop: Header=BB6_8318 Depth=3
	v_or_b32_e32 v15, 0x7b, v1
; %bb.8751:                             ;   in Loop: Header=BB6_8318 Depth=3
	s_or_b32 exec_lo, exec_lo, s13
                                        ; implicit-def: $vgpr5
                                        ; implicit-def: $vgpr2_vgpr3
.LBB6_8752:                             ;   in Loop: Header=BB6_8318 Depth=3
	s_and_not1_saveexec_b32 s13, s43
	s_cbranch_execz .LBB6_8758
; %bb.8753:                             ;   in Loop: Header=BB6_8318 Depth=3
	s_mov_b32 s43, exec_lo
                                        ; implicit-def: $vgpr15
	v_cmpx_ne_u64_e32 0, v[2:3]
	s_xor_b32 s43, exec_lo, s43
; %bb.8754:                             ;   in Loop: Header=BB6_8318 Depth=3
	v_lshrrev_b32_e32 v1, 24, v5
                                        ; implicit-def: $vgpr5
	s_delay_alu instid0(VALU_DEP_1)
	v_or_b32_e32 v15, 0x7f, v1
; %bb.8755:                             ;   in Loop: Header=BB6_8318 Depth=3
	s_and_not1_saveexec_b32 s43, s43
; %bb.8756:                             ;   in Loop: Header=BB6_8318 Depth=3
	v_cmp_lt_i32_e32 vcc_lo, -1, v5
	v_cndmask_b32_e64 v15, -4, 0x7c, vcc_lo
; %bb.8757:                             ;   in Loop: Header=BB6_8318 Depth=3
	s_or_b32 exec_lo, exec_lo, s43
.LBB6_8758:                             ;   in Loop: Header=BB6_8318 Depth=3
	s_delay_alu instid0(SALU_CYCLE_1)
	s_or_b32 exec_lo, exec_lo, s13
	v_dual_mov_b32 v1, 0 :: v_dual_mov_b32 v2, 0
	s_mov_b32 s43, exec_lo
	v_cmpx_ne_u16_e32 0, v70
	s_cbranch_execz .LBB6_8768
; %bb.8759:                             ;   in Loop: Header=BB6_8318 Depth=3
	v_bfrev_b32_e32 v2, 1
	s_mov_b32 s72, exec_lo
	v_cmpx_ne_u16_e32 0xff80, v70
	s_cbranch_execz .LBB6_8767
; %bb.8760:                             ;   in Loop: Header=BB6_8318 Depth=3
	v_and_b32_e32 v2, 0x7c, v70
	v_and_b32_e32 v3, 3, v70
	s_delay_alu instid0(VALU_DEP_2) | instskip(SKIP_1) | instid1(SALU_CYCLE_1)
	v_cmp_ne_u32_e32 vcc_lo, 0x7c, v2
                                        ; implicit-def: $vgpr2
	s_and_saveexec_b32 s13, vcc_lo
	s_xor_b32 s13, exec_lo, s13
	s_cbranch_execz .LBB6_8764
; %bb.8761:                             ;   in Loop: Header=BB6_8318 Depth=3
	v_and_b32_e32 v2, 0xff, v70
	s_mov_b32 s73, exec_lo
	s_delay_alu instid0(VALU_DEP_1) | instskip(NEXT) | instid1(VALU_DEP_1)
	v_bfe_u32 v2, v2, 2, 5
	v_cmpx_eq_u32_e32 0, v2
	s_cbranch_execz .LBB6_8763
; %bb.8762:                             ;   in Loop: Header=BB6_8318 Depth=3
	v_clz_i32_u32_e32 v2, v3
	s_delay_alu instid0(VALU_DEP_1) | instskip(SKIP_1) | instid1(VALU_DEP_2)
	v_min_u32_e32 v2, 32, v2
	v_mov_b32_e32 v71, v21
	v_subrev_nc_u32_e32 v3, 29, v2
	v_sub_nc_u32_e32 v2, 30, v2
	s_delay_alu instid0(VALU_DEP_2) | instskip(NEXT) | instid1(VALU_DEP_1)
	v_lshlrev_b64_e32 v[6:7], v3, v[70:71]
	v_and_b32_e32 v3, 3, v6
.LBB6_8763:                             ;   in Loop: Header=BB6_8318 Depth=3
	s_or_b32 exec_lo, exec_lo, s73
	v_bfe_i32 v5, v70, 0, 16
                                        ; implicit-def: $vgpr70
	s_delay_alu instid0(VALU_DEP_1) | instskip(NEXT) | instid1(VALU_DEP_1)
	v_and_b32_e32 v5, 0x80000000, v5
	v_lshl_add_u32 v2, v2, 23, v5
	s_delay_alu instid0(VALU_DEP_1) | instskip(NEXT) | instid1(VALU_DEP_1)
	v_lshl_or_b32 v2, v3, 21, v2
                                        ; implicit-def: $vgpr3
	v_add_nc_u32_e32 v2, 0x38000000, v2
.LBB6_8764:                             ;   in Loop: Header=BB6_8318 Depth=3
	s_and_not1_saveexec_b32 s73, s13
; %bb.8765:                             ;   in Loop: Header=BB6_8318 Depth=3
	v_cmp_lt_i16_e64 s13, -1, v70
	v_mov_b32_e32 v2, 0x7f800000
	v_cmp_eq_u32_e32 vcc_lo, 0, v3
	s_delay_alu instid0(VALU_DEP_2) | instskip(NEXT) | instid1(VALU_DEP_1)
	v_cndmask_b32_e64 v2, 0xff800000, v2, s13
	v_cndmask_b32_e32 v2, 0x7f800001, v2, vcc_lo
; %bb.8766:                             ;   in Loop: Header=BB6_8318 Depth=3
	s_or_b32 exec_lo, exec_lo, s73
.LBB6_8767:                             ;   in Loop: Header=BB6_8318 Depth=3
	s_delay_alu instid0(SALU_CYCLE_1)
	s_or_b32 exec_lo, exec_lo, s72
.LBB6_8768:                             ;   in Loop: Header=BB6_8318 Depth=3
	s_delay_alu instid0(SALU_CYCLE_1) | instskip(NEXT) | instid1(SALU_CYCLE_1)
	s_or_b32 exec_lo, exec_lo, s43
	s_mov_b32 s43, exec_lo
	v_cmpx_ne_u16_e32 0, v116
	s_cbranch_execz .LBB6_8778
; %bb.8769:                             ;   in Loop: Header=BB6_8318 Depth=3
	v_bfrev_b32_e32 v1, 1
	s_mov_b32 s72, exec_lo
	v_cmpx_ne_u16_e32 0xff80, v116
	s_cbranch_execz .LBB6_8777
; %bb.8770:                             ;   in Loop: Header=BB6_8318 Depth=3
	v_and_b32_e32 v1, 0x7c, v116
	v_and_b32_e32 v3, 3, v116
	s_delay_alu instid0(VALU_DEP_2) | instskip(SKIP_1) | instid1(SALU_CYCLE_1)
	v_cmp_ne_u32_e32 vcc_lo, 0x7c, v1
                                        ; implicit-def: $vgpr1
	s_and_saveexec_b32 s13, vcc_lo
	s_xor_b32 s13, exec_lo, s13
	s_cbranch_execz .LBB6_8774
; %bb.8771:                             ;   in Loop: Header=BB6_8318 Depth=3
	v_and_b32_e32 v1, 0xff, v116
	s_mov_b32 s73, exec_lo
	s_delay_alu instid0(VALU_DEP_1) | instskip(NEXT) | instid1(VALU_DEP_1)
	v_bfe_u32 v1, v1, 2, 5
	v_cmpx_eq_u32_e32 0, v1
	s_cbranch_execz .LBB6_8773
; %bb.8772:                             ;   in Loop: Header=BB6_8318 Depth=3
	v_clz_i32_u32_e32 v1, v3
	s_delay_alu instid0(VALU_DEP_1) | instskip(SKIP_1) | instid1(VALU_DEP_2)
	v_min_u32_e32 v1, 32, v1
	v_mov_b32_e32 v117, v21
	v_subrev_nc_u32_e32 v3, 29, v1
	v_sub_nc_u32_e32 v1, 30, v1
	s_delay_alu instid0(VALU_DEP_2) | instskip(NEXT) | instid1(VALU_DEP_1)
	v_lshlrev_b64_e32 v[6:7], v3, v[116:117]
	v_and_b32_e32 v3, 3, v6
.LBB6_8773:                             ;   in Loop: Header=BB6_8318 Depth=3
	s_or_b32 exec_lo, exec_lo, s73
	v_bfe_i32 v5, v116, 0, 16
                                        ; implicit-def: $vgpr116
	s_delay_alu instid0(VALU_DEP_1) | instskip(NEXT) | instid1(VALU_DEP_1)
	v_and_b32_e32 v5, 0x80000000, v5
	v_lshl_add_u32 v1, v1, 23, v5
	s_delay_alu instid0(VALU_DEP_1) | instskip(NEXT) | instid1(VALU_DEP_1)
	v_lshl_or_b32 v1, v3, 21, v1
                                        ; implicit-def: $vgpr3
	v_add_nc_u32_e32 v1, 0x38000000, v1
.LBB6_8774:                             ;   in Loop: Header=BB6_8318 Depth=3
	s_and_not1_saveexec_b32 s73, s13
; %bb.8775:                             ;   in Loop: Header=BB6_8318 Depth=3
	v_cmp_lt_i16_e64 s13, -1, v116
	v_mov_b32_e32 v1, 0x7f800000
	v_cmp_eq_u32_e32 vcc_lo, 0, v3
	s_delay_alu instid0(VALU_DEP_2) | instskip(NEXT) | instid1(VALU_DEP_1)
	v_cndmask_b32_e64 v1, 0xff800000, v1, s13
	v_cndmask_b32_e32 v1, 0x7f800001, v1, vcc_lo
; %bb.8776:                             ;   in Loop: Header=BB6_8318 Depth=3
	s_or_b32 exec_lo, exec_lo, s73
.LBB6_8777:                             ;   in Loop: Header=BB6_8318 Depth=3
	s_delay_alu instid0(SALU_CYCLE_1)
	s_or_b32 exec_lo, exec_lo, s72
.LBB6_8778:                             ;   in Loop: Header=BB6_8318 Depth=3
	s_delay_alu instid0(SALU_CYCLE_1) | instskip(NEXT) | instid1(VALU_DEP_1)
	s_or_b32 exec_lo, exec_lo, s43
	v_dual_mul_f32 v5, v2, v1 :: v_dual_mov_b32 v3, v21
                                        ; implicit-def: $vgpr25
	s_delay_alu instid0(VALU_DEP_1) | instskip(NEXT) | instid1(VALU_DEP_1)
	v_and_b32_e32 v2, 0x7f800000, v5
	v_cmp_ne_u64_e32 vcc_lo, 0x7f800000, v[2:3]
	v_and_b32_e32 v2, 0x7fffff, v5
	s_and_saveexec_b32 s13, vcc_lo
	s_delay_alu instid0(SALU_CYCLE_1)
	s_xor_b32 s43, exec_lo, s13
	s_cbranch_execz .LBB6_8796
; %bb.8779:                             ;   in Loop: Header=BB6_8318 Depth=3
	v_dual_mov_b32 v7, v21 :: v_dual_lshrrev_b32 v1, 24, v5
	v_and_b32_e32 v6, 0x7fffffff, v5
                                        ; implicit-def: $vgpr25
	s_mov_b32 s13, exec_lo
	s_delay_alu instid0(VALU_DEP_2) | instskip(NEXT) | instid1(VALU_DEP_2)
	v_and_b32_e32 v1, 0x80, v1
	v_cmpx_gt_u64_e32 0x47600001, v[6:7]
	s_xor_b32 s72, exec_lo, s13
	s_cbranch_execz .LBB6_8793
; %bb.8780:                             ;   in Loop: Header=BB6_8318 Depth=3
	v_mov_b32_e32 v25, 0
	s_mov_b32 s73, exec_lo
	v_cmpx_ne_u32_e32 0, v5
	s_cbranch_execz .LBB6_8792
; %bb.8781:                             ;   in Loop: Header=BB6_8318 Depth=3
	v_bfe_u32 v5, v5, 23, 8
	v_or_b32_e32 v7, 0x800000, v2
	s_delay_alu instid0(VALU_DEP_2) | instskip(SKIP_2) | instid1(VALU_DEP_2)
	v_cmp_gt_u32_e64 s13, 0x72, v5
	v_sub_nc_u32_e32 v6, 0x71, v5
	v_cmp_eq_u32_e32 vcc_lo, 0, v5
	v_cndmask_b32_e64 v6, 0, v6, s13
	s_delay_alu instid0(VALU_DEP_1) | instskip(NEXT) | instid1(VALU_DEP_1)
	v_cndmask_b32_e64 v25, v6, 0x70, vcc_lo
	v_dual_cndmask_b32 v2, v7, v2, vcc_lo :: v_dual_add_nc_u32 v6, 21, v25
	v_add_nc_u32_e32 v27, 20, v25
	s_delay_alu instid0(VALU_DEP_2) | instskip(NEXT) | instid1(VALU_DEP_2)
	v_lshlrev_b64_e64 v[6:7], v6, -1
	v_lshlrev_b64_e64 v[32:33], v27, 1
	s_delay_alu instid0(VALU_DEP_2) | instskip(SKIP_1) | instid1(VALU_DEP_4)
	v_bfi_b32 v6, v6, 0, v2
	v_lshrrev_b64 v[2:3], v25, v[2:3]
	v_bfi_b32 v7, v7, 0, 0
	s_delay_alu instid0(VALU_DEP_1) | instskip(NEXT) | instid1(VALU_DEP_3)
	v_cmp_eq_u64_e64 s13, v[6:7], v[32:33]
	v_mov_b64_e32 v[6:7], v[2:3]
	s_and_saveexec_b32 s74, s13
; %bb.8782:                             ;   in Loop: Header=BB6_8318 Depth=3
	v_bfe_u32 v6, v2, 21, 1
	v_mov_b32_e32 v7, v21
	s_delay_alu instid0(VALU_DEP_1) | instskip(NEXT) | instid1(VALU_DEP_1)
	v_add_nc_u64_e32 v[6:7], v[2:3], v[6:7]
	v_add_nc_u64_e32 v[6:7], -1, v[6:7]
; %bb.8783:                             ;   in Loop: Header=BB6_8318 Depth=3
	s_or_b32 exec_lo, exec_lo, s74
	v_add_nc_u32_e32 v3, 0xffffff81, v5
	v_lshrrev_b32_e32 v5, 23, v2
	s_mov_b32 s13, exec_lo
	s_delay_alu instid0(VALU_DEP_2) | instskip(NEXT) | instid1(VALU_DEP_1)
	v_cndmask_b32_e64 v3, v3, 0xffffff82, vcc_lo
	v_add3_u32 v7, v25, v3, v5
	v_and_b32_e32 v3, 0x1fffff, v6
                                        ; implicit-def: $vgpr5
	s_delay_alu instid0(VALU_DEP_1) | instskip(SKIP_1) | instid1(VALU_DEP_2)
	v_dual_add_nc_u32 v6, 14, v7 :: v_dual_add_nc_u32 v2, v3, v2
	v_mov_b32_e32 v3, v21
	v_cmpx_ne_u32_e32 0, v6
	s_xor_b32 s13, exec_lo, s13
; %bb.8784:                             ;   in Loop: Header=BB6_8318 Depth=3
	s_delay_alu instid0(VALU_DEP_2) | instskip(SKIP_1) | instid1(VALU_DEP_1)
	v_cmp_lt_u64_e32 vcc_lo, 0xffffff, v[2:3]
	v_add_nc_u32_e32 v5, 15, v7
	v_cndmask_b32_e32 v5, v6, v5, vcc_lo
	v_cndmask_b32_e64 v6, 0, 1, vcc_lo
	s_delay_alu instid0(VALU_DEP_1)
	v_lshrrev_b64 v[2:3], v6, v[2:3]
; %bb.8785:                             ;   in Loop: Header=BB6_8318 Depth=3
	s_and_not1_saveexec_b32 s13, s13
; %bb.8786:                             ;   in Loop: Header=BB6_8318 Depth=3
	s_delay_alu instid0(VALU_DEP_1)
	v_bfe_u32 v5, v2, 23, 1
; %bb.8787:                             ;   in Loop: Header=BB6_8318 Depth=3
	s_or_b32 exec_lo, exec_lo, s13
	s_delay_alu instid0(VALU_DEP_2) | instskip(NEXT) | instid1(VALU_DEP_2)
	v_lshrrev_b64 v[2:3], 21, v[2:3]
	v_cmp_gt_i32_e32 vcc_lo, 32, v5
	v_cmp_ne_u32_e64 s13, 0, v5
                                        ; implicit-def: $vgpr25
	s_delay_alu instid0(VALU_DEP_3) | instskip(NEXT) | instid1(VALU_DEP_1)
	v_dual_cndmask_b32 v3, 0, v3 :: v_dual_cndmask_b32 v2, 3, v2
	v_cmp_ne_u64_e32 vcc_lo, 0, v[2:3]
	s_or_b32 s13, s13, vcc_lo
	s_delay_alu instid0(SALU_CYCLE_1) | instskip(NEXT) | instid1(SALU_CYCLE_1)
	s_and_saveexec_b32 s74, s13
	s_xor_b32 s13, exec_lo, s74
; %bb.8788:                             ;   in Loop: Header=BB6_8318 Depth=3
	v_min_i32_e32 v3, 31, v5
	s_delay_alu instid0(VALU_DEP_1) | instskip(NEXT) | instid1(VALU_DEP_1)
	v_lshl_or_b32 v1, v3, 2, v1
	v_and_or_b32 v25, v2, 3, v1
                                        ; implicit-def: $vgpr1
; %bb.8789:                             ;   in Loop: Header=BB6_8318 Depth=3
	s_and_not1_saveexec_b32 s13, s13
; %bb.8790:                             ;   in Loop: Header=BB6_8318 Depth=3
	v_mov_b32_e32 v25, v1
; %bb.8791:                             ;   in Loop: Header=BB6_8318 Depth=3
	s_or_b32 exec_lo, exec_lo, s13
.LBB6_8792:                             ;   in Loop: Header=BB6_8318 Depth=3
	s_delay_alu instid0(SALU_CYCLE_1)
	s_or_b32 exec_lo, exec_lo, s73
                                        ; implicit-def: $vgpr1
.LBB6_8793:                             ;   in Loop: Header=BB6_8318 Depth=3
	s_and_not1_saveexec_b32 s13, s72
; %bb.8794:                             ;   in Loop: Header=BB6_8318 Depth=3
	v_or_b32_e32 v25, 0x7b, v1
; %bb.8795:                             ;   in Loop: Header=BB6_8318 Depth=3
	s_or_b32 exec_lo, exec_lo, s13
                                        ; implicit-def: $vgpr5
                                        ; implicit-def: $vgpr2_vgpr3
.LBB6_8796:                             ;   in Loop: Header=BB6_8318 Depth=3
	s_and_not1_saveexec_b32 s13, s43
	s_cbranch_execz .LBB6_8802
; %bb.8797:                             ;   in Loop: Header=BB6_8318 Depth=3
	s_mov_b32 s43, exec_lo
                                        ; implicit-def: $vgpr25
	v_cmpx_ne_u64_e32 0, v[2:3]
	s_xor_b32 s43, exec_lo, s43
; %bb.8798:                             ;   in Loop: Header=BB6_8318 Depth=3
	v_lshrrev_b32_e32 v1, 24, v5
                                        ; implicit-def: $vgpr5
	s_delay_alu instid0(VALU_DEP_1)
	v_or_b32_e32 v25, 0x7f, v1
; %bb.8799:                             ;   in Loop: Header=BB6_8318 Depth=3
	s_and_not1_saveexec_b32 s43, s43
; %bb.8800:                             ;   in Loop: Header=BB6_8318 Depth=3
	v_cmp_lt_i32_e32 vcc_lo, -1, v5
	v_cndmask_b32_e64 v25, -4, 0x7c, vcc_lo
; %bb.8801:                             ;   in Loop: Header=BB6_8318 Depth=3
	s_or_b32 exec_lo, exec_lo, s43
.LBB6_8802:                             ;   in Loop: Header=BB6_8318 Depth=3
	s_delay_alu instid0(SALU_CYCLE_1)
	s_or_b32 exec_lo, exec_lo, s13
	v_dual_mov_b32 v1, 0 :: v_dual_mov_b32 v2, 0
	s_mov_b32 s43, exec_lo
	v_cmpx_ne_u16_e32 0, v74
	s_cbranch_execz .LBB6_8812
; %bb.8803:                             ;   in Loop: Header=BB6_8318 Depth=3
	v_bfrev_b32_e32 v2, 1
	s_mov_b32 s72, exec_lo
	v_cmpx_ne_u16_e32 0xff80, v74
	s_cbranch_execz .LBB6_8811
; %bb.8804:                             ;   in Loop: Header=BB6_8318 Depth=3
	v_and_b32_e32 v2, 0x7c, v74
	v_and_b32_e32 v3, 3, v74
	s_delay_alu instid0(VALU_DEP_2) | instskip(SKIP_1) | instid1(SALU_CYCLE_1)
	v_cmp_ne_u32_e32 vcc_lo, 0x7c, v2
                                        ; implicit-def: $vgpr2
	s_and_saveexec_b32 s13, vcc_lo
	s_xor_b32 s13, exec_lo, s13
	s_cbranch_execz .LBB6_8808
; %bb.8805:                             ;   in Loop: Header=BB6_8318 Depth=3
	v_and_b32_e32 v2, 0xff, v74
	s_mov_b32 s73, exec_lo
	s_delay_alu instid0(VALU_DEP_1) | instskip(NEXT) | instid1(VALU_DEP_1)
	v_bfe_u32 v2, v2, 2, 5
	v_cmpx_eq_u32_e32 0, v2
	s_cbranch_execz .LBB6_8807
; %bb.8806:                             ;   in Loop: Header=BB6_8318 Depth=3
	v_clz_i32_u32_e32 v2, v3
	s_delay_alu instid0(VALU_DEP_1) | instskip(SKIP_1) | instid1(VALU_DEP_2)
	v_min_u32_e32 v2, 32, v2
	v_mov_b32_e32 v75, v21
	v_subrev_nc_u32_e32 v3, 29, v2
	v_sub_nc_u32_e32 v2, 30, v2
	s_delay_alu instid0(VALU_DEP_2) | instskip(NEXT) | instid1(VALU_DEP_1)
	v_lshlrev_b64_e32 v[6:7], v3, v[74:75]
	v_and_b32_e32 v3, 3, v6
.LBB6_8807:                             ;   in Loop: Header=BB6_8318 Depth=3
	s_or_b32 exec_lo, exec_lo, s73
	v_bfe_i32 v5, v74, 0, 16
                                        ; implicit-def: $vgpr74
	s_delay_alu instid0(VALU_DEP_1) | instskip(NEXT) | instid1(VALU_DEP_1)
	v_and_b32_e32 v5, 0x80000000, v5
	v_lshl_add_u32 v2, v2, 23, v5
	s_delay_alu instid0(VALU_DEP_1) | instskip(NEXT) | instid1(VALU_DEP_1)
	v_lshl_or_b32 v2, v3, 21, v2
                                        ; implicit-def: $vgpr3
	v_add_nc_u32_e32 v2, 0x38000000, v2
.LBB6_8808:                             ;   in Loop: Header=BB6_8318 Depth=3
	s_and_not1_saveexec_b32 s73, s13
; %bb.8809:                             ;   in Loop: Header=BB6_8318 Depth=3
	v_cmp_lt_i16_e64 s13, -1, v74
	v_mov_b32_e32 v2, 0x7f800000
	v_cmp_eq_u32_e32 vcc_lo, 0, v3
	s_delay_alu instid0(VALU_DEP_2) | instskip(NEXT) | instid1(VALU_DEP_1)
	v_cndmask_b32_e64 v2, 0xff800000, v2, s13
	v_cndmask_b32_e32 v2, 0x7f800001, v2, vcc_lo
; %bb.8810:                             ;   in Loop: Header=BB6_8318 Depth=3
	s_or_b32 exec_lo, exec_lo, s73
.LBB6_8811:                             ;   in Loop: Header=BB6_8318 Depth=3
	s_delay_alu instid0(SALU_CYCLE_1)
	s_or_b32 exec_lo, exec_lo, s72
.LBB6_8812:                             ;   in Loop: Header=BB6_8318 Depth=3
	s_delay_alu instid0(SALU_CYCLE_1) | instskip(NEXT) | instid1(SALU_CYCLE_1)
	s_or_b32 exec_lo, exec_lo, s43
	s_mov_b32 s43, exec_lo
	v_cmpx_ne_u16_e32 0, v40
	s_cbranch_execz .LBB6_8822
; %bb.8813:                             ;   in Loop: Header=BB6_8318 Depth=3
	v_bfrev_b32_e32 v1, 1
	s_mov_b32 s72, exec_lo
	v_cmpx_ne_u16_e32 0xff80, v40
	s_cbranch_execz .LBB6_8821
; %bb.8814:                             ;   in Loop: Header=BB6_8318 Depth=3
	v_and_b32_e32 v1, 0x7c, v40
	v_and_b32_e32 v3, 3, v40
	s_delay_alu instid0(VALU_DEP_2) | instskip(SKIP_1) | instid1(SALU_CYCLE_1)
	v_cmp_ne_u32_e32 vcc_lo, 0x7c, v1
                                        ; implicit-def: $vgpr1
	s_and_saveexec_b32 s13, vcc_lo
	s_xor_b32 s13, exec_lo, s13
	s_cbranch_execz .LBB6_8818
; %bb.8815:                             ;   in Loop: Header=BB6_8318 Depth=3
	v_and_b32_e32 v1, 0xff, v40
	s_mov_b32 s73, exec_lo
	s_delay_alu instid0(VALU_DEP_1) | instskip(NEXT) | instid1(VALU_DEP_1)
	v_bfe_u32 v1, v1, 2, 5
	v_cmpx_eq_u32_e32 0, v1
	s_cbranch_execz .LBB6_8817
; %bb.8816:                             ;   in Loop: Header=BB6_8318 Depth=3
	v_clz_i32_u32_e32 v1, v3
	s_delay_alu instid0(VALU_DEP_1) | instskip(SKIP_1) | instid1(VALU_DEP_2)
	v_min_u32_e32 v1, 32, v1
	v_mov_b32_e32 v41, v21
	v_subrev_nc_u32_e32 v3, 29, v1
	v_sub_nc_u32_e32 v1, 30, v1
	s_delay_alu instid0(VALU_DEP_2) | instskip(NEXT) | instid1(VALU_DEP_1)
	v_lshlrev_b64_e32 v[6:7], v3, v[40:41]
	v_and_b32_e32 v3, 3, v6
.LBB6_8817:                             ;   in Loop: Header=BB6_8318 Depth=3
	s_or_b32 exec_lo, exec_lo, s73
	v_bfe_i32 v5, v40, 0, 16
                                        ; implicit-def: $vgpr40
	s_delay_alu instid0(VALU_DEP_1) | instskip(NEXT) | instid1(VALU_DEP_1)
	v_and_b32_e32 v5, 0x80000000, v5
	v_lshl_add_u32 v1, v1, 23, v5
	s_delay_alu instid0(VALU_DEP_1) | instskip(NEXT) | instid1(VALU_DEP_1)
	v_lshl_or_b32 v1, v3, 21, v1
                                        ; implicit-def: $vgpr3
	v_add_nc_u32_e32 v1, 0x38000000, v1
.LBB6_8818:                             ;   in Loop: Header=BB6_8318 Depth=3
	s_and_not1_saveexec_b32 s73, s13
; %bb.8819:                             ;   in Loop: Header=BB6_8318 Depth=3
	v_cmp_lt_i16_e64 s13, -1, v40
	v_mov_b32_e32 v1, 0x7f800000
	v_cmp_eq_u32_e32 vcc_lo, 0, v3
	s_delay_alu instid0(VALU_DEP_2) | instskip(NEXT) | instid1(VALU_DEP_1)
	v_cndmask_b32_e64 v1, 0xff800000, v1, s13
	v_cndmask_b32_e32 v1, 0x7f800001, v1, vcc_lo
; %bb.8820:                             ;   in Loop: Header=BB6_8318 Depth=3
	s_or_b32 exec_lo, exec_lo, s73
.LBB6_8821:                             ;   in Loop: Header=BB6_8318 Depth=3
	s_delay_alu instid0(SALU_CYCLE_1)
	s_or_b32 exec_lo, exec_lo, s72
.LBB6_8822:                             ;   in Loop: Header=BB6_8318 Depth=3
	s_delay_alu instid0(SALU_CYCLE_1) | instskip(NEXT) | instid1(VALU_DEP_1)
	s_or_b32 exec_lo, exec_lo, s43
	v_dual_mul_f32 v5, v2, v1 :: v_dual_mov_b32 v3, v21
                                        ; implicit-def: $vgpr6
	s_delay_alu instid0(VALU_DEP_1) | instskip(NEXT) | instid1(VALU_DEP_1)
	v_and_b32_e32 v2, 0x7f800000, v5
	v_cmp_ne_u64_e32 vcc_lo, 0x7f800000, v[2:3]
	v_and_b32_e32 v2, 0x7fffff, v5
	s_and_saveexec_b32 s13, vcc_lo
	s_delay_alu instid0(SALU_CYCLE_1)
	s_xor_b32 s43, exec_lo, s13
	s_cbranch_execz .LBB6_8840
; %bb.8823:                             ;   in Loop: Header=BB6_8318 Depth=3
	v_and_b32_e32 v6, 0x7fffffff, v5
	v_dual_mov_b32 v7, v21 :: v_dual_lshrrev_b32 v1, 24, v5
	s_delay_alu instid0(VALU_DEP_1) | instskip(NEXT) | instid1(VALU_DEP_2)
	v_cmp_gt_u64_e32 vcc_lo, 0x47600001, v[6:7]
	v_and_b32_e32 v1, 0x80, v1
                                        ; implicit-def: $vgpr6
	s_and_saveexec_b32 s13, vcc_lo
	s_delay_alu instid0(SALU_CYCLE_1)
	s_xor_b32 s72, exec_lo, s13
	s_cbranch_execz .LBB6_8837
; %bb.8824:                             ;   in Loop: Header=BB6_8318 Depth=3
	v_mov_b32_e32 v6, 0
	s_mov_b32 s73, exec_lo
	v_cmpx_ne_u32_e32 0, v5
	s_cbranch_execz .LBB6_8836
; %bb.8825:                             ;   in Loop: Header=BB6_8318 Depth=3
	v_bfe_u32 v5, v5, 23, 8
	v_or_b32_e32 v7, 0x800000, v2
	s_delay_alu instid0(VALU_DEP_2) | instskip(SKIP_2) | instid1(VALU_DEP_2)
	v_cmp_gt_u32_e64 s13, 0x72, v5
	v_sub_nc_u32_e32 v6, 0x71, v5
	v_cmp_eq_u32_e32 vcc_lo, 0, v5
	v_cndmask_b32_e64 v6, 0, v6, s13
	s_delay_alu instid0(VALU_DEP_1) | instskip(NEXT) | instid1(VALU_DEP_1)
	v_cndmask_b32_e64 v27, v6, 0x70, vcc_lo
	v_dual_cndmask_b32 v2, v7, v2, vcc_lo :: v_dual_add_nc_u32 v6, 21, v27
	v_add_nc_u32_e32 v29, 20, v27
	s_delay_alu instid0(VALU_DEP_2) | instskip(NEXT) | instid1(VALU_DEP_2)
	v_lshlrev_b64_e64 v[6:7], v6, -1
	v_lshlrev_b64_e64 v[32:33], v29, 1
	s_delay_alu instid0(VALU_DEP_2) | instskip(SKIP_1) | instid1(VALU_DEP_4)
	v_bfi_b32 v6, v6, 0, v2
	v_lshrrev_b64 v[2:3], v27, v[2:3]
	v_bfi_b32 v7, v7, 0, 0
	s_delay_alu instid0(VALU_DEP_1) | instskip(NEXT) | instid1(VALU_DEP_3)
	v_cmp_eq_u64_e64 s13, v[6:7], v[32:33]
	v_mov_b64_e32 v[6:7], v[2:3]
	s_and_saveexec_b32 s74, s13
; %bb.8826:                             ;   in Loop: Header=BB6_8318 Depth=3
	v_bfe_u32 v6, v2, 21, 1
	v_mov_b32_e32 v7, v21
	s_delay_alu instid0(VALU_DEP_1) | instskip(NEXT) | instid1(VALU_DEP_1)
	v_add_nc_u64_e32 v[6:7], v[2:3], v[6:7]
	v_add_nc_u64_e32 v[6:7], -1, v[6:7]
; %bb.8827:                             ;   in Loop: Header=BB6_8318 Depth=3
	s_or_b32 exec_lo, exec_lo, s74
	v_add_nc_u32_e32 v3, 0xffffff81, v5
	v_lshrrev_b32_e32 v5, 23, v2
	s_mov_b32 s13, exec_lo
	s_delay_alu instid0(VALU_DEP_2) | instskip(NEXT) | instid1(VALU_DEP_1)
	v_cndmask_b32_e64 v3, v3, 0xffffff82, vcc_lo
	v_add3_u32 v7, v27, v3, v5
	v_and_b32_e32 v3, 0x1fffff, v6
                                        ; implicit-def: $vgpr5
	s_delay_alu instid0(VALU_DEP_1) | instskip(SKIP_1) | instid1(VALU_DEP_2)
	v_dual_add_nc_u32 v6, 14, v7 :: v_dual_add_nc_u32 v2, v3, v2
	v_mov_b32_e32 v3, v21
	v_cmpx_ne_u32_e32 0, v6
	s_xor_b32 s13, exec_lo, s13
; %bb.8828:                             ;   in Loop: Header=BB6_8318 Depth=3
	s_delay_alu instid0(VALU_DEP_2) | instskip(SKIP_1) | instid1(VALU_DEP_1)
	v_cmp_lt_u64_e32 vcc_lo, 0xffffff, v[2:3]
	v_add_nc_u32_e32 v5, 15, v7
	v_cndmask_b32_e32 v5, v6, v5, vcc_lo
	v_cndmask_b32_e64 v6, 0, 1, vcc_lo
	s_delay_alu instid0(VALU_DEP_1)
	v_lshrrev_b64 v[2:3], v6, v[2:3]
; %bb.8829:                             ;   in Loop: Header=BB6_8318 Depth=3
	s_and_not1_saveexec_b32 s13, s13
; %bb.8830:                             ;   in Loop: Header=BB6_8318 Depth=3
	s_delay_alu instid0(VALU_DEP_1)
	v_bfe_u32 v5, v2, 23, 1
; %bb.8831:                             ;   in Loop: Header=BB6_8318 Depth=3
	s_or_b32 exec_lo, exec_lo, s13
	s_delay_alu instid0(VALU_DEP_2) | instskip(NEXT) | instid1(VALU_DEP_2)
	v_lshrrev_b64 v[2:3], 21, v[2:3]
	v_cmp_gt_i32_e32 vcc_lo, 32, v5
	v_cmp_ne_u32_e64 s13, 0, v5
                                        ; implicit-def: $vgpr6
	s_delay_alu instid0(VALU_DEP_3) | instskip(NEXT) | instid1(VALU_DEP_1)
	v_dual_cndmask_b32 v3, 0, v3 :: v_dual_cndmask_b32 v2, 3, v2
	v_cmp_ne_u64_e32 vcc_lo, 0, v[2:3]
	s_or_b32 s13, s13, vcc_lo
	s_delay_alu instid0(SALU_CYCLE_1) | instskip(NEXT) | instid1(SALU_CYCLE_1)
	s_and_saveexec_b32 s74, s13
	s_xor_b32 s13, exec_lo, s74
; %bb.8832:                             ;   in Loop: Header=BB6_8318 Depth=3
	v_min_i32_e32 v3, 31, v5
	s_delay_alu instid0(VALU_DEP_1) | instskip(NEXT) | instid1(VALU_DEP_1)
	v_lshl_or_b32 v1, v3, 2, v1
	v_and_or_b32 v6, v2, 3, v1
                                        ; implicit-def: $vgpr1
; %bb.8833:                             ;   in Loop: Header=BB6_8318 Depth=3
	s_and_not1_saveexec_b32 s13, s13
; %bb.8834:                             ;   in Loop: Header=BB6_8318 Depth=3
	v_mov_b32_e32 v6, v1
; %bb.8835:                             ;   in Loop: Header=BB6_8318 Depth=3
	s_or_b32 exec_lo, exec_lo, s13
.LBB6_8836:                             ;   in Loop: Header=BB6_8318 Depth=3
	s_delay_alu instid0(SALU_CYCLE_1)
	s_or_b32 exec_lo, exec_lo, s73
                                        ; implicit-def: $vgpr1
.LBB6_8837:                             ;   in Loop: Header=BB6_8318 Depth=3
	s_and_not1_saveexec_b32 s13, s72
; %bb.8838:                             ;   in Loop: Header=BB6_8318 Depth=3
	v_or_b32_e32 v6, 0x7b, v1
; %bb.8839:                             ;   in Loop: Header=BB6_8318 Depth=3
	s_or_b32 exec_lo, exec_lo, s13
                                        ; implicit-def: $vgpr5
                                        ; implicit-def: $vgpr2_vgpr3
.LBB6_8840:                             ;   in Loop: Header=BB6_8318 Depth=3
	s_and_not1_saveexec_b32 s13, s43
	s_cbranch_execz .LBB6_8846
; %bb.8841:                             ;   in Loop: Header=BB6_8318 Depth=3
	s_mov_b32 s43, exec_lo
                                        ; implicit-def: $vgpr6
	v_cmpx_ne_u64_e32 0, v[2:3]
	s_xor_b32 s43, exec_lo, s43
; %bb.8842:                             ;   in Loop: Header=BB6_8318 Depth=3
	v_lshrrev_b32_e32 v1, 24, v5
                                        ; implicit-def: $vgpr5
	s_delay_alu instid0(VALU_DEP_1)
	v_or_b32_e32 v6, 0x7f, v1
; %bb.8843:                             ;   in Loop: Header=BB6_8318 Depth=3
	s_and_not1_saveexec_b32 s43, s43
; %bb.8844:                             ;   in Loop: Header=BB6_8318 Depth=3
	v_cmp_lt_i32_e32 vcc_lo, -1, v5
	v_cndmask_b32_e64 v6, -4, 0x7c, vcc_lo
; %bb.8845:                             ;   in Loop: Header=BB6_8318 Depth=3
	s_or_b32 exec_lo, exec_lo, s43
.LBB6_8846:                             ;   in Loop: Header=BB6_8318 Depth=3
	s_delay_alu instid0(SALU_CYCLE_1)
	s_or_b32 exec_lo, exec_lo, s13
	v_dual_mov_b32 v1, 0 :: v_dual_mov_b32 v2, 0
	s_mov_b32 s43, exec_lo
	v_cmpx_ne_u16_e32 0, v66
	s_cbranch_execz .LBB6_8856
; %bb.8847:                             ;   in Loop: Header=BB6_8318 Depth=3
	v_bfrev_b32_e32 v2, 1
	s_mov_b32 s72, exec_lo
	v_cmpx_ne_u16_e32 0xff80, v66
	s_cbranch_execz .LBB6_8855
; %bb.8848:                             ;   in Loop: Header=BB6_8318 Depth=3
	v_and_b32_e32 v2, 0x7c, v66
	v_and_b32_e32 v3, 3, v66
	s_delay_alu instid0(VALU_DEP_2) | instskip(SKIP_1) | instid1(SALU_CYCLE_1)
	v_cmp_ne_u32_e32 vcc_lo, 0x7c, v2
                                        ; implicit-def: $vgpr2
	s_and_saveexec_b32 s13, vcc_lo
	s_xor_b32 s13, exec_lo, s13
	s_cbranch_execz .LBB6_8852
; %bb.8849:                             ;   in Loop: Header=BB6_8318 Depth=3
	v_and_b32_e32 v2, 0xff, v66
	s_mov_b32 s73, exec_lo
	s_delay_alu instid0(VALU_DEP_1) | instskip(NEXT) | instid1(VALU_DEP_1)
	v_bfe_u32 v2, v2, 2, 5
	v_cmpx_eq_u32_e32 0, v2
	s_cbranch_execz .LBB6_8851
; %bb.8850:                             ;   in Loop: Header=BB6_8318 Depth=3
	v_clz_i32_u32_e32 v2, v3
	s_delay_alu instid0(VALU_DEP_1) | instskip(SKIP_1) | instid1(VALU_DEP_2)
	v_min_u32_e32 v2, 32, v2
	v_mov_b32_e32 v67, v21
	v_subrev_nc_u32_e32 v3, 29, v2
	v_sub_nc_u32_e32 v2, 30, v2
	s_delay_alu instid0(VALU_DEP_2) | instskip(NEXT) | instid1(VALU_DEP_1)
	v_lshlrev_b64_e32 v[32:33], v3, v[66:67]
	v_and_b32_e32 v3, 3, v32
.LBB6_8851:                             ;   in Loop: Header=BB6_8318 Depth=3
	s_or_b32 exec_lo, exec_lo, s73
	v_bfe_i32 v5, v66, 0, 16
                                        ; implicit-def: $vgpr66
	s_delay_alu instid0(VALU_DEP_1) | instskip(NEXT) | instid1(VALU_DEP_1)
	v_and_b32_e32 v5, 0x80000000, v5
	v_lshl_add_u32 v2, v2, 23, v5
	s_delay_alu instid0(VALU_DEP_1) | instskip(NEXT) | instid1(VALU_DEP_1)
	v_lshl_or_b32 v2, v3, 21, v2
                                        ; implicit-def: $vgpr3
	v_add_nc_u32_e32 v2, 0x38000000, v2
.LBB6_8852:                             ;   in Loop: Header=BB6_8318 Depth=3
	s_and_not1_saveexec_b32 s73, s13
; %bb.8853:                             ;   in Loop: Header=BB6_8318 Depth=3
	v_cmp_lt_i16_e64 s13, -1, v66
	v_mov_b32_e32 v2, 0x7f800000
	v_cmp_eq_u32_e32 vcc_lo, 0, v3
	s_delay_alu instid0(VALU_DEP_2) | instskip(NEXT) | instid1(VALU_DEP_1)
	v_cndmask_b32_e64 v2, 0xff800000, v2, s13
	v_cndmask_b32_e32 v2, 0x7f800001, v2, vcc_lo
; %bb.8854:                             ;   in Loop: Header=BB6_8318 Depth=3
	s_or_b32 exec_lo, exec_lo, s73
.LBB6_8855:                             ;   in Loop: Header=BB6_8318 Depth=3
	s_delay_alu instid0(SALU_CYCLE_1)
	s_or_b32 exec_lo, exec_lo, s72
.LBB6_8856:                             ;   in Loop: Header=BB6_8318 Depth=3
	s_delay_alu instid0(SALU_CYCLE_1) | instskip(NEXT) | instid1(SALU_CYCLE_1)
	s_or_b32 exec_lo, exec_lo, s43
	s_mov_b32 s43, exec_lo
	v_cmpx_ne_u16_e32 0, v0
	s_cbranch_execz .LBB6_8866
; %bb.8857:                             ;   in Loop: Header=BB6_8318 Depth=3
	v_bfrev_b32_e32 v1, 1
	s_mov_b32 s72, exec_lo
	v_cmpx_ne_u16_e32 0xff80, v0
	s_cbranch_execz .LBB6_8865
; %bb.8858:                             ;   in Loop: Header=BB6_8318 Depth=3
	v_and_b32_e32 v1, 0x7c, v0
	v_and_b32_e32 v3, 3, v0
	s_delay_alu instid0(VALU_DEP_2) | instskip(SKIP_1) | instid1(SALU_CYCLE_1)
	v_cmp_ne_u32_e32 vcc_lo, 0x7c, v1
                                        ; implicit-def: $vgpr1
	s_and_saveexec_b32 s13, vcc_lo
	s_xor_b32 s13, exec_lo, s13
	s_cbranch_execz .LBB6_8862
; %bb.8859:                             ;   in Loop: Header=BB6_8318 Depth=3
	v_and_b32_e32 v1, 0xff, v0
	s_mov_b32 s73, exec_lo
	s_delay_alu instid0(VALU_DEP_1) | instskip(NEXT) | instid1(VALU_DEP_1)
	v_bfe_u32 v1, v1, 2, 5
	v_cmpx_eq_u32_e32 0, v1
; %bb.8860:                             ;   in Loop: Header=BB6_8318 Depth=3
	v_clz_i32_u32_e32 v1, v3
	s_delay_alu instid0(VALU_DEP_1) | instskip(SKIP_1) | instid1(VALU_DEP_2)
	v_min_u32_e32 v3, 32, v1
	v_mov_b32_e32 v1, v21
	v_subrev_nc_u32_e32 v5, 29, v3
	s_delay_alu instid0(VALU_DEP_1) | instskip(NEXT) | instid1(VALU_DEP_1)
	v_lshlrev_b64_e32 v[32:33], v5, v[0:1]
	v_dual_sub_nc_u32 v1, 30, v3 :: v_dual_bitop2_b32 v3, 3, v32 bitop3:0x40
; %bb.8861:                             ;   in Loop: Header=BB6_8318 Depth=3
	s_or_b32 exec_lo, exec_lo, s73
	v_bfe_i32 v0, v0, 0, 16
	s_delay_alu instid0(VALU_DEP_1) | instskip(NEXT) | instid1(VALU_DEP_1)
	v_and_b32_e32 v0, 0x80000000, v0
	v_lshl_add_u32 v0, v1, 23, v0
	s_delay_alu instid0(VALU_DEP_1) | instskip(NEXT) | instid1(VALU_DEP_1)
	v_lshl_or_b32 v0, v3, 21, v0
                                        ; implicit-def: $vgpr3
	v_add_nc_u32_e32 v1, 0x38000000, v0
                                        ; implicit-def: $vgpr0
.LBB6_8862:                             ;   in Loop: Header=BB6_8318 Depth=3
	s_and_not1_saveexec_b32 s73, s13
; %bb.8863:                             ;   in Loop: Header=BB6_8318 Depth=3
	v_cmp_lt_i16_e64 s13, -1, v0
	v_mov_b32_e32 v0, 0x7f800000
	v_cmp_eq_u32_e32 vcc_lo, 0, v3
	s_delay_alu instid0(VALU_DEP_2) | instskip(NEXT) | instid1(VALU_DEP_1)
	v_cndmask_b32_e64 v0, 0xff800000, v0, s13
	v_cndmask_b32_e32 v1, 0x7f800001, v0, vcc_lo
; %bb.8864:                             ;   in Loop: Header=BB6_8318 Depth=3
	s_or_b32 exec_lo, exec_lo, s73
.LBB6_8865:                             ;   in Loop: Header=BB6_8318 Depth=3
	s_delay_alu instid0(SALU_CYCLE_1)
	s_or_b32 exec_lo, exec_lo, s72
.LBB6_8866:                             ;   in Loop: Header=BB6_8318 Depth=3
	s_delay_alu instid0(SALU_CYCLE_1) | instskip(NEXT) | instid1(VALU_DEP_1)
	s_or_b32 exec_lo, exec_lo, s43
	v_dual_mul_f32 v2, v2, v1 :: v_dual_mov_b32 v1, v21
                                        ; implicit-def: $vgpr7
	s_delay_alu instid0(VALU_DEP_1) | instskip(NEXT) | instid1(VALU_DEP_1)
	v_and_b32_e32 v0, 0x7f800000, v2
	v_cmp_ne_u64_e32 vcc_lo, 0x7f800000, v[0:1]
	v_and_b32_e32 v0, 0x7fffff, v2
	s_and_saveexec_b32 s13, vcc_lo
	s_delay_alu instid0(SALU_CYCLE_1)
	s_xor_b32 s43, exec_lo, s13
	s_cbranch_execz .LBB6_8884
; %bb.8867:                             ;   in Loop: Header=BB6_8318 Depth=3
	v_dual_mov_b32 v33, v21 :: v_dual_lshrrev_b32 v3, 24, v2
	v_and_b32_e32 v32, 0x7fffffff, v2
                                        ; implicit-def: $vgpr7
	s_mov_b32 s13, exec_lo
	s_delay_alu instid0(VALU_DEP_2) | instskip(NEXT) | instid1(VALU_DEP_2)
	v_and_b32_e32 v5, 0x80, v3
	v_cmpx_gt_u64_e32 0x47600001, v[32:33]
	s_xor_b32 s72, exec_lo, s13
	s_cbranch_execz .LBB6_8881
; %bb.8868:                             ;   in Loop: Header=BB6_8318 Depth=3
	v_mov_b32_e32 v7, 0
	s_mov_b32 s73, exec_lo
	v_cmpx_ne_u32_e32 0, v2
	s_cbranch_execz .LBB6_8880
; %bb.8869:                             ;   in Loop: Header=BB6_8318 Depth=3
	v_bfe_u32 v7, v2, 23, 8
	v_or_b32_e32 v3, 0x800000, v0
	s_delay_alu instid0(VALU_DEP_2) | instskip(SKIP_2) | instid1(VALU_DEP_2)
	v_cmp_gt_u32_e64 s13, 0x72, v7
	v_sub_nc_u32_e32 v2, 0x71, v7
	v_cmp_eq_u32_e32 vcc_lo, 0, v7
	v_dual_cndmask_b32 v2, 0, v2, s13 :: v_dual_cndmask_b32 v0, v3, v0, vcc_lo
	s_delay_alu instid0(VALU_DEP_1) | instskip(NEXT) | instid1(VALU_DEP_1)
	v_cndmask_b32_e64 v27, v2, 0x70, vcc_lo
	v_dual_add_nc_u32 v2, 21, v27 :: v_dual_add_nc_u32 v29, 20, v27
	s_delay_alu instid0(VALU_DEP_1) | instskip(NEXT) | instid1(VALU_DEP_2)
	v_lshlrev_b64_e64 v[2:3], v2, -1
	v_lshlrev_b64_e64 v[32:33], v29, 1
	s_delay_alu instid0(VALU_DEP_2) | instskip(SKIP_1) | instid1(VALU_DEP_4)
	v_bfi_b32 v2, v2, 0, v0
	v_lshrrev_b64 v[0:1], v27, v[0:1]
	v_bfi_b32 v3, v3, 0, 0
	s_delay_alu instid0(VALU_DEP_1) | instskip(NEXT) | instid1(VALU_DEP_3)
	v_cmp_eq_u64_e64 s13, v[2:3], v[32:33]
	v_mov_b64_e32 v[2:3], v[0:1]
	s_and_saveexec_b32 s74, s13
; %bb.8870:                             ;   in Loop: Header=BB6_8318 Depth=3
	v_bfe_u32 v2, v0, 21, 1
	v_mov_b32_e32 v3, v21
	s_delay_alu instid0(VALU_DEP_1) | instskip(NEXT) | instid1(VALU_DEP_1)
	v_add_nc_u64_e32 v[2:3], v[0:1], v[2:3]
	v_add_nc_u64_e32 v[2:3], -1, v[2:3]
; %bb.8871:                             ;   in Loop: Header=BB6_8318 Depth=3
	s_or_b32 exec_lo, exec_lo, s74
	v_add_nc_u32_e32 v1, 0xffffff81, v7
	v_lshrrev_b32_e32 v3, 23, v0
	s_mov_b32 s13, exec_lo
	s_delay_alu instid0(VALU_DEP_2) | instskip(NEXT) | instid1(VALU_DEP_1)
	v_cndmask_b32_e64 v1, v1, 0xffffff82, vcc_lo
	v_add3_u32 v7, v27, v1, v3
	v_and_b32_e32 v1, 0x1fffff, v2
                                        ; implicit-def: $vgpr2
	s_delay_alu instid0(VALU_DEP_1) | instskip(SKIP_1) | instid1(VALU_DEP_2)
	v_dual_add_nc_u32 v3, 14, v7 :: v_dual_add_nc_u32 v0, v1, v0
	v_mov_b32_e32 v1, v21
	v_cmpx_ne_u32_e32 0, v3
	s_xor_b32 s13, exec_lo, s13
; %bb.8872:                             ;   in Loop: Header=BB6_8318 Depth=3
	s_delay_alu instid0(VALU_DEP_2) | instskip(SKIP_1) | instid1(VALU_DEP_1)
	v_cmp_lt_u64_e32 vcc_lo, 0xffffff, v[0:1]
	v_add_nc_u32_e32 v2, 15, v7
	v_cndmask_b32_e32 v2, v3, v2, vcc_lo
	v_cndmask_b32_e64 v3, 0, 1, vcc_lo
	s_delay_alu instid0(VALU_DEP_1)
	v_lshrrev_b64 v[0:1], v3, v[0:1]
; %bb.8873:                             ;   in Loop: Header=BB6_8318 Depth=3
	s_and_not1_saveexec_b32 s13, s13
; %bb.8874:                             ;   in Loop: Header=BB6_8318 Depth=3
	s_delay_alu instid0(VALU_DEP_1)
	v_bfe_u32 v2, v0, 23, 1
; %bb.8875:                             ;   in Loop: Header=BB6_8318 Depth=3
	s_or_b32 exec_lo, exec_lo, s13
	s_delay_alu instid0(VALU_DEP_2) | instskip(NEXT) | instid1(VALU_DEP_2)
	v_lshrrev_b64 v[0:1], 21, v[0:1]
	v_cmp_gt_i32_e32 vcc_lo, 32, v2
	v_cmp_ne_u32_e64 s13, 0, v2
                                        ; implicit-def: $vgpr7
	s_delay_alu instid0(VALU_DEP_3) | instskip(NEXT) | instid1(VALU_DEP_1)
	v_dual_cndmask_b32 v1, 0, v1 :: v_dual_cndmask_b32 v0, 3, v0
	v_cmp_ne_u64_e32 vcc_lo, 0, v[0:1]
	s_or_b32 s13, s13, vcc_lo
	s_delay_alu instid0(SALU_CYCLE_1) | instskip(NEXT) | instid1(SALU_CYCLE_1)
	s_and_saveexec_b32 s74, s13
	s_xor_b32 s13, exec_lo, s74
; %bb.8876:                             ;   in Loop: Header=BB6_8318 Depth=3
	v_min_i32_e32 v1, 31, v2
	s_delay_alu instid0(VALU_DEP_1) | instskip(NEXT) | instid1(VALU_DEP_1)
	v_lshl_or_b32 v1, v1, 2, v5
                                        ; implicit-def: $vgpr5
	v_and_or_b32 v7, v0, 3, v1
; %bb.8877:                             ;   in Loop: Header=BB6_8318 Depth=3
	s_and_not1_saveexec_b32 s13, s13
; %bb.8878:                             ;   in Loop: Header=BB6_8318 Depth=3
	v_mov_b32_e32 v7, v5
; %bb.8879:                             ;   in Loop: Header=BB6_8318 Depth=3
	s_or_b32 exec_lo, exec_lo, s13
.LBB6_8880:                             ;   in Loop: Header=BB6_8318 Depth=3
	s_delay_alu instid0(SALU_CYCLE_1)
	s_or_b32 exec_lo, exec_lo, s73
                                        ; implicit-def: $vgpr5
.LBB6_8881:                             ;   in Loop: Header=BB6_8318 Depth=3
	s_and_not1_saveexec_b32 s13, s72
; %bb.8882:                             ;   in Loop: Header=BB6_8318 Depth=3
	v_or_b32_e32 v7, 0x7b, v5
; %bb.8883:                             ;   in Loop: Header=BB6_8318 Depth=3
	s_or_b32 exec_lo, exec_lo, s13
                                        ; implicit-def: $vgpr2
                                        ; implicit-def: $vgpr0_vgpr1
.LBB6_8884:                             ;   in Loop: Header=BB6_8318 Depth=3
	s_and_not1_saveexec_b32 s13, s43
	s_cbranch_execz .LBB6_8890
; %bb.8885:                             ;   in Loop: Header=BB6_8318 Depth=3
	s_mov_b32 s43, exec_lo
                                        ; implicit-def: $vgpr7
	v_cmpx_ne_u64_e32 0, v[0:1]
	s_xor_b32 s43, exec_lo, s43
; %bb.8886:                             ;   in Loop: Header=BB6_8318 Depth=3
	v_lshrrev_b32_e32 v0, 24, v2
                                        ; implicit-def: $vgpr2
	s_delay_alu instid0(VALU_DEP_1)
	v_or_b32_e32 v7, 0x7f, v0
; %bb.8887:                             ;   in Loop: Header=BB6_8318 Depth=3
	s_and_not1_saveexec_b32 s43, s43
; %bb.8888:                             ;   in Loop: Header=BB6_8318 Depth=3
	v_cmp_lt_i32_e32 vcc_lo, -1, v2
	v_cndmask_b32_e64 v7, -4, 0x7c, vcc_lo
; %bb.8889:                             ;   in Loop: Header=BB6_8318 Depth=3
	s_or_b32 exec_lo, exec_lo, s43
.LBB6_8890:                             ;   in Loop: Header=BB6_8318 Depth=3
	s_delay_alu instid0(SALU_CYCLE_1)
	s_or_b32 exec_lo, exec_lo, s13
	v_dual_mov_b32 v0, 0 :: v_dual_mov_b32 v1, 0
	s_mov_b32 s43, exec_lo
	v_cmpx_ne_u16_e32 0, v46
	s_cbranch_execz .LBB6_8900
; %bb.8891:                             ;   in Loop: Header=BB6_8318 Depth=3
	v_bfrev_b32_e32 v1, 1
	s_mov_b32 s72, exec_lo
	v_cmpx_ne_u16_e32 0xff80, v46
	s_cbranch_execz .LBB6_8899
; %bb.8892:                             ;   in Loop: Header=BB6_8318 Depth=3
	v_and_b32_e32 v1, 0x7c, v46
	v_and_b32_e32 v2, 3, v46
	s_delay_alu instid0(VALU_DEP_2) | instskip(SKIP_1) | instid1(SALU_CYCLE_1)
	v_cmp_ne_u32_e32 vcc_lo, 0x7c, v1
                                        ; implicit-def: $vgpr1
	s_and_saveexec_b32 s13, vcc_lo
	s_xor_b32 s13, exec_lo, s13
	s_cbranch_execz .LBB6_8896
; %bb.8893:                             ;   in Loop: Header=BB6_8318 Depth=3
	v_and_b32_e32 v1, 0xff, v46
	s_mov_b32 s73, exec_lo
	s_delay_alu instid0(VALU_DEP_1) | instskip(NEXT) | instid1(VALU_DEP_1)
	v_bfe_u32 v1, v1, 2, 5
	v_cmpx_eq_u32_e32 0, v1
	s_cbranch_execz .LBB6_8895
; %bb.8894:                             ;   in Loop: Header=BB6_8318 Depth=3
	v_clz_i32_u32_e32 v1, v2
	s_delay_alu instid0(VALU_DEP_1) | instskip(SKIP_1) | instid1(VALU_DEP_2)
	v_min_u32_e32 v1, 32, v1
	v_mov_b32_e32 v47, v21
	v_subrev_nc_u32_e32 v2, 29, v1
	v_sub_nc_u32_e32 v1, 30, v1
	s_delay_alu instid0(VALU_DEP_2) | instskip(NEXT) | instid1(VALU_DEP_1)
	v_lshlrev_b64_e32 v[2:3], v2, v[46:47]
	v_and_b32_e32 v2, 3, v2
.LBB6_8895:                             ;   in Loop: Header=BB6_8318 Depth=3
	s_or_b32 exec_lo, exec_lo, s73
	v_bfe_i32 v3, v46, 0, 16
                                        ; implicit-def: $vgpr46
	s_delay_alu instid0(VALU_DEP_1) | instskip(NEXT) | instid1(VALU_DEP_1)
	v_and_b32_e32 v3, 0x80000000, v3
	v_lshl_add_u32 v1, v1, 23, v3
	s_delay_alu instid0(VALU_DEP_1) | instskip(NEXT) | instid1(VALU_DEP_1)
	v_lshl_or_b32 v1, v2, 21, v1
                                        ; implicit-def: $vgpr2
	v_add_nc_u32_e32 v1, 0x38000000, v1
.LBB6_8896:                             ;   in Loop: Header=BB6_8318 Depth=3
	s_and_not1_saveexec_b32 s73, s13
; %bb.8897:                             ;   in Loop: Header=BB6_8318 Depth=3
	v_cmp_lt_i16_e64 s13, -1, v46
	v_mov_b32_e32 v1, 0x7f800000
	v_cmp_eq_u32_e32 vcc_lo, 0, v2
	s_delay_alu instid0(VALU_DEP_2) | instskip(NEXT) | instid1(VALU_DEP_1)
	v_cndmask_b32_e64 v1, 0xff800000, v1, s13
	v_cndmask_b32_e32 v1, 0x7f800001, v1, vcc_lo
; %bb.8898:                             ;   in Loop: Header=BB6_8318 Depth=3
	s_or_b32 exec_lo, exec_lo, s73
.LBB6_8899:                             ;   in Loop: Header=BB6_8318 Depth=3
	s_delay_alu instid0(SALU_CYCLE_1)
	s_or_b32 exec_lo, exec_lo, s72
.LBB6_8900:                             ;   in Loop: Header=BB6_8318 Depth=3
	s_delay_alu instid0(SALU_CYCLE_1) | instskip(NEXT) | instid1(SALU_CYCLE_1)
	s_or_b32 exec_lo, exec_lo, s43
	s_mov_b32 s43, exec_lo
	v_cmpx_ne_u16_e32 0, v42
	s_cbranch_execz .LBB6_8910
; %bb.8901:                             ;   in Loop: Header=BB6_8318 Depth=3
	v_bfrev_b32_e32 v0, 1
	s_mov_b32 s72, exec_lo
	v_cmpx_ne_u16_e32 0xff80, v42
	s_cbranch_execz .LBB6_8909
; %bb.8902:                             ;   in Loop: Header=BB6_8318 Depth=3
	v_and_b32_e32 v0, 0x7c, v42
	v_and_b32_e32 v2, 3, v42
	s_delay_alu instid0(VALU_DEP_2) | instskip(SKIP_1) | instid1(SALU_CYCLE_1)
	v_cmp_ne_u32_e32 vcc_lo, 0x7c, v0
                                        ; implicit-def: $vgpr0
	s_and_saveexec_b32 s13, vcc_lo
	s_xor_b32 s13, exec_lo, s13
	s_cbranch_execz .LBB6_8906
; %bb.8903:                             ;   in Loop: Header=BB6_8318 Depth=3
	v_and_b32_e32 v0, 0xff, v42
	s_mov_b32 s73, exec_lo
	s_delay_alu instid0(VALU_DEP_1) | instskip(NEXT) | instid1(VALU_DEP_1)
	v_bfe_u32 v0, v0, 2, 5
	v_cmpx_eq_u32_e32 0, v0
	s_cbranch_execz .LBB6_8905
; %bb.8904:                             ;   in Loop: Header=BB6_8318 Depth=3
	v_clz_i32_u32_e32 v0, v2
	s_delay_alu instid0(VALU_DEP_1) | instskip(SKIP_1) | instid1(VALU_DEP_2)
	v_min_u32_e32 v0, 32, v0
	v_mov_b32_e32 v43, v21
	v_subrev_nc_u32_e32 v2, 29, v0
	v_sub_nc_u32_e32 v0, 30, v0
	s_delay_alu instid0(VALU_DEP_2) | instskip(NEXT) | instid1(VALU_DEP_1)
	v_lshlrev_b64_e32 v[2:3], v2, v[42:43]
	v_and_b32_e32 v2, 3, v2
.LBB6_8905:                             ;   in Loop: Header=BB6_8318 Depth=3
	s_or_b32 exec_lo, exec_lo, s73
	v_bfe_i32 v3, v42, 0, 16
                                        ; implicit-def: $vgpr42
	s_delay_alu instid0(VALU_DEP_1) | instskip(NEXT) | instid1(VALU_DEP_1)
	v_and_b32_e32 v3, 0x80000000, v3
	v_lshl_add_u32 v0, v0, 23, v3
	s_delay_alu instid0(VALU_DEP_1) | instskip(NEXT) | instid1(VALU_DEP_1)
	v_lshl_or_b32 v0, v2, 21, v0
                                        ; implicit-def: $vgpr2
	v_add_nc_u32_e32 v0, 0x38000000, v0
.LBB6_8906:                             ;   in Loop: Header=BB6_8318 Depth=3
	s_and_not1_saveexec_b32 s73, s13
; %bb.8907:                             ;   in Loop: Header=BB6_8318 Depth=3
	v_cmp_lt_i16_e64 s13, -1, v42
	v_mov_b32_e32 v0, 0x7f800000
	v_cmp_eq_u32_e32 vcc_lo, 0, v2
	s_delay_alu instid0(VALU_DEP_2) | instskip(NEXT) | instid1(VALU_DEP_1)
	v_cndmask_b32_e64 v0, 0xff800000, v0, s13
	v_cndmask_b32_e32 v0, 0x7f800001, v0, vcc_lo
; %bb.8908:                             ;   in Loop: Header=BB6_8318 Depth=3
	s_or_b32 exec_lo, exec_lo, s73
.LBB6_8909:                             ;   in Loop: Header=BB6_8318 Depth=3
	s_delay_alu instid0(SALU_CYCLE_1)
	s_or_b32 exec_lo, exec_lo, s72
.LBB6_8910:                             ;   in Loop: Header=BB6_8318 Depth=3
	s_delay_alu instid0(SALU_CYCLE_1) | instskip(NEXT) | instid1(VALU_DEP_1)
	s_or_b32 exec_lo, exec_lo, s43
	v_mul_f32_e32 v2, v1, v0
	v_mov_b32_e32 v1, v21
                                        ; implicit-def: $vgpr27
	s_delay_alu instid0(VALU_DEP_2) | instskip(NEXT) | instid1(VALU_DEP_1)
	v_and_b32_e32 v0, 0x7f800000, v2
	v_cmp_ne_u64_e32 vcc_lo, 0x7f800000, v[0:1]
	v_and_b32_e32 v0, 0x7fffff, v2
	s_and_saveexec_b32 s13, vcc_lo
	s_delay_alu instid0(SALU_CYCLE_1)
	s_xor_b32 s43, exec_lo, s13
	s_cbranch_execz .LBB6_8928
; %bb.8911:                             ;   in Loop: Header=BB6_8318 Depth=3
	v_dual_mov_b32 v33, v21 :: v_dual_lshrrev_b32 v3, 24, v2
	v_and_b32_e32 v32, 0x7fffffff, v2
                                        ; implicit-def: $vgpr27
	s_mov_b32 s13, exec_lo
	s_delay_alu instid0(VALU_DEP_2) | instskip(NEXT) | instid1(VALU_DEP_2)
	v_and_b32_e32 v5, 0x80, v3
	v_cmpx_gt_u64_e32 0x47600001, v[32:33]
	s_xor_b32 s72, exec_lo, s13
	s_cbranch_execz .LBB6_8925
; %bb.8912:                             ;   in Loop: Header=BB6_8318 Depth=3
	v_mov_b32_e32 v27, 0
	s_mov_b32 s73, exec_lo
	v_cmpx_ne_u32_e32 0, v2
	s_cbranch_execz .LBB6_8924
; %bb.8913:                             ;   in Loop: Header=BB6_8318 Depth=3
	v_bfe_u32 v27, v2, 23, 8
	v_or_b32_e32 v3, 0x800000, v0
	s_delay_alu instid0(VALU_DEP_2) | instskip(SKIP_2) | instid1(VALU_DEP_2)
	v_cmp_gt_u32_e64 s13, 0x72, v27
	v_sub_nc_u32_e32 v2, 0x71, v27
	v_cmp_eq_u32_e32 vcc_lo, 0, v27
	v_dual_cndmask_b32 v2, 0, v2, s13 :: v_dual_cndmask_b32 v0, v3, v0, vcc_lo
	s_delay_alu instid0(VALU_DEP_1) | instskip(NEXT) | instid1(VALU_DEP_1)
	v_cndmask_b32_e64 v29, v2, 0x70, vcc_lo
	v_dual_add_nc_u32 v2, 21, v29 :: v_dual_add_nc_u32 v31, 20, v29
	s_delay_alu instid0(VALU_DEP_1) | instskip(NEXT) | instid1(VALU_DEP_2)
	v_lshlrev_b64_e64 v[2:3], v2, -1
	v_lshlrev_b64_e64 v[32:33], v31, 1
	s_delay_alu instid0(VALU_DEP_2) | instskip(SKIP_1) | instid1(VALU_DEP_4)
	v_bfi_b32 v2, v2, 0, v0
	v_lshrrev_b64 v[0:1], v29, v[0:1]
	v_bfi_b32 v3, v3, 0, 0
	s_delay_alu instid0(VALU_DEP_1) | instskip(NEXT) | instid1(VALU_DEP_3)
	v_cmp_eq_u64_e64 s13, v[2:3], v[32:33]
	v_mov_b64_e32 v[2:3], v[0:1]
	s_and_saveexec_b32 s74, s13
; %bb.8914:                             ;   in Loop: Header=BB6_8318 Depth=3
	v_bfe_u32 v2, v0, 21, 1
	v_mov_b32_e32 v3, v21
	s_delay_alu instid0(VALU_DEP_1) | instskip(NEXT) | instid1(VALU_DEP_1)
	v_add_nc_u64_e32 v[2:3], v[0:1], v[2:3]
	v_add_nc_u64_e32 v[2:3], -1, v[2:3]
; %bb.8915:                             ;   in Loop: Header=BB6_8318 Depth=3
	s_or_b32 exec_lo, exec_lo, s74
	v_add_nc_u32_e32 v1, 0xffffff81, v27
	v_lshrrev_b32_e32 v3, 23, v0
	s_mov_b32 s13, exec_lo
	s_delay_alu instid0(VALU_DEP_2) | instskip(NEXT) | instid1(VALU_DEP_1)
	v_cndmask_b32_e64 v1, v1, 0xffffff82, vcc_lo
	v_add3_u32 v27, v29, v1, v3
	v_and_b32_e32 v1, 0x1fffff, v2
                                        ; implicit-def: $vgpr2
	s_delay_alu instid0(VALU_DEP_1) | instskip(SKIP_1) | instid1(VALU_DEP_2)
	v_dual_add_nc_u32 v3, 14, v27 :: v_dual_add_nc_u32 v0, v1, v0
	v_mov_b32_e32 v1, v21
	v_cmpx_ne_u32_e32 0, v3
	s_xor_b32 s13, exec_lo, s13
; %bb.8916:                             ;   in Loop: Header=BB6_8318 Depth=3
	s_delay_alu instid0(VALU_DEP_2) | instskip(SKIP_1) | instid1(VALU_DEP_1)
	v_cmp_lt_u64_e32 vcc_lo, 0xffffff, v[0:1]
	v_add_nc_u32_e32 v2, 15, v27
	v_cndmask_b32_e32 v2, v3, v2, vcc_lo
	v_cndmask_b32_e64 v3, 0, 1, vcc_lo
	s_delay_alu instid0(VALU_DEP_1)
	v_lshrrev_b64 v[0:1], v3, v[0:1]
; %bb.8917:                             ;   in Loop: Header=BB6_8318 Depth=3
	s_and_not1_saveexec_b32 s13, s13
; %bb.8918:                             ;   in Loop: Header=BB6_8318 Depth=3
	s_delay_alu instid0(VALU_DEP_1)
	v_bfe_u32 v2, v0, 23, 1
; %bb.8919:                             ;   in Loop: Header=BB6_8318 Depth=3
	s_or_b32 exec_lo, exec_lo, s13
	s_delay_alu instid0(VALU_DEP_2) | instskip(NEXT) | instid1(VALU_DEP_2)
	v_lshrrev_b64 v[0:1], 21, v[0:1]
	v_cmp_gt_i32_e32 vcc_lo, 32, v2
	v_cmp_ne_u32_e64 s13, 0, v2
                                        ; implicit-def: $vgpr27
	s_delay_alu instid0(VALU_DEP_3) | instskip(NEXT) | instid1(VALU_DEP_1)
	v_dual_cndmask_b32 v1, 0, v1 :: v_dual_cndmask_b32 v0, 3, v0
	v_cmp_ne_u64_e32 vcc_lo, 0, v[0:1]
	s_or_b32 s13, s13, vcc_lo
	s_delay_alu instid0(SALU_CYCLE_1) | instskip(NEXT) | instid1(SALU_CYCLE_1)
	s_and_saveexec_b32 s74, s13
	s_xor_b32 s13, exec_lo, s74
; %bb.8920:                             ;   in Loop: Header=BB6_8318 Depth=3
	v_min_i32_e32 v1, 31, v2
	s_delay_alu instid0(VALU_DEP_1) | instskip(NEXT) | instid1(VALU_DEP_1)
	v_lshl_or_b32 v1, v1, 2, v5
                                        ; implicit-def: $vgpr5
	v_and_or_b32 v27, v0, 3, v1
; %bb.8921:                             ;   in Loop: Header=BB6_8318 Depth=3
	s_and_not1_saveexec_b32 s13, s13
; %bb.8922:                             ;   in Loop: Header=BB6_8318 Depth=3
	v_mov_b32_e32 v27, v5
; %bb.8923:                             ;   in Loop: Header=BB6_8318 Depth=3
	s_or_b32 exec_lo, exec_lo, s13
.LBB6_8924:                             ;   in Loop: Header=BB6_8318 Depth=3
	s_delay_alu instid0(SALU_CYCLE_1)
	s_or_b32 exec_lo, exec_lo, s73
                                        ; implicit-def: $vgpr5
.LBB6_8925:                             ;   in Loop: Header=BB6_8318 Depth=3
	s_and_not1_saveexec_b32 s13, s72
; %bb.8926:                             ;   in Loop: Header=BB6_8318 Depth=3
	v_or_b32_e32 v27, 0x7b, v5
; %bb.8927:                             ;   in Loop: Header=BB6_8318 Depth=3
	s_or_b32 exec_lo, exec_lo, s13
                                        ; implicit-def: $vgpr2
                                        ; implicit-def: $vgpr0_vgpr1
.LBB6_8928:                             ;   in Loop: Header=BB6_8318 Depth=3
	s_and_not1_saveexec_b32 s13, s43
	s_cbranch_execz .LBB6_8934
; %bb.8929:                             ;   in Loop: Header=BB6_8318 Depth=3
	s_mov_b32 s43, exec_lo
                                        ; implicit-def: $vgpr27
	v_cmpx_ne_u64_e32 0, v[0:1]
	s_xor_b32 s43, exec_lo, s43
; %bb.8930:                             ;   in Loop: Header=BB6_8318 Depth=3
	v_lshrrev_b32_e32 v0, 24, v2
                                        ; implicit-def: $vgpr2
	s_delay_alu instid0(VALU_DEP_1)
	v_or_b32_e32 v27, 0x7f, v0
; %bb.8931:                             ;   in Loop: Header=BB6_8318 Depth=3
	s_and_not1_saveexec_b32 s43, s43
; %bb.8932:                             ;   in Loop: Header=BB6_8318 Depth=3
	v_cmp_lt_i32_e32 vcc_lo, -1, v2
	v_cndmask_b32_e64 v27, -4, 0x7c, vcc_lo
; %bb.8933:                             ;   in Loop: Header=BB6_8318 Depth=3
	s_or_b32 exec_lo, exec_lo, s43
.LBB6_8934:                             ;   in Loop: Header=BB6_8318 Depth=3
	s_delay_alu instid0(SALU_CYCLE_1)
	s_or_b32 exec_lo, exec_lo, s13
	v_dual_mov_b32 v0, 0 :: v_dual_mov_b32 v1, 0
	s_mov_b32 s43, exec_lo
	v_cmpx_ne_u16_e32 0, v72
	s_cbranch_execz .LBB6_8944
; %bb.8935:                             ;   in Loop: Header=BB6_8318 Depth=3
	v_bfrev_b32_e32 v1, 1
	s_mov_b32 s72, exec_lo
	v_cmpx_ne_u16_e32 0xff80, v72
	s_cbranch_execz .LBB6_8943
; %bb.8936:                             ;   in Loop: Header=BB6_8318 Depth=3
	v_and_b32_e32 v1, 0x7c, v72
	v_and_b32_e32 v2, 3, v72
	s_delay_alu instid0(VALU_DEP_2) | instskip(SKIP_1) | instid1(SALU_CYCLE_1)
	v_cmp_ne_u32_e32 vcc_lo, 0x7c, v1
                                        ; implicit-def: $vgpr1
	s_and_saveexec_b32 s13, vcc_lo
	s_xor_b32 s13, exec_lo, s13
	s_cbranch_execz .LBB6_8940
; %bb.8937:                             ;   in Loop: Header=BB6_8318 Depth=3
	v_and_b32_e32 v1, 0xff, v72
	s_mov_b32 s73, exec_lo
	s_delay_alu instid0(VALU_DEP_1) | instskip(NEXT) | instid1(VALU_DEP_1)
	v_bfe_u32 v1, v1, 2, 5
	v_cmpx_eq_u32_e32 0, v1
	s_cbranch_execz .LBB6_8939
; %bb.8938:                             ;   in Loop: Header=BB6_8318 Depth=3
	v_clz_i32_u32_e32 v1, v2
	s_delay_alu instid0(VALU_DEP_1) | instskip(SKIP_1) | instid1(VALU_DEP_2)
	v_min_u32_e32 v1, 32, v1
	v_mov_b32_e32 v73, v21
	v_subrev_nc_u32_e32 v2, 29, v1
	v_sub_nc_u32_e32 v1, 30, v1
	s_delay_alu instid0(VALU_DEP_2) | instskip(NEXT) | instid1(VALU_DEP_1)
	v_lshlrev_b64_e32 v[2:3], v2, v[72:73]
	v_and_b32_e32 v2, 3, v2
.LBB6_8939:                             ;   in Loop: Header=BB6_8318 Depth=3
	s_or_b32 exec_lo, exec_lo, s73
	v_bfe_i32 v3, v72, 0, 16
                                        ; implicit-def: $vgpr72
	s_delay_alu instid0(VALU_DEP_1) | instskip(NEXT) | instid1(VALU_DEP_1)
	v_and_b32_e32 v3, 0x80000000, v3
	v_lshl_add_u32 v1, v1, 23, v3
	s_delay_alu instid0(VALU_DEP_1) | instskip(NEXT) | instid1(VALU_DEP_1)
	v_lshl_or_b32 v1, v2, 21, v1
                                        ; implicit-def: $vgpr2
	v_add_nc_u32_e32 v1, 0x38000000, v1
.LBB6_8940:                             ;   in Loop: Header=BB6_8318 Depth=3
	s_and_not1_saveexec_b32 s73, s13
; %bb.8941:                             ;   in Loop: Header=BB6_8318 Depth=3
	v_cmp_lt_i16_e64 s13, -1, v72
	v_mov_b32_e32 v1, 0x7f800000
	v_cmp_eq_u32_e32 vcc_lo, 0, v2
	s_delay_alu instid0(VALU_DEP_2) | instskip(NEXT) | instid1(VALU_DEP_1)
	v_cndmask_b32_e64 v1, 0xff800000, v1, s13
	v_cndmask_b32_e32 v1, 0x7f800001, v1, vcc_lo
; %bb.8942:                             ;   in Loop: Header=BB6_8318 Depth=3
	s_or_b32 exec_lo, exec_lo, s73
.LBB6_8943:                             ;   in Loop: Header=BB6_8318 Depth=3
	s_delay_alu instid0(SALU_CYCLE_1)
	s_or_b32 exec_lo, exec_lo, s72
.LBB6_8944:                             ;   in Loop: Header=BB6_8318 Depth=3
	s_delay_alu instid0(SALU_CYCLE_1) | instskip(NEXT) | instid1(SALU_CYCLE_1)
	s_or_b32 exec_lo, exec_lo, s43
	s_mov_b32 s43, exec_lo
	v_cmpx_ne_u16_e32 0, v56
	s_cbranch_execz .LBB6_8954
; %bb.8945:                             ;   in Loop: Header=BB6_8318 Depth=3
	v_bfrev_b32_e32 v0, 1
	s_mov_b32 s72, exec_lo
	v_cmpx_ne_u16_e32 0xff80, v56
	s_cbranch_execz .LBB6_8953
; %bb.8946:                             ;   in Loop: Header=BB6_8318 Depth=3
	v_and_b32_e32 v0, 0x7c, v56
	v_and_b32_e32 v2, 3, v56
	s_delay_alu instid0(VALU_DEP_2) | instskip(SKIP_1) | instid1(SALU_CYCLE_1)
	v_cmp_ne_u32_e32 vcc_lo, 0x7c, v0
                                        ; implicit-def: $vgpr0
	s_and_saveexec_b32 s13, vcc_lo
	s_xor_b32 s13, exec_lo, s13
	s_cbranch_execz .LBB6_8950
; %bb.8947:                             ;   in Loop: Header=BB6_8318 Depth=3
	v_and_b32_e32 v0, 0xff, v56
	s_mov_b32 s73, exec_lo
	s_delay_alu instid0(VALU_DEP_1) | instskip(NEXT) | instid1(VALU_DEP_1)
	v_bfe_u32 v0, v0, 2, 5
	v_cmpx_eq_u32_e32 0, v0
	s_cbranch_execz .LBB6_8949
; %bb.8948:                             ;   in Loop: Header=BB6_8318 Depth=3
	v_clz_i32_u32_e32 v0, v2
	s_delay_alu instid0(VALU_DEP_1) | instskip(SKIP_1) | instid1(VALU_DEP_2)
	v_min_u32_e32 v0, 32, v0
	v_mov_b32_e32 v57, v21
	v_subrev_nc_u32_e32 v2, 29, v0
	v_sub_nc_u32_e32 v0, 30, v0
	s_delay_alu instid0(VALU_DEP_2) | instskip(NEXT) | instid1(VALU_DEP_1)
	v_lshlrev_b64_e32 v[2:3], v2, v[56:57]
	v_and_b32_e32 v2, 3, v2
.LBB6_8949:                             ;   in Loop: Header=BB6_8318 Depth=3
	s_or_b32 exec_lo, exec_lo, s73
	v_bfe_i32 v3, v56, 0, 16
                                        ; implicit-def: $vgpr56
	s_delay_alu instid0(VALU_DEP_1) | instskip(NEXT) | instid1(VALU_DEP_1)
	v_and_b32_e32 v3, 0x80000000, v3
	v_lshl_add_u32 v0, v0, 23, v3
	s_delay_alu instid0(VALU_DEP_1) | instskip(NEXT) | instid1(VALU_DEP_1)
	v_lshl_or_b32 v0, v2, 21, v0
                                        ; implicit-def: $vgpr2
	v_add_nc_u32_e32 v0, 0x38000000, v0
.LBB6_8950:                             ;   in Loop: Header=BB6_8318 Depth=3
	s_and_not1_saveexec_b32 s73, s13
; %bb.8951:                             ;   in Loop: Header=BB6_8318 Depth=3
	v_cmp_lt_i16_e64 s13, -1, v56
	v_mov_b32_e32 v0, 0x7f800000
	v_cmp_eq_u32_e32 vcc_lo, 0, v2
	s_delay_alu instid0(VALU_DEP_2) | instskip(NEXT) | instid1(VALU_DEP_1)
	v_cndmask_b32_e64 v0, 0xff800000, v0, s13
	v_cndmask_b32_e32 v0, 0x7f800001, v0, vcc_lo
; %bb.8952:                             ;   in Loop: Header=BB6_8318 Depth=3
	s_or_b32 exec_lo, exec_lo, s73
.LBB6_8953:                             ;   in Loop: Header=BB6_8318 Depth=3
	s_delay_alu instid0(SALU_CYCLE_1)
	s_or_b32 exec_lo, exec_lo, s72
.LBB6_8954:                             ;   in Loop: Header=BB6_8318 Depth=3
	s_delay_alu instid0(SALU_CYCLE_1) | instskip(NEXT) | instid1(VALU_DEP_1)
	s_or_b32 exec_lo, exec_lo, s43
	v_mul_f32_e32 v2, v1, v0
	v_mov_b32_e32 v1, v21
                                        ; implicit-def: $vgpr64
	s_delay_alu instid0(VALU_DEP_2) | instskip(NEXT) | instid1(VALU_DEP_1)
	v_and_b32_e32 v0, 0x7f800000, v2
	v_cmp_ne_u64_e32 vcc_lo, 0x7f800000, v[0:1]
	v_and_b32_e32 v0, 0x7fffff, v2
	s_and_saveexec_b32 s13, vcc_lo
	s_delay_alu instid0(SALU_CYCLE_1)
	s_xor_b32 s43, exec_lo, s13
	s_cbranch_execz .LBB6_8972
; %bb.8955:                             ;   in Loop: Header=BB6_8318 Depth=3
	v_dual_mov_b32 v33, v21 :: v_dual_lshrrev_b32 v3, 24, v2
	v_and_b32_e32 v32, 0x7fffffff, v2
                                        ; implicit-def: $vgpr64
	s_mov_b32 s13, exec_lo
	s_delay_alu instid0(VALU_DEP_2) | instskip(NEXT) | instid1(VALU_DEP_2)
	v_and_b32_e32 v5, 0x80, v3
	v_cmpx_gt_u64_e32 0x47600001, v[32:33]
	s_xor_b32 s72, exec_lo, s13
	s_cbranch_execz .LBB6_8969
; %bb.8956:                             ;   in Loop: Header=BB6_8318 Depth=3
	v_mov_b32_e32 v64, 0
	s_mov_b32 s73, exec_lo
	v_cmpx_ne_u32_e32 0, v2
	s_cbranch_execz .LBB6_8968
; %bb.8957:                             ;   in Loop: Header=BB6_8318 Depth=3
	v_bfe_u32 v29, v2, 23, 8
	v_or_b32_e32 v3, 0x800000, v0
	s_delay_alu instid0(VALU_DEP_2) | instskip(SKIP_2) | instid1(VALU_DEP_2)
	v_cmp_gt_u32_e64 s13, 0x72, v29
	v_sub_nc_u32_e32 v2, 0x71, v29
	v_cmp_eq_u32_e32 vcc_lo, 0, v29
	v_dual_cndmask_b32 v2, 0, v2, s13 :: v_dual_cndmask_b32 v0, v3, v0, vcc_lo
	s_delay_alu instid0(VALU_DEP_1) | instskip(NEXT) | instid1(VALU_DEP_1)
	v_cndmask_b32_e64 v31, v2, 0x70, vcc_lo
	v_dual_add_nc_u32 v2, 21, v31 :: v_dual_add_nc_u32 v32, 20, v31
	s_delay_alu instid0(VALU_DEP_1) | instskip(NEXT) | instid1(VALU_DEP_2)
	v_lshlrev_b64_e64 v[2:3], v2, -1
	v_lshlrev_b64_e64 v[32:33], v32, 1
	s_delay_alu instid0(VALU_DEP_2) | instskip(SKIP_1) | instid1(VALU_DEP_4)
	v_bfi_b32 v2, v2, 0, v0
	v_lshrrev_b64 v[0:1], v31, v[0:1]
	v_bfi_b32 v3, v3, 0, 0
	s_delay_alu instid0(VALU_DEP_1) | instskip(NEXT) | instid1(VALU_DEP_3)
	v_cmp_eq_u64_e64 s13, v[2:3], v[32:33]
	v_mov_b64_e32 v[2:3], v[0:1]
	s_and_saveexec_b32 s74, s13
; %bb.8958:                             ;   in Loop: Header=BB6_8318 Depth=3
	v_bfe_u32 v2, v0, 21, 1
	v_mov_b32_e32 v3, v21
	s_delay_alu instid0(VALU_DEP_1) | instskip(NEXT) | instid1(VALU_DEP_1)
	v_add_nc_u64_e32 v[2:3], v[0:1], v[2:3]
	v_add_nc_u64_e32 v[2:3], -1, v[2:3]
; %bb.8959:                             ;   in Loop: Header=BB6_8318 Depth=3
	s_or_b32 exec_lo, exec_lo, s74
	v_add_nc_u32_e32 v1, 0xffffff81, v29
	v_lshrrev_b32_e32 v3, 23, v0
	s_mov_b32 s13, exec_lo
	s_delay_alu instid0(VALU_DEP_2) | instskip(NEXT) | instid1(VALU_DEP_1)
	v_cndmask_b32_e64 v1, v1, 0xffffff82, vcc_lo
	v_add3_u32 v29, v31, v1, v3
	v_and_b32_e32 v1, 0x1fffff, v2
                                        ; implicit-def: $vgpr2
	s_delay_alu instid0(VALU_DEP_1) | instskip(SKIP_1) | instid1(VALU_DEP_2)
	v_dual_add_nc_u32 v3, 14, v29 :: v_dual_add_nc_u32 v0, v1, v0
	v_mov_b32_e32 v1, v21
	v_cmpx_ne_u32_e32 0, v3
	s_xor_b32 s13, exec_lo, s13
; %bb.8960:                             ;   in Loop: Header=BB6_8318 Depth=3
	s_delay_alu instid0(VALU_DEP_2) | instskip(SKIP_1) | instid1(VALU_DEP_1)
	v_cmp_lt_u64_e32 vcc_lo, 0xffffff, v[0:1]
	v_add_nc_u32_e32 v2, 15, v29
	v_cndmask_b32_e32 v2, v3, v2, vcc_lo
	v_cndmask_b32_e64 v3, 0, 1, vcc_lo
	s_delay_alu instid0(VALU_DEP_1)
	v_lshrrev_b64 v[0:1], v3, v[0:1]
; %bb.8961:                             ;   in Loop: Header=BB6_8318 Depth=3
	s_and_not1_saveexec_b32 s13, s13
; %bb.8962:                             ;   in Loop: Header=BB6_8318 Depth=3
	s_delay_alu instid0(VALU_DEP_1)
	v_bfe_u32 v2, v0, 23, 1
; %bb.8963:                             ;   in Loop: Header=BB6_8318 Depth=3
	s_or_b32 exec_lo, exec_lo, s13
	s_delay_alu instid0(VALU_DEP_2) | instskip(NEXT) | instid1(VALU_DEP_2)
	v_lshrrev_b64 v[0:1], 21, v[0:1]
	v_cmp_gt_i32_e32 vcc_lo, 32, v2
	v_cmp_ne_u32_e64 s13, 0, v2
                                        ; implicit-def: $vgpr64
	s_delay_alu instid0(VALU_DEP_3) | instskip(NEXT) | instid1(VALU_DEP_1)
	v_dual_cndmask_b32 v1, 0, v1 :: v_dual_cndmask_b32 v0, 3, v0
	v_cmp_ne_u64_e32 vcc_lo, 0, v[0:1]
	s_or_b32 s13, s13, vcc_lo
	s_delay_alu instid0(SALU_CYCLE_1) | instskip(NEXT) | instid1(SALU_CYCLE_1)
	s_and_saveexec_b32 s74, s13
	s_xor_b32 s13, exec_lo, s74
; %bb.8964:                             ;   in Loop: Header=BB6_8318 Depth=3
	v_min_i32_e32 v1, 31, v2
	s_delay_alu instid0(VALU_DEP_1) | instskip(NEXT) | instid1(VALU_DEP_1)
	v_lshl_or_b32 v1, v1, 2, v5
                                        ; implicit-def: $vgpr5
	v_and_or_b32 v64, v0, 3, v1
; %bb.8965:                             ;   in Loop: Header=BB6_8318 Depth=3
	s_and_not1_saveexec_b32 s13, s13
; %bb.8966:                             ;   in Loop: Header=BB6_8318 Depth=3
	v_mov_b32_e32 v64, v5
; %bb.8967:                             ;   in Loop: Header=BB6_8318 Depth=3
	s_or_b32 exec_lo, exec_lo, s13
.LBB6_8968:                             ;   in Loop: Header=BB6_8318 Depth=3
	s_delay_alu instid0(SALU_CYCLE_1)
	s_or_b32 exec_lo, exec_lo, s73
                                        ; implicit-def: $vgpr5
.LBB6_8969:                             ;   in Loop: Header=BB6_8318 Depth=3
	s_and_not1_saveexec_b32 s13, s72
; %bb.8970:                             ;   in Loop: Header=BB6_8318 Depth=3
	v_or_b32_e32 v64, 0x7b, v5
; %bb.8971:                             ;   in Loop: Header=BB6_8318 Depth=3
	s_or_b32 exec_lo, exec_lo, s13
                                        ; implicit-def: $vgpr2
                                        ; implicit-def: $vgpr0_vgpr1
.LBB6_8972:                             ;   in Loop: Header=BB6_8318 Depth=3
	s_and_not1_saveexec_b32 s13, s43
	s_cbranch_execz .LBB6_8978
; %bb.8973:                             ;   in Loop: Header=BB6_8318 Depth=3
	s_mov_b32 s43, exec_lo
                                        ; implicit-def: $vgpr64
	v_cmpx_ne_u64_e32 0, v[0:1]
	s_xor_b32 s43, exec_lo, s43
; %bb.8974:                             ;   in Loop: Header=BB6_8318 Depth=3
	v_lshrrev_b32_e32 v0, 24, v2
                                        ; implicit-def: $vgpr2
	s_delay_alu instid0(VALU_DEP_1)
	v_or_b32_e32 v64, 0x7f, v0
; %bb.8975:                             ;   in Loop: Header=BB6_8318 Depth=3
	s_and_not1_saveexec_b32 s43, s43
; %bb.8976:                             ;   in Loop: Header=BB6_8318 Depth=3
	v_cmp_lt_i32_e32 vcc_lo, -1, v2
	v_cndmask_b32_e64 v64, -4, 0x7c, vcc_lo
; %bb.8977:                             ;   in Loop: Header=BB6_8318 Depth=3
	s_or_b32 exec_lo, exec_lo, s43
.LBB6_8978:                             ;   in Loop: Header=BB6_8318 Depth=3
	s_delay_alu instid0(SALU_CYCLE_1)
	s_or_b32 exec_lo, exec_lo, s13
	v_dual_mov_b32 v0, 0 :: v_dual_mov_b32 v1, 0
	s_mov_b32 s43, exec_lo
	v_cmpx_ne_u16_e32 0, v88
	s_cbranch_execz .LBB6_8988
; %bb.8979:                             ;   in Loop: Header=BB6_8318 Depth=3
	v_bfrev_b32_e32 v1, 1
	s_mov_b32 s72, exec_lo
	v_cmpx_ne_u16_e32 0xff80, v88
	s_cbranch_execz .LBB6_8987
; %bb.8980:                             ;   in Loop: Header=BB6_8318 Depth=3
	v_and_b32_e32 v1, 0x7c, v88
	v_and_b32_e32 v2, 3, v88
	s_delay_alu instid0(VALU_DEP_2) | instskip(SKIP_1) | instid1(SALU_CYCLE_1)
	v_cmp_ne_u32_e32 vcc_lo, 0x7c, v1
                                        ; implicit-def: $vgpr1
	s_and_saveexec_b32 s13, vcc_lo
	s_xor_b32 s13, exec_lo, s13
	s_cbranch_execz .LBB6_8984
; %bb.8981:                             ;   in Loop: Header=BB6_8318 Depth=3
	v_and_b32_e32 v1, 0xff, v88
	s_mov_b32 s73, exec_lo
	s_delay_alu instid0(VALU_DEP_1) | instskip(NEXT) | instid1(VALU_DEP_1)
	v_bfe_u32 v1, v1, 2, 5
	v_cmpx_eq_u32_e32 0, v1
	s_cbranch_execz .LBB6_8983
; %bb.8982:                             ;   in Loop: Header=BB6_8318 Depth=3
	v_clz_i32_u32_e32 v1, v2
	s_delay_alu instid0(VALU_DEP_1) | instskip(SKIP_1) | instid1(VALU_DEP_2)
	v_min_u32_e32 v1, 32, v1
	v_mov_b32_e32 v89, v21
	v_subrev_nc_u32_e32 v2, 29, v1
	v_sub_nc_u32_e32 v1, 30, v1
	s_delay_alu instid0(VALU_DEP_2) | instskip(NEXT) | instid1(VALU_DEP_1)
	v_lshlrev_b64_e32 v[2:3], v2, v[88:89]
	v_and_b32_e32 v2, 3, v2
.LBB6_8983:                             ;   in Loop: Header=BB6_8318 Depth=3
	s_or_b32 exec_lo, exec_lo, s73
	v_bfe_i32 v3, v88, 0, 16
                                        ; implicit-def: $vgpr88
	s_delay_alu instid0(VALU_DEP_1) | instskip(NEXT) | instid1(VALU_DEP_1)
	v_and_b32_e32 v3, 0x80000000, v3
	v_lshl_add_u32 v1, v1, 23, v3
	s_delay_alu instid0(VALU_DEP_1) | instskip(NEXT) | instid1(VALU_DEP_1)
	v_lshl_or_b32 v1, v2, 21, v1
                                        ; implicit-def: $vgpr2
	v_add_nc_u32_e32 v1, 0x38000000, v1
.LBB6_8984:                             ;   in Loop: Header=BB6_8318 Depth=3
	s_and_not1_saveexec_b32 s73, s13
; %bb.8985:                             ;   in Loop: Header=BB6_8318 Depth=3
	v_cmp_lt_i16_e64 s13, -1, v88
	v_mov_b32_e32 v1, 0x7f800000
	v_cmp_eq_u32_e32 vcc_lo, 0, v2
	s_delay_alu instid0(VALU_DEP_2) | instskip(NEXT) | instid1(VALU_DEP_1)
	v_cndmask_b32_e64 v1, 0xff800000, v1, s13
	v_cndmask_b32_e32 v1, 0x7f800001, v1, vcc_lo
; %bb.8986:                             ;   in Loop: Header=BB6_8318 Depth=3
	s_or_b32 exec_lo, exec_lo, s73
.LBB6_8987:                             ;   in Loop: Header=BB6_8318 Depth=3
	s_delay_alu instid0(SALU_CYCLE_1)
	s_or_b32 exec_lo, exec_lo, s72
.LBB6_8988:                             ;   in Loop: Header=BB6_8318 Depth=3
	s_delay_alu instid0(SALU_CYCLE_1) | instskip(NEXT) | instid1(SALU_CYCLE_1)
	s_or_b32 exec_lo, exec_lo, s43
	s_mov_b32 s43, exec_lo
	v_cmpx_ne_u16_e32 0, v58
	s_cbranch_execz .LBB6_8998
; %bb.8989:                             ;   in Loop: Header=BB6_8318 Depth=3
	v_bfrev_b32_e32 v0, 1
	s_mov_b32 s72, exec_lo
	v_cmpx_ne_u16_e32 0xff80, v58
	s_cbranch_execz .LBB6_8997
; %bb.8990:                             ;   in Loop: Header=BB6_8318 Depth=3
	v_and_b32_e32 v0, 0x7c, v58
	v_and_b32_e32 v2, 3, v58
	s_delay_alu instid0(VALU_DEP_2) | instskip(SKIP_1) | instid1(SALU_CYCLE_1)
	v_cmp_ne_u32_e32 vcc_lo, 0x7c, v0
                                        ; implicit-def: $vgpr0
	s_and_saveexec_b32 s13, vcc_lo
	s_xor_b32 s13, exec_lo, s13
	s_cbranch_execz .LBB6_8994
; %bb.8991:                             ;   in Loop: Header=BB6_8318 Depth=3
	v_and_b32_e32 v0, 0xff, v58
	s_mov_b32 s73, exec_lo
	s_delay_alu instid0(VALU_DEP_1) | instskip(NEXT) | instid1(VALU_DEP_1)
	v_bfe_u32 v0, v0, 2, 5
	v_cmpx_eq_u32_e32 0, v0
	s_cbranch_execz .LBB6_8993
; %bb.8992:                             ;   in Loop: Header=BB6_8318 Depth=3
	v_clz_i32_u32_e32 v0, v2
	s_delay_alu instid0(VALU_DEP_1) | instskip(SKIP_1) | instid1(VALU_DEP_2)
	v_min_u32_e32 v0, 32, v0
	v_mov_b32_e32 v59, v21
	v_subrev_nc_u32_e32 v2, 29, v0
	v_sub_nc_u32_e32 v0, 30, v0
	s_delay_alu instid0(VALU_DEP_2) | instskip(NEXT) | instid1(VALU_DEP_1)
	v_lshlrev_b64_e32 v[2:3], v2, v[58:59]
	v_and_b32_e32 v2, 3, v2
.LBB6_8993:                             ;   in Loop: Header=BB6_8318 Depth=3
	s_or_b32 exec_lo, exec_lo, s73
	v_bfe_i32 v3, v58, 0, 16
                                        ; implicit-def: $vgpr58
	s_delay_alu instid0(VALU_DEP_1) | instskip(NEXT) | instid1(VALU_DEP_1)
	v_and_b32_e32 v3, 0x80000000, v3
	v_lshl_add_u32 v0, v0, 23, v3
	s_delay_alu instid0(VALU_DEP_1) | instskip(NEXT) | instid1(VALU_DEP_1)
	v_lshl_or_b32 v0, v2, 21, v0
                                        ; implicit-def: $vgpr2
	v_add_nc_u32_e32 v0, 0x38000000, v0
.LBB6_8994:                             ;   in Loop: Header=BB6_8318 Depth=3
	s_and_not1_saveexec_b32 s73, s13
; %bb.8995:                             ;   in Loop: Header=BB6_8318 Depth=3
	v_cmp_lt_i16_e64 s13, -1, v58
	v_mov_b32_e32 v0, 0x7f800000
	v_cmp_eq_u32_e32 vcc_lo, 0, v2
	s_delay_alu instid0(VALU_DEP_2) | instskip(NEXT) | instid1(VALU_DEP_1)
	v_cndmask_b32_e64 v0, 0xff800000, v0, s13
	v_cndmask_b32_e32 v0, 0x7f800001, v0, vcc_lo
; %bb.8996:                             ;   in Loop: Header=BB6_8318 Depth=3
	s_or_b32 exec_lo, exec_lo, s73
.LBB6_8997:                             ;   in Loop: Header=BB6_8318 Depth=3
	s_delay_alu instid0(SALU_CYCLE_1)
	s_or_b32 exec_lo, exec_lo, s72
.LBB6_8998:                             ;   in Loop: Header=BB6_8318 Depth=3
	s_delay_alu instid0(SALU_CYCLE_1) | instskip(NEXT) | instid1(VALU_DEP_1)
	s_or_b32 exec_lo, exec_lo, s43
	v_mul_f32_e32 v2, v1, v0
	v_mov_b32_e32 v1, v21
                                        ; implicit-def: $vgpr65
	s_delay_alu instid0(VALU_DEP_2) | instskip(NEXT) | instid1(VALU_DEP_1)
	v_and_b32_e32 v0, 0x7f800000, v2
	v_cmp_ne_u64_e32 vcc_lo, 0x7f800000, v[0:1]
	v_and_b32_e32 v0, 0x7fffff, v2
	s_and_saveexec_b32 s13, vcc_lo
	s_delay_alu instid0(SALU_CYCLE_1)
	s_xor_b32 s43, exec_lo, s13
	s_cbranch_execz .LBB6_9016
; %bb.8999:                             ;   in Loop: Header=BB6_8318 Depth=3
	v_dual_mov_b32 v33, v21 :: v_dual_lshrrev_b32 v3, 24, v2
	v_and_b32_e32 v32, 0x7fffffff, v2
                                        ; implicit-def: $vgpr65
	s_mov_b32 s13, exec_lo
	s_delay_alu instid0(VALU_DEP_2) | instskip(NEXT) | instid1(VALU_DEP_2)
	v_and_b32_e32 v5, 0x80, v3
	v_cmpx_gt_u64_e32 0x47600001, v[32:33]
	s_xor_b32 s72, exec_lo, s13
	s_cbranch_execz .LBB6_9013
; %bb.9000:                             ;   in Loop: Header=BB6_8318 Depth=3
	v_mov_b32_e32 v65, 0
	s_mov_b32 s73, exec_lo
	v_cmpx_ne_u32_e32 0, v2
	s_cbranch_execz .LBB6_9012
; %bb.9001:                             ;   in Loop: Header=BB6_8318 Depth=3
	v_bfe_u32 v29, v2, 23, 8
	v_or_b32_e32 v3, 0x800000, v0
	s_delay_alu instid0(VALU_DEP_2) | instskip(SKIP_2) | instid1(VALU_DEP_2)
	v_cmp_gt_u32_e64 s13, 0x72, v29
	v_sub_nc_u32_e32 v2, 0x71, v29
	v_cmp_eq_u32_e32 vcc_lo, 0, v29
	v_dual_cndmask_b32 v2, 0, v2, s13 :: v_dual_cndmask_b32 v0, v3, v0, vcc_lo
	s_delay_alu instid0(VALU_DEP_1) | instskip(NEXT) | instid1(VALU_DEP_1)
	v_cndmask_b32_e64 v31, v2, 0x70, vcc_lo
	v_dual_add_nc_u32 v2, 21, v31 :: v_dual_add_nc_u32 v32, 20, v31
	s_delay_alu instid0(VALU_DEP_1) | instskip(NEXT) | instid1(VALU_DEP_2)
	v_lshlrev_b64_e64 v[2:3], v2, -1
	v_lshlrev_b64_e64 v[32:33], v32, 1
	s_delay_alu instid0(VALU_DEP_2) | instskip(SKIP_1) | instid1(VALU_DEP_4)
	v_bfi_b32 v2, v2, 0, v0
	v_lshrrev_b64 v[0:1], v31, v[0:1]
	v_bfi_b32 v3, v3, 0, 0
	s_delay_alu instid0(VALU_DEP_1) | instskip(NEXT) | instid1(VALU_DEP_3)
	v_cmp_eq_u64_e64 s13, v[2:3], v[32:33]
	v_mov_b64_e32 v[2:3], v[0:1]
	s_and_saveexec_b32 s74, s13
; %bb.9002:                             ;   in Loop: Header=BB6_8318 Depth=3
	v_bfe_u32 v2, v0, 21, 1
	v_mov_b32_e32 v3, v21
	s_delay_alu instid0(VALU_DEP_1) | instskip(NEXT) | instid1(VALU_DEP_1)
	v_add_nc_u64_e32 v[2:3], v[0:1], v[2:3]
	v_add_nc_u64_e32 v[2:3], -1, v[2:3]
; %bb.9003:                             ;   in Loop: Header=BB6_8318 Depth=3
	s_or_b32 exec_lo, exec_lo, s74
	v_add_nc_u32_e32 v1, 0xffffff81, v29
	v_lshrrev_b32_e32 v3, 23, v0
	s_mov_b32 s13, exec_lo
	s_delay_alu instid0(VALU_DEP_2) | instskip(NEXT) | instid1(VALU_DEP_1)
	v_cndmask_b32_e64 v1, v1, 0xffffff82, vcc_lo
	v_add3_u32 v29, v31, v1, v3
	v_and_b32_e32 v1, 0x1fffff, v2
                                        ; implicit-def: $vgpr2
	s_delay_alu instid0(VALU_DEP_1) | instskip(SKIP_1) | instid1(VALU_DEP_2)
	v_dual_add_nc_u32 v3, 14, v29 :: v_dual_add_nc_u32 v0, v1, v0
	v_mov_b32_e32 v1, v21
	v_cmpx_ne_u32_e32 0, v3
	s_xor_b32 s13, exec_lo, s13
; %bb.9004:                             ;   in Loop: Header=BB6_8318 Depth=3
	s_delay_alu instid0(VALU_DEP_2) | instskip(SKIP_1) | instid1(VALU_DEP_1)
	v_cmp_lt_u64_e32 vcc_lo, 0xffffff, v[0:1]
	v_add_nc_u32_e32 v2, 15, v29
	v_cndmask_b32_e32 v2, v3, v2, vcc_lo
	v_cndmask_b32_e64 v3, 0, 1, vcc_lo
	s_delay_alu instid0(VALU_DEP_1)
	v_lshrrev_b64 v[0:1], v3, v[0:1]
; %bb.9005:                             ;   in Loop: Header=BB6_8318 Depth=3
	s_and_not1_saveexec_b32 s13, s13
; %bb.9006:                             ;   in Loop: Header=BB6_8318 Depth=3
	s_delay_alu instid0(VALU_DEP_1)
	v_bfe_u32 v2, v0, 23, 1
; %bb.9007:                             ;   in Loop: Header=BB6_8318 Depth=3
	s_or_b32 exec_lo, exec_lo, s13
	s_delay_alu instid0(VALU_DEP_2) | instskip(NEXT) | instid1(VALU_DEP_2)
	v_lshrrev_b64 v[0:1], 21, v[0:1]
	v_cmp_gt_i32_e32 vcc_lo, 32, v2
	v_cmp_ne_u32_e64 s13, 0, v2
                                        ; implicit-def: $vgpr65
	s_delay_alu instid0(VALU_DEP_3) | instskip(NEXT) | instid1(VALU_DEP_1)
	v_dual_cndmask_b32 v1, 0, v1 :: v_dual_cndmask_b32 v0, 3, v0
	v_cmp_ne_u64_e32 vcc_lo, 0, v[0:1]
	s_or_b32 s13, s13, vcc_lo
	s_delay_alu instid0(SALU_CYCLE_1) | instskip(NEXT) | instid1(SALU_CYCLE_1)
	s_and_saveexec_b32 s74, s13
	s_xor_b32 s13, exec_lo, s74
; %bb.9008:                             ;   in Loop: Header=BB6_8318 Depth=3
	v_min_i32_e32 v1, 31, v2
	s_delay_alu instid0(VALU_DEP_1) | instskip(NEXT) | instid1(VALU_DEP_1)
	v_lshl_or_b32 v1, v1, 2, v5
                                        ; implicit-def: $vgpr5
	v_and_or_b32 v65, v0, 3, v1
; %bb.9009:                             ;   in Loop: Header=BB6_8318 Depth=3
	s_and_not1_saveexec_b32 s13, s13
; %bb.9010:                             ;   in Loop: Header=BB6_8318 Depth=3
	v_mov_b32_e32 v65, v5
; %bb.9011:                             ;   in Loop: Header=BB6_8318 Depth=3
	s_or_b32 exec_lo, exec_lo, s13
.LBB6_9012:                             ;   in Loop: Header=BB6_8318 Depth=3
	s_delay_alu instid0(SALU_CYCLE_1)
	s_or_b32 exec_lo, exec_lo, s73
                                        ; implicit-def: $vgpr5
.LBB6_9013:                             ;   in Loop: Header=BB6_8318 Depth=3
	s_and_not1_saveexec_b32 s13, s72
; %bb.9014:                             ;   in Loop: Header=BB6_8318 Depth=3
	v_or_b32_e32 v65, 0x7b, v5
; %bb.9015:                             ;   in Loop: Header=BB6_8318 Depth=3
	s_or_b32 exec_lo, exec_lo, s13
                                        ; implicit-def: $vgpr2
                                        ; implicit-def: $vgpr0_vgpr1
.LBB6_9016:                             ;   in Loop: Header=BB6_8318 Depth=3
	s_and_not1_saveexec_b32 s13, s43
	s_cbranch_execz .LBB6_9022
; %bb.9017:                             ;   in Loop: Header=BB6_8318 Depth=3
	s_mov_b32 s43, exec_lo
                                        ; implicit-def: $vgpr65
	v_cmpx_ne_u64_e32 0, v[0:1]
	s_xor_b32 s43, exec_lo, s43
; %bb.9018:                             ;   in Loop: Header=BB6_8318 Depth=3
	v_lshrrev_b32_e32 v0, 24, v2
                                        ; implicit-def: $vgpr2
	s_delay_alu instid0(VALU_DEP_1)
	v_or_b32_e32 v65, 0x7f, v0
; %bb.9019:                             ;   in Loop: Header=BB6_8318 Depth=3
	s_and_not1_saveexec_b32 s43, s43
; %bb.9020:                             ;   in Loop: Header=BB6_8318 Depth=3
	v_cmp_lt_i32_e32 vcc_lo, -1, v2
	v_cndmask_b32_e64 v65, -4, 0x7c, vcc_lo
; %bb.9021:                             ;   in Loop: Header=BB6_8318 Depth=3
	s_or_b32 exec_lo, exec_lo, s43
.LBB6_9022:                             ;   in Loop: Header=BB6_8318 Depth=3
	s_delay_alu instid0(SALU_CYCLE_1)
	s_or_b32 exec_lo, exec_lo, s13
	v_dual_mov_b32 v0, 0 :: v_dual_mov_b32 v1, 0
	s_mov_b32 s43, exec_lo
	v_cmpx_ne_u16_e32 0, v96
	s_cbranch_execz .LBB6_9032
; %bb.9023:                             ;   in Loop: Header=BB6_8318 Depth=3
	v_bfrev_b32_e32 v1, 1
	s_mov_b32 s72, exec_lo
	v_cmpx_ne_u16_e32 0xff80, v96
	s_cbranch_execz .LBB6_9031
; %bb.9024:                             ;   in Loop: Header=BB6_8318 Depth=3
	v_and_b32_e32 v1, 0x7c, v96
	v_and_b32_e32 v2, 3, v96
	s_delay_alu instid0(VALU_DEP_2) | instskip(SKIP_1) | instid1(SALU_CYCLE_1)
	v_cmp_ne_u32_e32 vcc_lo, 0x7c, v1
                                        ; implicit-def: $vgpr1
	s_and_saveexec_b32 s13, vcc_lo
	s_xor_b32 s13, exec_lo, s13
	s_cbranch_execz .LBB6_9028
; %bb.9025:                             ;   in Loop: Header=BB6_8318 Depth=3
	v_and_b32_e32 v1, 0xff, v96
	s_mov_b32 s73, exec_lo
	s_delay_alu instid0(VALU_DEP_1) | instskip(NEXT) | instid1(VALU_DEP_1)
	v_bfe_u32 v1, v1, 2, 5
	v_cmpx_eq_u32_e32 0, v1
	s_cbranch_execz .LBB6_9027
; %bb.9026:                             ;   in Loop: Header=BB6_8318 Depth=3
	v_clz_i32_u32_e32 v1, v2
	s_delay_alu instid0(VALU_DEP_1) | instskip(SKIP_1) | instid1(VALU_DEP_2)
	v_min_u32_e32 v1, 32, v1
	v_mov_b32_e32 v97, v21
	v_subrev_nc_u32_e32 v2, 29, v1
	v_sub_nc_u32_e32 v1, 30, v1
	s_delay_alu instid0(VALU_DEP_2) | instskip(NEXT) | instid1(VALU_DEP_1)
	v_lshlrev_b64_e32 v[2:3], v2, v[96:97]
	v_and_b32_e32 v2, 3, v2
.LBB6_9027:                             ;   in Loop: Header=BB6_8318 Depth=3
	s_or_b32 exec_lo, exec_lo, s73
	v_bfe_i32 v3, v96, 0, 16
                                        ; implicit-def: $vgpr96
	s_delay_alu instid0(VALU_DEP_1) | instskip(NEXT) | instid1(VALU_DEP_1)
	v_and_b32_e32 v3, 0x80000000, v3
	v_lshl_add_u32 v1, v1, 23, v3
	s_delay_alu instid0(VALU_DEP_1) | instskip(NEXT) | instid1(VALU_DEP_1)
	v_lshl_or_b32 v1, v2, 21, v1
                                        ; implicit-def: $vgpr2
	v_add_nc_u32_e32 v1, 0x38000000, v1
.LBB6_9028:                             ;   in Loop: Header=BB6_8318 Depth=3
	s_and_not1_saveexec_b32 s73, s13
; %bb.9029:                             ;   in Loop: Header=BB6_8318 Depth=3
	v_cmp_lt_i16_e64 s13, -1, v96
	v_mov_b32_e32 v1, 0x7f800000
	v_cmp_eq_u32_e32 vcc_lo, 0, v2
	s_delay_alu instid0(VALU_DEP_2) | instskip(NEXT) | instid1(VALU_DEP_1)
	v_cndmask_b32_e64 v1, 0xff800000, v1, s13
	v_cndmask_b32_e32 v1, 0x7f800001, v1, vcc_lo
; %bb.9030:                             ;   in Loop: Header=BB6_8318 Depth=3
	s_or_b32 exec_lo, exec_lo, s73
.LBB6_9031:                             ;   in Loop: Header=BB6_8318 Depth=3
	s_delay_alu instid0(SALU_CYCLE_1)
	s_or_b32 exec_lo, exec_lo, s72
.LBB6_9032:                             ;   in Loop: Header=BB6_8318 Depth=3
	s_delay_alu instid0(SALU_CYCLE_1) | instskip(NEXT) | instid1(SALU_CYCLE_1)
	s_or_b32 exec_lo, exec_lo, s43
	s_mov_b32 s43, exec_lo
	v_cmpx_ne_u16_e32 0, v90
	s_cbranch_execz .LBB6_9042
; %bb.9033:                             ;   in Loop: Header=BB6_8318 Depth=3
	v_bfrev_b32_e32 v0, 1
	s_mov_b32 s72, exec_lo
	v_cmpx_ne_u16_e32 0xff80, v90
	s_cbranch_execz .LBB6_9041
; %bb.9034:                             ;   in Loop: Header=BB6_8318 Depth=3
	v_and_b32_e32 v0, 0x7c, v90
	v_and_b32_e32 v2, 3, v90
	s_delay_alu instid0(VALU_DEP_2) | instskip(SKIP_1) | instid1(SALU_CYCLE_1)
	v_cmp_ne_u32_e32 vcc_lo, 0x7c, v0
                                        ; implicit-def: $vgpr0
	s_and_saveexec_b32 s13, vcc_lo
	s_xor_b32 s13, exec_lo, s13
	s_cbranch_execz .LBB6_9038
; %bb.9035:                             ;   in Loop: Header=BB6_8318 Depth=3
	v_and_b32_e32 v0, 0xff, v90
	s_mov_b32 s73, exec_lo
	s_delay_alu instid0(VALU_DEP_1) | instskip(NEXT) | instid1(VALU_DEP_1)
	v_bfe_u32 v0, v0, 2, 5
	v_cmpx_eq_u32_e32 0, v0
	s_cbranch_execz .LBB6_9037
; %bb.9036:                             ;   in Loop: Header=BB6_8318 Depth=3
	v_clz_i32_u32_e32 v0, v2
	s_delay_alu instid0(VALU_DEP_1) | instskip(SKIP_1) | instid1(VALU_DEP_2)
	v_min_u32_e32 v0, 32, v0
	v_mov_b32_e32 v91, v21
	v_subrev_nc_u32_e32 v2, 29, v0
	v_sub_nc_u32_e32 v0, 30, v0
	s_delay_alu instid0(VALU_DEP_2) | instskip(NEXT) | instid1(VALU_DEP_1)
	v_lshlrev_b64_e32 v[2:3], v2, v[90:91]
	v_and_b32_e32 v2, 3, v2
.LBB6_9037:                             ;   in Loop: Header=BB6_8318 Depth=3
	s_or_b32 exec_lo, exec_lo, s73
	v_bfe_i32 v3, v90, 0, 16
                                        ; implicit-def: $vgpr90
	s_delay_alu instid0(VALU_DEP_1) | instskip(NEXT) | instid1(VALU_DEP_1)
	v_and_b32_e32 v3, 0x80000000, v3
	v_lshl_add_u32 v0, v0, 23, v3
	s_delay_alu instid0(VALU_DEP_1) | instskip(NEXT) | instid1(VALU_DEP_1)
	v_lshl_or_b32 v0, v2, 21, v0
                                        ; implicit-def: $vgpr2
	v_add_nc_u32_e32 v0, 0x38000000, v0
.LBB6_9038:                             ;   in Loop: Header=BB6_8318 Depth=3
	s_and_not1_saveexec_b32 s73, s13
; %bb.9039:                             ;   in Loop: Header=BB6_8318 Depth=3
	v_cmp_lt_i16_e64 s13, -1, v90
	v_mov_b32_e32 v0, 0x7f800000
	v_cmp_eq_u32_e32 vcc_lo, 0, v2
	s_delay_alu instid0(VALU_DEP_2) | instskip(NEXT) | instid1(VALU_DEP_1)
	v_cndmask_b32_e64 v0, 0xff800000, v0, s13
	v_cndmask_b32_e32 v0, 0x7f800001, v0, vcc_lo
; %bb.9040:                             ;   in Loop: Header=BB6_8318 Depth=3
	s_or_b32 exec_lo, exec_lo, s73
.LBB6_9041:                             ;   in Loop: Header=BB6_8318 Depth=3
	s_delay_alu instid0(SALU_CYCLE_1)
	s_or_b32 exec_lo, exec_lo, s72
.LBB6_9042:                             ;   in Loop: Header=BB6_8318 Depth=3
	s_delay_alu instid0(SALU_CYCLE_1) | instskip(NEXT) | instid1(VALU_DEP_1)
	s_or_b32 exec_lo, exec_lo, s43
	v_mul_f32_e32 v2, v1, v0
	v_mov_b32_e32 v1, v21
                                        ; implicit-def: $vgpr66
	s_delay_alu instid0(VALU_DEP_2) | instskip(NEXT) | instid1(VALU_DEP_1)
	v_and_b32_e32 v0, 0x7f800000, v2
	v_cmp_ne_u64_e32 vcc_lo, 0x7f800000, v[0:1]
	v_and_b32_e32 v0, 0x7fffff, v2
	s_and_saveexec_b32 s13, vcc_lo
	s_delay_alu instid0(SALU_CYCLE_1)
	s_xor_b32 s43, exec_lo, s13
	s_cbranch_execz .LBB6_9060
; %bb.9043:                             ;   in Loop: Header=BB6_8318 Depth=3
	v_dual_mov_b32 v33, v21 :: v_dual_lshrrev_b32 v3, 24, v2
	v_and_b32_e32 v32, 0x7fffffff, v2
                                        ; implicit-def: $vgpr66
	s_mov_b32 s13, exec_lo
	s_delay_alu instid0(VALU_DEP_2) | instskip(NEXT) | instid1(VALU_DEP_2)
	v_and_b32_e32 v5, 0x80, v3
	v_cmpx_gt_u64_e32 0x47600001, v[32:33]
	s_xor_b32 s72, exec_lo, s13
	s_cbranch_execz .LBB6_9057
; %bb.9044:                             ;   in Loop: Header=BB6_8318 Depth=3
	v_mov_b32_e32 v66, 0
	s_mov_b32 s73, exec_lo
	v_cmpx_ne_u32_e32 0, v2
	s_cbranch_execz .LBB6_9056
; %bb.9045:                             ;   in Loop: Header=BB6_8318 Depth=3
	v_bfe_u32 v29, v2, 23, 8
	v_or_b32_e32 v3, 0x800000, v0
	s_delay_alu instid0(VALU_DEP_2) | instskip(SKIP_2) | instid1(VALU_DEP_2)
	v_cmp_gt_u32_e64 s13, 0x72, v29
	v_sub_nc_u32_e32 v2, 0x71, v29
	v_cmp_eq_u32_e32 vcc_lo, 0, v29
	v_dual_cndmask_b32 v2, 0, v2, s13 :: v_dual_cndmask_b32 v0, v3, v0, vcc_lo
	s_delay_alu instid0(VALU_DEP_1) | instskip(NEXT) | instid1(VALU_DEP_1)
	v_cndmask_b32_e64 v31, v2, 0x70, vcc_lo
	v_dual_add_nc_u32 v2, 21, v31 :: v_dual_add_nc_u32 v32, 20, v31
	s_delay_alu instid0(VALU_DEP_1) | instskip(NEXT) | instid1(VALU_DEP_2)
	v_lshlrev_b64_e64 v[2:3], v2, -1
	v_lshlrev_b64_e64 v[32:33], v32, 1
	s_delay_alu instid0(VALU_DEP_2) | instskip(SKIP_1) | instid1(VALU_DEP_4)
	v_bfi_b32 v2, v2, 0, v0
	v_lshrrev_b64 v[0:1], v31, v[0:1]
	v_bfi_b32 v3, v3, 0, 0
	s_delay_alu instid0(VALU_DEP_1) | instskip(NEXT) | instid1(VALU_DEP_3)
	v_cmp_eq_u64_e64 s13, v[2:3], v[32:33]
	v_mov_b64_e32 v[2:3], v[0:1]
	s_and_saveexec_b32 s74, s13
; %bb.9046:                             ;   in Loop: Header=BB6_8318 Depth=3
	v_bfe_u32 v2, v0, 21, 1
	v_mov_b32_e32 v3, v21
	s_delay_alu instid0(VALU_DEP_1) | instskip(NEXT) | instid1(VALU_DEP_1)
	v_add_nc_u64_e32 v[2:3], v[0:1], v[2:3]
	v_add_nc_u64_e32 v[2:3], -1, v[2:3]
; %bb.9047:                             ;   in Loop: Header=BB6_8318 Depth=3
	s_or_b32 exec_lo, exec_lo, s74
	v_add_nc_u32_e32 v1, 0xffffff81, v29
	v_lshrrev_b32_e32 v3, 23, v0
	s_mov_b32 s13, exec_lo
	s_delay_alu instid0(VALU_DEP_2) | instskip(NEXT) | instid1(VALU_DEP_1)
	v_cndmask_b32_e64 v1, v1, 0xffffff82, vcc_lo
	v_add3_u32 v29, v31, v1, v3
	v_and_b32_e32 v1, 0x1fffff, v2
                                        ; implicit-def: $vgpr2
	s_delay_alu instid0(VALU_DEP_1) | instskip(SKIP_1) | instid1(VALU_DEP_2)
	v_dual_add_nc_u32 v3, 14, v29 :: v_dual_add_nc_u32 v0, v1, v0
	v_mov_b32_e32 v1, v21
	v_cmpx_ne_u32_e32 0, v3
	s_xor_b32 s13, exec_lo, s13
; %bb.9048:                             ;   in Loop: Header=BB6_8318 Depth=3
	s_delay_alu instid0(VALU_DEP_2) | instskip(SKIP_1) | instid1(VALU_DEP_1)
	v_cmp_lt_u64_e32 vcc_lo, 0xffffff, v[0:1]
	v_add_nc_u32_e32 v2, 15, v29
	v_cndmask_b32_e32 v2, v3, v2, vcc_lo
	v_cndmask_b32_e64 v3, 0, 1, vcc_lo
	s_delay_alu instid0(VALU_DEP_1)
	v_lshrrev_b64 v[0:1], v3, v[0:1]
; %bb.9049:                             ;   in Loop: Header=BB6_8318 Depth=3
	s_and_not1_saveexec_b32 s13, s13
; %bb.9050:                             ;   in Loop: Header=BB6_8318 Depth=3
	s_delay_alu instid0(VALU_DEP_1)
	v_bfe_u32 v2, v0, 23, 1
; %bb.9051:                             ;   in Loop: Header=BB6_8318 Depth=3
	s_or_b32 exec_lo, exec_lo, s13
	s_delay_alu instid0(VALU_DEP_2) | instskip(NEXT) | instid1(VALU_DEP_2)
	v_lshrrev_b64 v[0:1], 21, v[0:1]
	v_cmp_gt_i32_e32 vcc_lo, 32, v2
	v_cmp_ne_u32_e64 s13, 0, v2
                                        ; implicit-def: $vgpr66
	s_delay_alu instid0(VALU_DEP_3) | instskip(NEXT) | instid1(VALU_DEP_1)
	v_dual_cndmask_b32 v1, 0, v1 :: v_dual_cndmask_b32 v0, 3, v0
	v_cmp_ne_u64_e32 vcc_lo, 0, v[0:1]
	s_or_b32 s13, s13, vcc_lo
	s_delay_alu instid0(SALU_CYCLE_1) | instskip(NEXT) | instid1(SALU_CYCLE_1)
	s_and_saveexec_b32 s74, s13
	s_xor_b32 s13, exec_lo, s74
; %bb.9052:                             ;   in Loop: Header=BB6_8318 Depth=3
	v_min_i32_e32 v1, 31, v2
	s_delay_alu instid0(VALU_DEP_1) | instskip(NEXT) | instid1(VALU_DEP_1)
	v_lshl_or_b32 v1, v1, 2, v5
                                        ; implicit-def: $vgpr5
	v_and_or_b32 v66, v0, 3, v1
; %bb.9053:                             ;   in Loop: Header=BB6_8318 Depth=3
	s_and_not1_saveexec_b32 s13, s13
; %bb.9054:                             ;   in Loop: Header=BB6_8318 Depth=3
	v_mov_b32_e32 v66, v5
; %bb.9055:                             ;   in Loop: Header=BB6_8318 Depth=3
	s_or_b32 exec_lo, exec_lo, s13
.LBB6_9056:                             ;   in Loop: Header=BB6_8318 Depth=3
	s_delay_alu instid0(SALU_CYCLE_1)
	s_or_b32 exec_lo, exec_lo, s73
                                        ; implicit-def: $vgpr5
.LBB6_9057:                             ;   in Loop: Header=BB6_8318 Depth=3
	s_and_not1_saveexec_b32 s13, s72
; %bb.9058:                             ;   in Loop: Header=BB6_8318 Depth=3
	v_or_b32_e32 v66, 0x7b, v5
; %bb.9059:                             ;   in Loop: Header=BB6_8318 Depth=3
	s_or_b32 exec_lo, exec_lo, s13
                                        ; implicit-def: $vgpr2
                                        ; implicit-def: $vgpr0_vgpr1
.LBB6_9060:                             ;   in Loop: Header=BB6_8318 Depth=3
	s_and_not1_saveexec_b32 s13, s43
	s_cbranch_execz .LBB6_9066
; %bb.9061:                             ;   in Loop: Header=BB6_8318 Depth=3
	s_mov_b32 s43, exec_lo
                                        ; implicit-def: $vgpr66
	v_cmpx_ne_u64_e32 0, v[0:1]
	s_xor_b32 s43, exec_lo, s43
; %bb.9062:                             ;   in Loop: Header=BB6_8318 Depth=3
	v_lshrrev_b32_e32 v0, 24, v2
                                        ; implicit-def: $vgpr2
	s_delay_alu instid0(VALU_DEP_1)
	v_or_b32_e32 v66, 0x7f, v0
; %bb.9063:                             ;   in Loop: Header=BB6_8318 Depth=3
	s_and_not1_saveexec_b32 s43, s43
; %bb.9064:                             ;   in Loop: Header=BB6_8318 Depth=3
	v_cmp_lt_i32_e32 vcc_lo, -1, v2
	v_cndmask_b32_e64 v66, -4, 0x7c, vcc_lo
; %bb.9065:                             ;   in Loop: Header=BB6_8318 Depth=3
	s_or_b32 exec_lo, exec_lo, s43
.LBB6_9066:                             ;   in Loop: Header=BB6_8318 Depth=3
	s_delay_alu instid0(SALU_CYCLE_1)
	s_or_b32 exec_lo, exec_lo, s13
	v_dual_mov_b32 v0, 0 :: v_dual_mov_b32 v1, 0
	s_mov_b32 s43, exec_lo
	v_cmpx_ne_u16_e32 0, v78
	s_cbranch_execz .LBB6_9076
; %bb.9067:                             ;   in Loop: Header=BB6_8318 Depth=3
	v_bfrev_b32_e32 v1, 1
	s_mov_b32 s72, exec_lo
	v_cmpx_ne_u16_e32 0xff80, v78
	s_cbranch_execz .LBB6_9075
; %bb.9068:                             ;   in Loop: Header=BB6_8318 Depth=3
	v_and_b32_e32 v1, 0x7c, v78
	v_and_b32_e32 v2, 3, v78
	s_delay_alu instid0(VALU_DEP_2) | instskip(SKIP_1) | instid1(SALU_CYCLE_1)
	v_cmp_ne_u32_e32 vcc_lo, 0x7c, v1
                                        ; implicit-def: $vgpr1
	s_and_saveexec_b32 s13, vcc_lo
	s_xor_b32 s13, exec_lo, s13
	s_cbranch_execz .LBB6_9072
; %bb.9069:                             ;   in Loop: Header=BB6_8318 Depth=3
	v_and_b32_e32 v1, 0xff, v78
	s_mov_b32 s73, exec_lo
	s_delay_alu instid0(VALU_DEP_1) | instskip(NEXT) | instid1(VALU_DEP_1)
	v_bfe_u32 v1, v1, 2, 5
	v_cmpx_eq_u32_e32 0, v1
	s_cbranch_execz .LBB6_9071
; %bb.9070:                             ;   in Loop: Header=BB6_8318 Depth=3
	v_clz_i32_u32_e32 v1, v2
	s_delay_alu instid0(VALU_DEP_1) | instskip(SKIP_1) | instid1(VALU_DEP_2)
	v_min_u32_e32 v1, 32, v1
	v_mov_b32_e32 v79, v21
	v_subrev_nc_u32_e32 v2, 29, v1
	v_sub_nc_u32_e32 v1, 30, v1
	s_delay_alu instid0(VALU_DEP_2) | instskip(NEXT) | instid1(VALU_DEP_1)
	v_lshlrev_b64_e32 v[2:3], v2, v[78:79]
	v_and_b32_e32 v2, 3, v2
.LBB6_9071:                             ;   in Loop: Header=BB6_8318 Depth=3
	s_or_b32 exec_lo, exec_lo, s73
	v_bfe_i32 v3, v78, 0, 16
                                        ; implicit-def: $vgpr78
	s_delay_alu instid0(VALU_DEP_1) | instskip(NEXT) | instid1(VALU_DEP_1)
	v_and_b32_e32 v3, 0x80000000, v3
	v_lshl_add_u32 v1, v1, 23, v3
	s_delay_alu instid0(VALU_DEP_1) | instskip(NEXT) | instid1(VALU_DEP_1)
	v_lshl_or_b32 v1, v2, 21, v1
                                        ; implicit-def: $vgpr2
	v_add_nc_u32_e32 v1, 0x38000000, v1
.LBB6_9072:                             ;   in Loop: Header=BB6_8318 Depth=3
	s_and_not1_saveexec_b32 s73, s13
; %bb.9073:                             ;   in Loop: Header=BB6_8318 Depth=3
	v_cmp_lt_i16_e64 s13, -1, v78
	v_mov_b32_e32 v1, 0x7f800000
	v_cmp_eq_u32_e32 vcc_lo, 0, v2
	s_delay_alu instid0(VALU_DEP_2) | instskip(NEXT) | instid1(VALU_DEP_1)
	v_cndmask_b32_e64 v1, 0xff800000, v1, s13
	v_cndmask_b32_e32 v1, 0x7f800001, v1, vcc_lo
; %bb.9074:                             ;   in Loop: Header=BB6_8318 Depth=3
	s_or_b32 exec_lo, exec_lo, s73
.LBB6_9075:                             ;   in Loop: Header=BB6_8318 Depth=3
	s_delay_alu instid0(SALU_CYCLE_1)
	s_or_b32 exec_lo, exec_lo, s72
.LBB6_9076:                             ;   in Loop: Header=BB6_8318 Depth=3
	s_delay_alu instid0(SALU_CYCLE_1) | instskip(NEXT) | instid1(SALU_CYCLE_1)
	s_or_b32 exec_lo, exec_lo, s43
	s_mov_b32 s43, exec_lo
	v_cmpx_ne_u16_e32 0, v62
	s_cbranch_execz .LBB6_9086
; %bb.9077:                             ;   in Loop: Header=BB6_8318 Depth=3
	v_bfrev_b32_e32 v0, 1
	s_mov_b32 s72, exec_lo
	v_cmpx_ne_u16_e32 0xff80, v62
	s_cbranch_execz .LBB6_9085
; %bb.9078:                             ;   in Loop: Header=BB6_8318 Depth=3
	v_and_b32_e32 v0, 0x7c, v62
	v_and_b32_e32 v2, 3, v62
	s_delay_alu instid0(VALU_DEP_2) | instskip(SKIP_1) | instid1(SALU_CYCLE_1)
	v_cmp_ne_u32_e32 vcc_lo, 0x7c, v0
                                        ; implicit-def: $vgpr0
	s_and_saveexec_b32 s13, vcc_lo
	s_xor_b32 s13, exec_lo, s13
	s_cbranch_execz .LBB6_9082
; %bb.9079:                             ;   in Loop: Header=BB6_8318 Depth=3
	v_and_b32_e32 v0, 0xff, v62
	s_mov_b32 s73, exec_lo
	s_delay_alu instid0(VALU_DEP_1) | instskip(NEXT) | instid1(VALU_DEP_1)
	v_bfe_u32 v0, v0, 2, 5
	v_cmpx_eq_u32_e32 0, v0
	s_cbranch_execz .LBB6_9081
; %bb.9080:                             ;   in Loop: Header=BB6_8318 Depth=3
	v_clz_i32_u32_e32 v0, v2
	s_delay_alu instid0(VALU_DEP_1) | instskip(SKIP_1) | instid1(VALU_DEP_2)
	v_min_u32_e32 v0, 32, v0
	v_mov_b32_e32 v63, v21
	v_subrev_nc_u32_e32 v2, 29, v0
	v_sub_nc_u32_e32 v0, 30, v0
	s_delay_alu instid0(VALU_DEP_2) | instskip(NEXT) | instid1(VALU_DEP_1)
	v_lshlrev_b64_e32 v[2:3], v2, v[62:63]
	v_and_b32_e32 v2, 3, v2
.LBB6_9081:                             ;   in Loop: Header=BB6_8318 Depth=3
	s_or_b32 exec_lo, exec_lo, s73
	v_bfe_i32 v3, v62, 0, 16
                                        ; implicit-def: $vgpr62
	s_delay_alu instid0(VALU_DEP_1) | instskip(NEXT) | instid1(VALU_DEP_1)
	v_and_b32_e32 v3, 0x80000000, v3
	v_lshl_add_u32 v0, v0, 23, v3
	s_delay_alu instid0(VALU_DEP_1) | instskip(NEXT) | instid1(VALU_DEP_1)
	v_lshl_or_b32 v0, v2, 21, v0
                                        ; implicit-def: $vgpr2
	v_add_nc_u32_e32 v0, 0x38000000, v0
.LBB6_9082:                             ;   in Loop: Header=BB6_8318 Depth=3
	s_and_not1_saveexec_b32 s73, s13
; %bb.9083:                             ;   in Loop: Header=BB6_8318 Depth=3
	v_cmp_lt_i16_e64 s13, -1, v62
	v_mov_b32_e32 v0, 0x7f800000
	v_cmp_eq_u32_e32 vcc_lo, 0, v2
	s_delay_alu instid0(VALU_DEP_2) | instskip(NEXT) | instid1(VALU_DEP_1)
	v_cndmask_b32_e64 v0, 0xff800000, v0, s13
	v_cndmask_b32_e32 v0, 0x7f800001, v0, vcc_lo
; %bb.9084:                             ;   in Loop: Header=BB6_8318 Depth=3
	s_or_b32 exec_lo, exec_lo, s73
.LBB6_9085:                             ;   in Loop: Header=BB6_8318 Depth=3
	s_delay_alu instid0(SALU_CYCLE_1)
	s_or_b32 exec_lo, exec_lo, s72
.LBB6_9086:                             ;   in Loop: Header=BB6_8318 Depth=3
	s_delay_alu instid0(SALU_CYCLE_1) | instskip(NEXT) | instid1(VALU_DEP_1)
	s_or_b32 exec_lo, exec_lo, s43
	v_mul_f32_e32 v2, v1, v0
	v_mov_b32_e32 v1, v21
                                        ; implicit-def: $vgpr67
	s_delay_alu instid0(VALU_DEP_2) | instskip(NEXT) | instid1(VALU_DEP_1)
	v_and_b32_e32 v0, 0x7f800000, v2
	v_cmp_ne_u64_e32 vcc_lo, 0x7f800000, v[0:1]
	v_and_b32_e32 v0, 0x7fffff, v2
	s_and_saveexec_b32 s13, vcc_lo
	s_delay_alu instid0(SALU_CYCLE_1)
	s_xor_b32 s43, exec_lo, s13
	s_cbranch_execz .LBB6_9104
; %bb.9087:                             ;   in Loop: Header=BB6_8318 Depth=3
	v_dual_mov_b32 v33, v21 :: v_dual_lshrrev_b32 v3, 24, v2
	v_and_b32_e32 v32, 0x7fffffff, v2
                                        ; implicit-def: $vgpr67
	s_mov_b32 s13, exec_lo
	s_delay_alu instid0(VALU_DEP_2) | instskip(NEXT) | instid1(VALU_DEP_2)
	v_and_b32_e32 v5, 0x80, v3
	v_cmpx_gt_u64_e32 0x47600001, v[32:33]
	s_xor_b32 s72, exec_lo, s13
	s_cbranch_execz .LBB6_9101
; %bb.9088:                             ;   in Loop: Header=BB6_8318 Depth=3
	v_mov_b32_e32 v67, 0
	s_mov_b32 s73, exec_lo
	v_cmpx_ne_u32_e32 0, v2
	s_cbranch_execz .LBB6_9100
; %bb.9089:                             ;   in Loop: Header=BB6_8318 Depth=3
	v_bfe_u32 v29, v2, 23, 8
	v_or_b32_e32 v3, 0x800000, v0
	s_delay_alu instid0(VALU_DEP_2) | instskip(SKIP_2) | instid1(VALU_DEP_2)
	v_cmp_gt_u32_e64 s13, 0x72, v29
	v_sub_nc_u32_e32 v2, 0x71, v29
	v_cmp_eq_u32_e32 vcc_lo, 0, v29
	v_dual_cndmask_b32 v2, 0, v2, s13 :: v_dual_cndmask_b32 v0, v3, v0, vcc_lo
	s_delay_alu instid0(VALU_DEP_1) | instskip(NEXT) | instid1(VALU_DEP_1)
	v_cndmask_b32_e64 v31, v2, 0x70, vcc_lo
	v_dual_add_nc_u32 v2, 21, v31 :: v_dual_add_nc_u32 v32, 20, v31
	s_delay_alu instid0(VALU_DEP_1) | instskip(NEXT) | instid1(VALU_DEP_2)
	v_lshlrev_b64_e64 v[2:3], v2, -1
	v_lshlrev_b64_e64 v[32:33], v32, 1
	s_delay_alu instid0(VALU_DEP_2) | instskip(SKIP_1) | instid1(VALU_DEP_4)
	v_bfi_b32 v2, v2, 0, v0
	v_lshrrev_b64 v[0:1], v31, v[0:1]
	v_bfi_b32 v3, v3, 0, 0
	s_delay_alu instid0(VALU_DEP_1) | instskip(NEXT) | instid1(VALU_DEP_3)
	v_cmp_eq_u64_e64 s13, v[2:3], v[32:33]
	v_mov_b64_e32 v[2:3], v[0:1]
	s_and_saveexec_b32 s74, s13
; %bb.9090:                             ;   in Loop: Header=BB6_8318 Depth=3
	v_bfe_u32 v2, v0, 21, 1
	v_mov_b32_e32 v3, v21
	s_delay_alu instid0(VALU_DEP_1) | instskip(NEXT) | instid1(VALU_DEP_1)
	v_add_nc_u64_e32 v[2:3], v[0:1], v[2:3]
	v_add_nc_u64_e32 v[2:3], -1, v[2:3]
; %bb.9091:                             ;   in Loop: Header=BB6_8318 Depth=3
	s_or_b32 exec_lo, exec_lo, s74
	v_add_nc_u32_e32 v1, 0xffffff81, v29
	v_lshrrev_b32_e32 v3, 23, v0
	s_mov_b32 s13, exec_lo
	s_delay_alu instid0(VALU_DEP_2) | instskip(NEXT) | instid1(VALU_DEP_1)
	v_cndmask_b32_e64 v1, v1, 0xffffff82, vcc_lo
	v_add3_u32 v29, v31, v1, v3
	v_and_b32_e32 v1, 0x1fffff, v2
                                        ; implicit-def: $vgpr2
	s_delay_alu instid0(VALU_DEP_1) | instskip(SKIP_1) | instid1(VALU_DEP_2)
	v_dual_add_nc_u32 v3, 14, v29 :: v_dual_add_nc_u32 v0, v1, v0
	v_mov_b32_e32 v1, v21
	v_cmpx_ne_u32_e32 0, v3
	s_xor_b32 s13, exec_lo, s13
; %bb.9092:                             ;   in Loop: Header=BB6_8318 Depth=3
	s_delay_alu instid0(VALU_DEP_2) | instskip(SKIP_1) | instid1(VALU_DEP_1)
	v_cmp_lt_u64_e32 vcc_lo, 0xffffff, v[0:1]
	v_add_nc_u32_e32 v2, 15, v29
	v_cndmask_b32_e32 v2, v3, v2, vcc_lo
	v_cndmask_b32_e64 v3, 0, 1, vcc_lo
	s_delay_alu instid0(VALU_DEP_1)
	v_lshrrev_b64 v[0:1], v3, v[0:1]
; %bb.9093:                             ;   in Loop: Header=BB6_8318 Depth=3
	s_and_not1_saveexec_b32 s13, s13
; %bb.9094:                             ;   in Loop: Header=BB6_8318 Depth=3
	s_delay_alu instid0(VALU_DEP_1)
	v_bfe_u32 v2, v0, 23, 1
; %bb.9095:                             ;   in Loop: Header=BB6_8318 Depth=3
	s_or_b32 exec_lo, exec_lo, s13
	s_delay_alu instid0(VALU_DEP_2) | instskip(NEXT) | instid1(VALU_DEP_2)
	v_lshrrev_b64 v[0:1], 21, v[0:1]
	v_cmp_gt_i32_e32 vcc_lo, 32, v2
	v_cmp_ne_u32_e64 s13, 0, v2
                                        ; implicit-def: $vgpr67
	s_delay_alu instid0(VALU_DEP_3) | instskip(NEXT) | instid1(VALU_DEP_1)
	v_dual_cndmask_b32 v1, 0, v1 :: v_dual_cndmask_b32 v0, 3, v0
	v_cmp_ne_u64_e32 vcc_lo, 0, v[0:1]
	s_or_b32 s13, s13, vcc_lo
	s_delay_alu instid0(SALU_CYCLE_1) | instskip(NEXT) | instid1(SALU_CYCLE_1)
	s_and_saveexec_b32 s74, s13
	s_xor_b32 s13, exec_lo, s74
; %bb.9096:                             ;   in Loop: Header=BB6_8318 Depth=3
	v_min_i32_e32 v1, 31, v2
	s_delay_alu instid0(VALU_DEP_1) | instskip(NEXT) | instid1(VALU_DEP_1)
	v_lshl_or_b32 v1, v1, 2, v5
                                        ; implicit-def: $vgpr5
	v_and_or_b32 v67, v0, 3, v1
; %bb.9097:                             ;   in Loop: Header=BB6_8318 Depth=3
	s_and_not1_saveexec_b32 s13, s13
; %bb.9098:                             ;   in Loop: Header=BB6_8318 Depth=3
	v_mov_b32_e32 v67, v5
; %bb.9099:                             ;   in Loop: Header=BB6_8318 Depth=3
	s_or_b32 exec_lo, exec_lo, s13
.LBB6_9100:                             ;   in Loop: Header=BB6_8318 Depth=3
	s_delay_alu instid0(SALU_CYCLE_1)
	s_or_b32 exec_lo, exec_lo, s73
                                        ; implicit-def: $vgpr5
.LBB6_9101:                             ;   in Loop: Header=BB6_8318 Depth=3
	s_and_not1_saveexec_b32 s13, s72
; %bb.9102:                             ;   in Loop: Header=BB6_8318 Depth=3
	v_or_b32_e32 v67, 0x7b, v5
; %bb.9103:                             ;   in Loop: Header=BB6_8318 Depth=3
	s_or_b32 exec_lo, exec_lo, s13
                                        ; implicit-def: $vgpr2
                                        ; implicit-def: $vgpr0_vgpr1
.LBB6_9104:                             ;   in Loop: Header=BB6_8318 Depth=3
	s_and_not1_saveexec_b32 s13, s43
	s_cbranch_execz .LBB6_9110
; %bb.9105:                             ;   in Loop: Header=BB6_8318 Depth=3
	s_mov_b32 s43, exec_lo
                                        ; implicit-def: $vgpr67
	v_cmpx_ne_u64_e32 0, v[0:1]
	s_xor_b32 s43, exec_lo, s43
; %bb.9106:                             ;   in Loop: Header=BB6_8318 Depth=3
	v_lshrrev_b32_e32 v0, 24, v2
                                        ; implicit-def: $vgpr2
	s_delay_alu instid0(VALU_DEP_1)
	v_or_b32_e32 v67, 0x7f, v0
; %bb.9107:                             ;   in Loop: Header=BB6_8318 Depth=3
	s_and_not1_saveexec_b32 s43, s43
; %bb.9108:                             ;   in Loop: Header=BB6_8318 Depth=3
	v_cmp_lt_i32_e32 vcc_lo, -1, v2
	v_cndmask_b32_e64 v67, -4, 0x7c, vcc_lo
; %bb.9109:                             ;   in Loop: Header=BB6_8318 Depth=3
	s_or_b32 exec_lo, exec_lo, s43
.LBB6_9110:                             ;   in Loop: Header=BB6_8318 Depth=3
	s_delay_alu instid0(SALU_CYCLE_1)
	s_or_b32 exec_lo, exec_lo, s13
	v_dual_mov_b32 v0, 0 :: v_dual_mov_b32 v1, 0
	s_mov_b32 s43, exec_lo
	v_cmpx_ne_u16_e32 0, v98
	s_cbranch_execz .LBB6_9120
; %bb.9111:                             ;   in Loop: Header=BB6_8318 Depth=3
	v_bfrev_b32_e32 v1, 1
	s_mov_b32 s72, exec_lo
	v_cmpx_ne_u16_e32 0xff80, v98
	s_cbranch_execz .LBB6_9119
; %bb.9112:                             ;   in Loop: Header=BB6_8318 Depth=3
	v_and_b32_e32 v1, 0x7c, v98
	v_and_b32_e32 v2, 3, v98
	s_delay_alu instid0(VALU_DEP_2) | instskip(SKIP_1) | instid1(SALU_CYCLE_1)
	v_cmp_ne_u32_e32 vcc_lo, 0x7c, v1
                                        ; implicit-def: $vgpr1
	s_and_saveexec_b32 s13, vcc_lo
	s_xor_b32 s13, exec_lo, s13
	s_cbranch_execz .LBB6_9116
; %bb.9113:                             ;   in Loop: Header=BB6_8318 Depth=3
	v_and_b32_e32 v1, 0xff, v98
	s_mov_b32 s73, exec_lo
	s_delay_alu instid0(VALU_DEP_1) | instskip(NEXT) | instid1(VALU_DEP_1)
	v_bfe_u32 v1, v1, 2, 5
	v_cmpx_eq_u32_e32 0, v1
	s_cbranch_execz .LBB6_9115
; %bb.9114:                             ;   in Loop: Header=BB6_8318 Depth=3
	v_clz_i32_u32_e32 v1, v2
	s_delay_alu instid0(VALU_DEP_1) | instskip(SKIP_1) | instid1(VALU_DEP_2)
	v_min_u32_e32 v1, 32, v1
	v_mov_b32_e32 v99, v21
	v_subrev_nc_u32_e32 v2, 29, v1
	v_sub_nc_u32_e32 v1, 30, v1
	s_delay_alu instid0(VALU_DEP_2) | instskip(NEXT) | instid1(VALU_DEP_1)
	v_lshlrev_b64_e32 v[2:3], v2, v[98:99]
	v_and_b32_e32 v2, 3, v2
.LBB6_9115:                             ;   in Loop: Header=BB6_8318 Depth=3
	s_or_b32 exec_lo, exec_lo, s73
	v_bfe_i32 v3, v98, 0, 16
                                        ; implicit-def: $vgpr98
	s_delay_alu instid0(VALU_DEP_1) | instskip(NEXT) | instid1(VALU_DEP_1)
	v_and_b32_e32 v3, 0x80000000, v3
	v_lshl_add_u32 v1, v1, 23, v3
	s_delay_alu instid0(VALU_DEP_1) | instskip(NEXT) | instid1(VALU_DEP_1)
	v_lshl_or_b32 v1, v2, 21, v1
                                        ; implicit-def: $vgpr2
	v_add_nc_u32_e32 v1, 0x38000000, v1
.LBB6_9116:                             ;   in Loop: Header=BB6_8318 Depth=3
	s_and_not1_saveexec_b32 s73, s13
; %bb.9117:                             ;   in Loop: Header=BB6_8318 Depth=3
	v_cmp_lt_i16_e64 s13, -1, v98
	v_mov_b32_e32 v1, 0x7f800000
	v_cmp_eq_u32_e32 vcc_lo, 0, v2
	s_delay_alu instid0(VALU_DEP_2) | instskip(NEXT) | instid1(VALU_DEP_1)
	v_cndmask_b32_e64 v1, 0xff800000, v1, s13
	v_cndmask_b32_e32 v1, 0x7f800001, v1, vcc_lo
; %bb.9118:                             ;   in Loop: Header=BB6_8318 Depth=3
	s_or_b32 exec_lo, exec_lo, s73
.LBB6_9119:                             ;   in Loop: Header=BB6_8318 Depth=3
	s_delay_alu instid0(SALU_CYCLE_1)
	s_or_b32 exec_lo, exec_lo, s72
.LBB6_9120:                             ;   in Loop: Header=BB6_8318 Depth=3
	s_delay_alu instid0(SALU_CYCLE_1) | instskip(NEXT) | instid1(SALU_CYCLE_1)
	s_or_b32 exec_lo, exec_lo, s43
	s_mov_b32 s43, exec_lo
	v_cmpx_ne_u16_e32 0, v4
	s_cbranch_execz .LBB6_9130
; %bb.9121:                             ;   in Loop: Header=BB6_8318 Depth=3
	v_bfrev_b32_e32 v0, 1
	s_mov_b32 s72, exec_lo
	v_cmpx_ne_u16_e32 0xff80, v4
	s_cbranch_execz .LBB6_9129
; %bb.9122:                             ;   in Loop: Header=BB6_8318 Depth=3
	v_and_b32_e32 v0, 0x7c, v4
	v_and_b32_e32 v2, 3, v4
	s_delay_alu instid0(VALU_DEP_2) | instskip(SKIP_1) | instid1(SALU_CYCLE_1)
	v_cmp_ne_u32_e32 vcc_lo, 0x7c, v0
                                        ; implicit-def: $vgpr0
	s_and_saveexec_b32 s13, vcc_lo
	s_xor_b32 s13, exec_lo, s13
	s_cbranch_execz .LBB6_9126
; %bb.9123:                             ;   in Loop: Header=BB6_8318 Depth=3
	v_and_b32_e32 v0, 0xff, v4
	s_mov_b32 s73, exec_lo
	s_delay_alu instid0(VALU_DEP_1) | instskip(NEXT) | instid1(VALU_DEP_1)
	v_bfe_u32 v0, v0, 2, 5
	v_cmpx_eq_u32_e32 0, v0
	s_cbranch_execz .LBB6_9125
; %bb.9124:                             ;   in Loop: Header=BB6_8318 Depth=3
	v_clz_i32_u32_e32 v0, v2
	s_delay_alu instid0(VALU_DEP_1) | instskip(SKIP_1) | instid1(VALU_DEP_2)
	v_min_u32_e32 v0, 32, v0
	v_mov_b32_e32 v5, v21
	v_subrev_nc_u32_e32 v2, 29, v0
	v_sub_nc_u32_e32 v0, 30, v0
	s_delay_alu instid0(VALU_DEP_2) | instskip(NEXT) | instid1(VALU_DEP_1)
	v_lshlrev_b64_e32 v[2:3], v2, v[4:5]
	v_and_b32_e32 v2, 3, v2
.LBB6_9125:                             ;   in Loop: Header=BB6_8318 Depth=3
	s_or_b32 exec_lo, exec_lo, s73
	v_bfe_i32 v3, v4, 0, 16
                                        ; implicit-def: $vgpr4
	s_delay_alu instid0(VALU_DEP_1) | instskip(NEXT) | instid1(VALU_DEP_1)
	v_and_b32_e32 v3, 0x80000000, v3
	v_lshl_add_u32 v0, v0, 23, v3
	s_delay_alu instid0(VALU_DEP_1) | instskip(NEXT) | instid1(VALU_DEP_1)
	v_lshl_or_b32 v0, v2, 21, v0
                                        ; implicit-def: $vgpr2
	v_add_nc_u32_e32 v0, 0x38000000, v0
.LBB6_9126:                             ;   in Loop: Header=BB6_8318 Depth=3
	s_and_not1_saveexec_b32 s73, s13
; %bb.9127:                             ;   in Loop: Header=BB6_8318 Depth=3
	v_cmp_lt_i16_e64 s13, -1, v4
	v_mov_b32_e32 v0, 0x7f800000
	v_cmp_eq_u32_e32 vcc_lo, 0, v2
	s_delay_alu instid0(VALU_DEP_2) | instskip(NEXT) | instid1(VALU_DEP_1)
	v_cndmask_b32_e64 v0, 0xff800000, v0, s13
	v_cndmask_b32_e32 v0, 0x7f800001, v0, vcc_lo
; %bb.9128:                             ;   in Loop: Header=BB6_8318 Depth=3
	s_or_b32 exec_lo, exec_lo, s73
.LBB6_9129:                             ;   in Loop: Header=BB6_8318 Depth=3
	s_delay_alu instid0(SALU_CYCLE_1)
	s_or_b32 exec_lo, exec_lo, s72
.LBB6_9130:                             ;   in Loop: Header=BB6_8318 Depth=3
	s_delay_alu instid0(SALU_CYCLE_1) | instskip(NEXT) | instid1(VALU_DEP_1)
	s_or_b32 exec_lo, exec_lo, s43
	v_mul_f32_e32 v2, v1, v0
	v_mov_b32_e32 v1, v21
                                        ; implicit-def: $vgpr4
	s_delay_alu instid0(VALU_DEP_2) | instskip(NEXT) | instid1(VALU_DEP_1)
	v_and_b32_e32 v0, 0x7f800000, v2
	v_cmp_ne_u64_e32 vcc_lo, 0x7f800000, v[0:1]
	v_and_b32_e32 v0, 0x7fffff, v2
	s_and_saveexec_b32 s13, vcc_lo
	s_delay_alu instid0(SALU_CYCLE_1)
	s_xor_b32 s43, exec_lo, s13
	s_cbranch_execz .LBB6_9148
; %bb.9131:                             ;   in Loop: Header=BB6_8318 Depth=3
	v_and_b32_e32 v4, 0x7fffffff, v2
	v_dual_mov_b32 v5, v21 :: v_dual_lshrrev_b32 v3, 24, v2
	s_delay_alu instid0(VALU_DEP_1) | instskip(NEXT) | instid1(VALU_DEP_2)
	v_cmp_gt_u64_e32 vcc_lo, 0x47600001, v[4:5]
	v_and_b32_e32 v5, 0x80, v3
                                        ; implicit-def: $vgpr4
	s_and_saveexec_b32 s13, vcc_lo
	s_delay_alu instid0(SALU_CYCLE_1)
	s_xor_b32 s72, exec_lo, s13
	s_cbranch_execz .LBB6_9145
; %bb.9132:                             ;   in Loop: Header=BB6_8318 Depth=3
	v_mov_b32_e32 v4, 0
	s_mov_b32 s73, exec_lo
	v_cmpx_ne_u32_e32 0, v2
	s_cbranch_execz .LBB6_9144
; %bb.9133:                             ;   in Loop: Header=BB6_8318 Depth=3
	v_bfe_u32 v4, v2, 23, 8
	v_or_b32_e32 v3, 0x800000, v0
	s_delay_alu instid0(VALU_DEP_2) | instskip(SKIP_2) | instid1(VALU_DEP_2)
	v_cmp_gt_u32_e64 s13, 0x72, v4
	v_sub_nc_u32_e32 v2, 0x71, v4
	v_cmp_eq_u32_e32 vcc_lo, 0, v4
	v_dual_cndmask_b32 v2, 0, v2, s13 :: v_dual_cndmask_b32 v0, v3, v0, vcc_lo
	s_delay_alu instid0(VALU_DEP_1) | instskip(NEXT) | instid1(VALU_DEP_1)
	v_cndmask_b32_e64 v29, v2, 0x70, vcc_lo
	v_dual_add_nc_u32 v2, 21, v29 :: v_dual_add_nc_u32 v31, 20, v29
	s_delay_alu instid0(VALU_DEP_1) | instskip(NEXT) | instid1(VALU_DEP_2)
	v_lshlrev_b64_e64 v[2:3], v2, -1
	v_lshlrev_b64_e64 v[32:33], v31, 1
	s_delay_alu instid0(VALU_DEP_2) | instskip(SKIP_1) | instid1(VALU_DEP_4)
	v_bfi_b32 v2, v2, 0, v0
	v_lshrrev_b64 v[0:1], v29, v[0:1]
	v_bfi_b32 v3, v3, 0, 0
	s_delay_alu instid0(VALU_DEP_1) | instskip(NEXT) | instid1(VALU_DEP_3)
	v_cmp_eq_u64_e64 s13, v[2:3], v[32:33]
	v_mov_b64_e32 v[2:3], v[0:1]
	s_and_saveexec_b32 s74, s13
; %bb.9134:                             ;   in Loop: Header=BB6_8318 Depth=3
	v_bfe_u32 v2, v0, 21, 1
	v_mov_b32_e32 v3, v21
	s_delay_alu instid0(VALU_DEP_1) | instskip(NEXT) | instid1(VALU_DEP_1)
	v_add_nc_u64_e32 v[2:3], v[0:1], v[2:3]
	v_add_nc_u64_e32 v[2:3], -1, v[2:3]
; %bb.9135:                             ;   in Loop: Header=BB6_8318 Depth=3
	s_or_b32 exec_lo, exec_lo, s74
	v_add_nc_u32_e32 v1, 0xffffff81, v4
	v_lshrrev_b32_e32 v3, 23, v0
	s_mov_b32 s13, exec_lo
	s_delay_alu instid0(VALU_DEP_2) | instskip(NEXT) | instid1(VALU_DEP_1)
	v_cndmask_b32_e64 v1, v1, 0xffffff82, vcc_lo
	v_add3_u32 v4, v29, v1, v3
	v_and_b32_e32 v1, 0x1fffff, v2
                                        ; implicit-def: $vgpr2
	s_delay_alu instid0(VALU_DEP_2) | instskip(NEXT) | instid1(VALU_DEP_2)
	v_add_nc_u32_e32 v3, 14, v4
	v_add_nc_u32_e32 v0, v1, v0
	v_mov_b32_e32 v1, v21
	s_delay_alu instid0(VALU_DEP_3)
	v_cmpx_ne_u32_e32 0, v3
	s_xor_b32 s13, exec_lo, s13
; %bb.9136:                             ;   in Loop: Header=BB6_8318 Depth=3
	s_delay_alu instid0(VALU_DEP_2) | instskip(SKIP_1) | instid1(VALU_DEP_1)
	v_cmp_lt_u64_e32 vcc_lo, 0xffffff, v[0:1]
	v_add_nc_u32_e32 v2, 15, v4
	v_cndmask_b32_e32 v2, v3, v2, vcc_lo
	v_cndmask_b32_e64 v3, 0, 1, vcc_lo
	s_delay_alu instid0(VALU_DEP_1)
	v_lshrrev_b64 v[0:1], v3, v[0:1]
; %bb.9137:                             ;   in Loop: Header=BB6_8318 Depth=3
	s_and_not1_saveexec_b32 s13, s13
; %bb.9138:                             ;   in Loop: Header=BB6_8318 Depth=3
	s_delay_alu instid0(VALU_DEP_1)
	v_bfe_u32 v2, v0, 23, 1
; %bb.9139:                             ;   in Loop: Header=BB6_8318 Depth=3
	s_or_b32 exec_lo, exec_lo, s13
	s_delay_alu instid0(VALU_DEP_2) | instskip(NEXT) | instid1(VALU_DEP_2)
	v_lshrrev_b64 v[0:1], 21, v[0:1]
	v_cmp_gt_i32_e32 vcc_lo, 32, v2
	v_cmp_ne_u32_e64 s13, 0, v2
                                        ; implicit-def: $vgpr4
	s_delay_alu instid0(VALU_DEP_3) | instskip(NEXT) | instid1(VALU_DEP_1)
	v_dual_cndmask_b32 v1, 0, v1 :: v_dual_cndmask_b32 v0, 3, v0
	v_cmp_ne_u64_e32 vcc_lo, 0, v[0:1]
	s_or_b32 s13, s13, vcc_lo
	s_delay_alu instid0(SALU_CYCLE_1) | instskip(NEXT) | instid1(SALU_CYCLE_1)
	s_and_saveexec_b32 s74, s13
	s_xor_b32 s13, exec_lo, s74
; %bb.9140:                             ;   in Loop: Header=BB6_8318 Depth=3
	v_min_i32_e32 v1, 31, v2
	s_delay_alu instid0(VALU_DEP_1) | instskip(NEXT) | instid1(VALU_DEP_1)
	v_lshl_or_b32 v1, v1, 2, v5
                                        ; implicit-def: $vgpr5
	v_and_or_b32 v4, v0, 3, v1
; %bb.9141:                             ;   in Loop: Header=BB6_8318 Depth=3
	s_and_not1_saveexec_b32 s13, s13
; %bb.9142:                             ;   in Loop: Header=BB6_8318 Depth=3
	v_mov_b32_e32 v4, v5
; %bb.9143:                             ;   in Loop: Header=BB6_8318 Depth=3
	s_or_b32 exec_lo, exec_lo, s13
.LBB6_9144:                             ;   in Loop: Header=BB6_8318 Depth=3
	s_delay_alu instid0(SALU_CYCLE_1)
	s_or_b32 exec_lo, exec_lo, s73
                                        ; implicit-def: $vgpr5
.LBB6_9145:                             ;   in Loop: Header=BB6_8318 Depth=3
	s_and_not1_saveexec_b32 s13, s72
; %bb.9146:                             ;   in Loop: Header=BB6_8318 Depth=3
	v_or_b32_e32 v4, 0x7b, v5
; %bb.9147:                             ;   in Loop: Header=BB6_8318 Depth=3
	s_or_b32 exec_lo, exec_lo, s13
                                        ; implicit-def: $vgpr2
                                        ; implicit-def: $vgpr0_vgpr1
.LBB6_9148:                             ;   in Loop: Header=BB6_8318 Depth=3
	s_and_not1_saveexec_b32 s13, s43
	s_cbranch_execz .LBB6_9154
; %bb.9149:                             ;   in Loop: Header=BB6_8318 Depth=3
	s_mov_b32 s43, exec_lo
                                        ; implicit-def: $vgpr4
	v_cmpx_ne_u64_e32 0, v[0:1]
	s_xor_b32 s43, exec_lo, s43
; %bb.9150:                             ;   in Loop: Header=BB6_8318 Depth=3
	v_lshrrev_b32_e32 v0, 24, v2
                                        ; implicit-def: $vgpr2
	s_delay_alu instid0(VALU_DEP_1)
	v_or_b32_e32 v4, 0x7f, v0
; %bb.9151:                             ;   in Loop: Header=BB6_8318 Depth=3
	s_and_not1_saveexec_b32 s43, s43
; %bb.9152:                             ;   in Loop: Header=BB6_8318 Depth=3
	v_cmp_lt_i32_e32 vcc_lo, -1, v2
	v_cndmask_b32_e64 v4, -4, 0x7c, vcc_lo
; %bb.9153:                             ;   in Loop: Header=BB6_8318 Depth=3
	s_or_b32 exec_lo, exec_lo, s43
.LBB6_9154:                             ;   in Loop: Header=BB6_8318 Depth=3
	s_delay_alu instid0(SALU_CYCLE_1)
	s_or_b32 exec_lo, exec_lo, s13
	v_dual_mov_b32 v0, 0 :: v_dual_mov_b32 v1, 0
	s_mov_b32 s43, exec_lo
	v_cmpx_ne_u16_e32 0, v118
	s_cbranch_execz .LBB6_9164
; %bb.9155:                             ;   in Loop: Header=BB6_8318 Depth=3
	v_bfrev_b32_e32 v1, 1
	s_mov_b32 s72, exec_lo
	v_cmpx_ne_u16_e32 0xff80, v118
	s_cbranch_execz .LBB6_9163
; %bb.9156:                             ;   in Loop: Header=BB6_8318 Depth=3
	v_and_b32_e32 v1, 0x7c, v118
	v_and_b32_e32 v2, 3, v118
	s_delay_alu instid0(VALU_DEP_2) | instskip(SKIP_1) | instid1(SALU_CYCLE_1)
	v_cmp_ne_u32_e32 vcc_lo, 0x7c, v1
                                        ; implicit-def: $vgpr1
	s_and_saveexec_b32 s13, vcc_lo
	s_xor_b32 s13, exec_lo, s13
	s_cbranch_execz .LBB6_9160
; %bb.9157:                             ;   in Loop: Header=BB6_8318 Depth=3
	v_and_b32_e32 v1, 0xff, v118
	s_mov_b32 s73, exec_lo
	s_delay_alu instid0(VALU_DEP_1) | instskip(NEXT) | instid1(VALU_DEP_1)
	v_bfe_u32 v1, v1, 2, 5
	v_cmpx_eq_u32_e32 0, v1
	s_cbranch_execz .LBB6_9159
; %bb.9158:                             ;   in Loop: Header=BB6_8318 Depth=3
	v_clz_i32_u32_e32 v1, v2
	s_delay_alu instid0(VALU_DEP_1) | instskip(SKIP_1) | instid1(VALU_DEP_2)
	v_min_u32_e32 v1, 32, v1
	v_mov_b32_e32 v119, v21
	v_subrev_nc_u32_e32 v2, 29, v1
	v_sub_nc_u32_e32 v1, 30, v1
	s_delay_alu instid0(VALU_DEP_2) | instskip(NEXT) | instid1(VALU_DEP_1)
	v_lshlrev_b64_e32 v[2:3], v2, v[118:119]
	v_and_b32_e32 v2, 3, v2
.LBB6_9159:                             ;   in Loop: Header=BB6_8318 Depth=3
	s_or_b32 exec_lo, exec_lo, s73
	v_bfe_i32 v3, v118, 0, 16
                                        ; implicit-def: $vgpr118
	s_delay_alu instid0(VALU_DEP_1) | instskip(NEXT) | instid1(VALU_DEP_1)
	v_and_b32_e32 v3, 0x80000000, v3
	v_lshl_add_u32 v1, v1, 23, v3
	s_delay_alu instid0(VALU_DEP_1) | instskip(NEXT) | instid1(VALU_DEP_1)
	v_lshl_or_b32 v1, v2, 21, v1
                                        ; implicit-def: $vgpr2
	v_add_nc_u32_e32 v1, 0x38000000, v1
.LBB6_9160:                             ;   in Loop: Header=BB6_8318 Depth=3
	s_and_not1_saveexec_b32 s73, s13
; %bb.9161:                             ;   in Loop: Header=BB6_8318 Depth=3
	v_cmp_lt_i16_e64 s13, -1, v118
	v_mov_b32_e32 v1, 0x7f800000
	v_cmp_eq_u32_e32 vcc_lo, 0, v2
	s_delay_alu instid0(VALU_DEP_2) | instskip(NEXT) | instid1(VALU_DEP_1)
	v_cndmask_b32_e64 v1, 0xff800000, v1, s13
	v_cndmask_b32_e32 v1, 0x7f800001, v1, vcc_lo
; %bb.9162:                             ;   in Loop: Header=BB6_8318 Depth=3
	s_or_b32 exec_lo, exec_lo, s73
.LBB6_9163:                             ;   in Loop: Header=BB6_8318 Depth=3
	s_delay_alu instid0(SALU_CYCLE_1)
	s_or_b32 exec_lo, exec_lo, s72
.LBB6_9164:                             ;   in Loop: Header=BB6_8318 Depth=3
	s_delay_alu instid0(SALU_CYCLE_1) | instskip(NEXT) | instid1(SALU_CYCLE_1)
	s_or_b32 exec_lo, exec_lo, s43
	s_mov_b32 s43, exec_lo
	v_cmpx_ne_u16_e32 0, v28
	s_cbranch_execz .LBB6_9174
; %bb.9165:                             ;   in Loop: Header=BB6_8318 Depth=3
	v_bfrev_b32_e32 v0, 1
	s_mov_b32 s72, exec_lo
	v_cmpx_ne_u16_e32 0xff80, v28
	s_cbranch_execz .LBB6_9173
; %bb.9166:                             ;   in Loop: Header=BB6_8318 Depth=3
	v_and_b32_e32 v0, 0x7c, v28
	v_and_b32_e32 v2, 3, v28
	s_delay_alu instid0(VALU_DEP_2) | instskip(SKIP_1) | instid1(SALU_CYCLE_1)
	v_cmp_ne_u32_e32 vcc_lo, 0x7c, v0
                                        ; implicit-def: $vgpr0
	s_and_saveexec_b32 s13, vcc_lo
	s_xor_b32 s13, exec_lo, s13
	s_cbranch_execz .LBB6_9170
; %bb.9167:                             ;   in Loop: Header=BB6_8318 Depth=3
	v_and_b32_e32 v0, 0xff, v28
	s_mov_b32 s73, exec_lo
	s_delay_alu instid0(VALU_DEP_1) | instskip(NEXT) | instid1(VALU_DEP_1)
	v_bfe_u32 v0, v0, 2, 5
	v_cmpx_eq_u32_e32 0, v0
	s_cbranch_execz .LBB6_9169
; %bb.9168:                             ;   in Loop: Header=BB6_8318 Depth=3
	v_clz_i32_u32_e32 v0, v2
	s_delay_alu instid0(VALU_DEP_1) | instskip(SKIP_1) | instid1(VALU_DEP_2)
	v_min_u32_e32 v0, 32, v0
	v_mov_b32_e32 v29, v21
	v_subrev_nc_u32_e32 v2, 29, v0
	v_sub_nc_u32_e32 v0, 30, v0
	s_delay_alu instid0(VALU_DEP_2) | instskip(NEXT) | instid1(VALU_DEP_1)
	v_lshlrev_b64_e32 v[2:3], v2, v[28:29]
	v_and_b32_e32 v2, 3, v2
.LBB6_9169:                             ;   in Loop: Header=BB6_8318 Depth=3
	s_or_b32 exec_lo, exec_lo, s73
	v_bfe_i32 v3, v28, 0, 16
                                        ; implicit-def: $vgpr28
	s_delay_alu instid0(VALU_DEP_1) | instskip(NEXT) | instid1(VALU_DEP_1)
	v_and_b32_e32 v3, 0x80000000, v3
	v_lshl_add_u32 v0, v0, 23, v3
	s_delay_alu instid0(VALU_DEP_1) | instskip(NEXT) | instid1(VALU_DEP_1)
	v_lshl_or_b32 v0, v2, 21, v0
                                        ; implicit-def: $vgpr2
	v_add_nc_u32_e32 v0, 0x38000000, v0
.LBB6_9170:                             ;   in Loop: Header=BB6_8318 Depth=3
	s_and_not1_saveexec_b32 s73, s13
; %bb.9171:                             ;   in Loop: Header=BB6_8318 Depth=3
	v_cmp_lt_i16_e64 s13, -1, v28
	v_mov_b32_e32 v0, 0x7f800000
	v_cmp_eq_u32_e32 vcc_lo, 0, v2
	s_delay_alu instid0(VALU_DEP_2) | instskip(NEXT) | instid1(VALU_DEP_1)
	v_cndmask_b32_e64 v0, 0xff800000, v0, s13
	v_cndmask_b32_e32 v0, 0x7f800001, v0, vcc_lo
; %bb.9172:                             ;   in Loop: Header=BB6_8318 Depth=3
	s_or_b32 exec_lo, exec_lo, s73
.LBB6_9173:                             ;   in Loop: Header=BB6_8318 Depth=3
	s_delay_alu instid0(SALU_CYCLE_1)
	s_or_b32 exec_lo, exec_lo, s72
.LBB6_9174:                             ;   in Loop: Header=BB6_8318 Depth=3
	s_delay_alu instid0(SALU_CYCLE_1) | instskip(NEXT) | instid1(VALU_DEP_1)
	s_or_b32 exec_lo, exec_lo, s43
	v_mul_f32_e32 v2, v1, v0
	v_mov_b32_e32 v1, v21
                                        ; implicit-def: $vgpr5
	s_delay_alu instid0(VALU_DEP_2) | instskip(NEXT) | instid1(VALU_DEP_1)
	v_and_b32_e32 v0, 0x7f800000, v2
	v_cmp_ne_u64_e32 vcc_lo, 0x7f800000, v[0:1]
	v_and_b32_e32 v0, 0x7fffff, v2
	s_and_saveexec_b32 s13, vcc_lo
	s_delay_alu instid0(SALU_CYCLE_1)
	s_xor_b32 s43, exec_lo, s13
	s_cbranch_execz .LBB6_9192
; %bb.9175:                             ;   in Loop: Header=BB6_8318 Depth=3
	v_and_b32_e32 v28, 0x7fffffff, v2
	v_dual_mov_b32 v29, v21 :: v_dual_lshrrev_b32 v3, 24, v2
                                        ; implicit-def: $vgpr5
	s_delay_alu instid0(VALU_DEP_1) | instskip(NEXT) | instid1(VALU_DEP_2)
	v_cmp_gt_u64_e32 vcc_lo, 0x47600001, v[28:29]
	v_and_b32_e32 v28, 0x80, v3
	s_and_saveexec_b32 s13, vcc_lo
	s_delay_alu instid0(SALU_CYCLE_1)
	s_xor_b32 s72, exec_lo, s13
	s_cbranch_execz .LBB6_9189
; %bb.9176:                             ;   in Loop: Header=BB6_8318 Depth=3
	v_mov_b32_e32 v5, 0
	s_mov_b32 s73, exec_lo
	v_cmpx_ne_u32_e32 0, v2
	s_cbranch_execz .LBB6_9188
; %bb.9177:                             ;   in Loop: Header=BB6_8318 Depth=3
	v_bfe_u32 v5, v2, 23, 8
	v_or_b32_e32 v3, 0x800000, v0
	s_delay_alu instid0(VALU_DEP_2) | instskip(SKIP_2) | instid1(VALU_DEP_2)
	v_cmp_gt_u32_e64 s13, 0x72, v5
	v_sub_nc_u32_e32 v2, 0x71, v5
	v_cmp_eq_u32_e32 vcc_lo, 0, v5
	v_dual_cndmask_b32 v2, 0, v2, s13 :: v_dual_cndmask_b32 v0, v3, v0, vcc_lo
	s_delay_alu instid0(VALU_DEP_1) | instskip(NEXT) | instid1(VALU_DEP_1)
	v_cndmask_b32_e64 v29, v2, 0x70, vcc_lo
	v_dual_add_nc_u32 v2, 21, v29 :: v_dual_add_nc_u32 v31, 20, v29
	s_delay_alu instid0(VALU_DEP_1) | instskip(NEXT) | instid1(VALU_DEP_2)
	v_lshlrev_b64_e64 v[2:3], v2, -1
	v_lshlrev_b64_e64 v[32:33], v31, 1
	s_delay_alu instid0(VALU_DEP_2) | instskip(SKIP_1) | instid1(VALU_DEP_4)
	v_bfi_b32 v2, v2, 0, v0
	v_lshrrev_b64 v[0:1], v29, v[0:1]
	v_bfi_b32 v3, v3, 0, 0
	s_delay_alu instid0(VALU_DEP_1) | instskip(NEXT) | instid1(VALU_DEP_3)
	v_cmp_eq_u64_e64 s13, v[2:3], v[32:33]
	v_mov_b64_e32 v[2:3], v[0:1]
	s_and_saveexec_b32 s74, s13
; %bb.9178:                             ;   in Loop: Header=BB6_8318 Depth=3
	v_bfe_u32 v2, v0, 21, 1
	v_mov_b32_e32 v3, v21
	s_delay_alu instid0(VALU_DEP_1) | instskip(NEXT) | instid1(VALU_DEP_1)
	v_add_nc_u64_e32 v[2:3], v[0:1], v[2:3]
	v_add_nc_u64_e32 v[2:3], -1, v[2:3]
; %bb.9179:                             ;   in Loop: Header=BB6_8318 Depth=3
	s_or_b32 exec_lo, exec_lo, s74
	v_add_nc_u32_e32 v1, 0xffffff81, v5
	v_lshrrev_b32_e32 v3, 23, v0
	s_mov_b32 s13, exec_lo
	s_delay_alu instid0(VALU_DEP_2) | instskip(NEXT) | instid1(VALU_DEP_1)
	v_cndmask_b32_e64 v1, v1, 0xffffff82, vcc_lo
	v_add3_u32 v5, v29, v1, v3
	v_and_b32_e32 v1, 0x1fffff, v2
                                        ; implicit-def: $vgpr2
	s_delay_alu instid0(VALU_DEP_1) | instskip(SKIP_1) | instid1(VALU_DEP_2)
	v_dual_add_nc_u32 v3, 14, v5 :: v_dual_add_nc_u32 v0, v1, v0
	v_mov_b32_e32 v1, v21
	v_cmpx_ne_u32_e32 0, v3
	s_xor_b32 s13, exec_lo, s13
; %bb.9180:                             ;   in Loop: Header=BB6_8318 Depth=3
	s_delay_alu instid0(VALU_DEP_2) | instskip(SKIP_1) | instid1(VALU_DEP_1)
	v_cmp_lt_u64_e32 vcc_lo, 0xffffff, v[0:1]
	v_add_nc_u32_e32 v2, 15, v5
	v_cndmask_b32_e32 v2, v3, v2, vcc_lo
	v_cndmask_b32_e64 v3, 0, 1, vcc_lo
	s_delay_alu instid0(VALU_DEP_1)
	v_lshrrev_b64 v[0:1], v3, v[0:1]
; %bb.9181:                             ;   in Loop: Header=BB6_8318 Depth=3
	s_and_not1_saveexec_b32 s13, s13
; %bb.9182:                             ;   in Loop: Header=BB6_8318 Depth=3
	s_delay_alu instid0(VALU_DEP_1)
	v_bfe_u32 v2, v0, 23, 1
; %bb.9183:                             ;   in Loop: Header=BB6_8318 Depth=3
	s_or_b32 exec_lo, exec_lo, s13
	s_delay_alu instid0(VALU_DEP_2) | instskip(NEXT) | instid1(VALU_DEP_2)
	v_lshrrev_b64 v[0:1], 21, v[0:1]
	v_cmp_gt_i32_e32 vcc_lo, 32, v2
	v_cmp_ne_u32_e64 s13, 0, v2
                                        ; implicit-def: $vgpr5
	s_delay_alu instid0(VALU_DEP_3) | instskip(NEXT) | instid1(VALU_DEP_1)
	v_dual_cndmask_b32 v1, 0, v1 :: v_dual_cndmask_b32 v0, 3, v0
	v_cmp_ne_u64_e32 vcc_lo, 0, v[0:1]
	s_or_b32 s13, s13, vcc_lo
	s_delay_alu instid0(SALU_CYCLE_1) | instskip(NEXT) | instid1(SALU_CYCLE_1)
	s_and_saveexec_b32 s74, s13
	s_xor_b32 s13, exec_lo, s74
; %bb.9184:                             ;   in Loop: Header=BB6_8318 Depth=3
	v_min_i32_e32 v1, 31, v2
	s_delay_alu instid0(VALU_DEP_1) | instskip(NEXT) | instid1(VALU_DEP_1)
	v_lshl_or_b32 v1, v1, 2, v28
                                        ; implicit-def: $vgpr28
	v_and_or_b32 v5, v0, 3, v1
; %bb.9185:                             ;   in Loop: Header=BB6_8318 Depth=3
	s_and_not1_saveexec_b32 s13, s13
; %bb.9186:                             ;   in Loop: Header=BB6_8318 Depth=3
	v_mov_b32_e32 v5, v28
; %bb.9187:                             ;   in Loop: Header=BB6_8318 Depth=3
	s_or_b32 exec_lo, exec_lo, s13
.LBB6_9188:                             ;   in Loop: Header=BB6_8318 Depth=3
	s_delay_alu instid0(SALU_CYCLE_1)
	s_or_b32 exec_lo, exec_lo, s73
                                        ; implicit-def: $vgpr28
.LBB6_9189:                             ;   in Loop: Header=BB6_8318 Depth=3
	s_and_not1_saveexec_b32 s13, s72
; %bb.9190:                             ;   in Loop: Header=BB6_8318 Depth=3
	v_or_b32_e32 v5, 0x7b, v28
; %bb.9191:                             ;   in Loop: Header=BB6_8318 Depth=3
	s_or_b32 exec_lo, exec_lo, s13
                                        ; implicit-def: $vgpr2
                                        ; implicit-def: $vgpr0_vgpr1
.LBB6_9192:                             ;   in Loop: Header=BB6_8318 Depth=3
	s_and_not1_saveexec_b32 s13, s43
	s_cbranch_execz .LBB6_9198
; %bb.9193:                             ;   in Loop: Header=BB6_8318 Depth=3
	s_mov_b32 s43, exec_lo
                                        ; implicit-def: $vgpr5
	v_cmpx_ne_u64_e32 0, v[0:1]
	s_xor_b32 s43, exec_lo, s43
; %bb.9194:                             ;   in Loop: Header=BB6_8318 Depth=3
	v_lshrrev_b32_e32 v0, 24, v2
                                        ; implicit-def: $vgpr2
	s_delay_alu instid0(VALU_DEP_1)
	v_or_b32_e32 v5, 0x7f, v0
; %bb.9195:                             ;   in Loop: Header=BB6_8318 Depth=3
	s_and_not1_saveexec_b32 s43, s43
; %bb.9196:                             ;   in Loop: Header=BB6_8318 Depth=3
	v_cmp_lt_i32_e32 vcc_lo, -1, v2
	v_cndmask_b32_e64 v5, -4, 0x7c, vcc_lo
; %bb.9197:                             ;   in Loop: Header=BB6_8318 Depth=3
	s_or_b32 exec_lo, exec_lo, s43
.LBB6_9198:                             ;   in Loop: Header=BB6_8318 Depth=3
	s_delay_alu instid0(SALU_CYCLE_1)
	s_or_b32 exec_lo, exec_lo, s13
	v_dual_mov_b32 v0, 0 :: v_dual_mov_b32 v1, 0
	s_mov_b32 s43, exec_lo
	v_cmpx_ne_u16_e32 0, v30
	s_cbranch_execz .LBB6_9208
; %bb.9199:                             ;   in Loop: Header=BB6_8318 Depth=3
	v_bfrev_b32_e32 v1, 1
	s_mov_b32 s72, exec_lo
	v_cmpx_ne_u16_e32 0xff80, v30
	s_cbranch_execz .LBB6_9207
; %bb.9200:                             ;   in Loop: Header=BB6_8318 Depth=3
	v_and_b32_e32 v1, 0x7c, v30
	v_and_b32_e32 v2, 3, v30
	s_delay_alu instid0(VALU_DEP_2) | instskip(SKIP_1) | instid1(SALU_CYCLE_1)
	v_cmp_ne_u32_e32 vcc_lo, 0x7c, v1
                                        ; implicit-def: $vgpr1
	s_and_saveexec_b32 s13, vcc_lo
	s_xor_b32 s13, exec_lo, s13
	s_cbranch_execz .LBB6_9204
; %bb.9201:                             ;   in Loop: Header=BB6_8318 Depth=3
	v_and_b32_e32 v1, 0xff, v30
	s_mov_b32 s73, exec_lo
	s_delay_alu instid0(VALU_DEP_1) | instskip(NEXT) | instid1(VALU_DEP_1)
	v_bfe_u32 v1, v1, 2, 5
	v_cmpx_eq_u32_e32 0, v1
	s_cbranch_execz .LBB6_9203
; %bb.9202:                             ;   in Loop: Header=BB6_8318 Depth=3
	v_clz_i32_u32_e32 v1, v2
	s_delay_alu instid0(VALU_DEP_1) | instskip(SKIP_1) | instid1(VALU_DEP_2)
	v_min_u32_e32 v1, 32, v1
	v_mov_b32_e32 v31, v21
	v_subrev_nc_u32_e32 v2, 29, v1
	v_sub_nc_u32_e32 v1, 30, v1
	s_delay_alu instid0(VALU_DEP_2) | instskip(NEXT) | instid1(VALU_DEP_1)
	v_lshlrev_b64_e32 v[2:3], v2, v[30:31]
	v_and_b32_e32 v2, 3, v2
.LBB6_9203:                             ;   in Loop: Header=BB6_8318 Depth=3
	s_or_b32 exec_lo, exec_lo, s73
	v_bfe_i32 v3, v30, 0, 16
                                        ; implicit-def: $vgpr30
	s_delay_alu instid0(VALU_DEP_1) | instskip(NEXT) | instid1(VALU_DEP_1)
	v_and_b32_e32 v3, 0x80000000, v3
	v_lshl_add_u32 v1, v1, 23, v3
	s_delay_alu instid0(VALU_DEP_1) | instskip(NEXT) | instid1(VALU_DEP_1)
	v_lshl_or_b32 v1, v2, 21, v1
                                        ; implicit-def: $vgpr2
	v_add_nc_u32_e32 v1, 0x38000000, v1
.LBB6_9204:                             ;   in Loop: Header=BB6_8318 Depth=3
	s_and_not1_saveexec_b32 s73, s13
; %bb.9205:                             ;   in Loop: Header=BB6_8318 Depth=3
	v_cmp_lt_i16_e64 s13, -1, v30
	v_mov_b32_e32 v1, 0x7f800000
	v_cmp_eq_u32_e32 vcc_lo, 0, v2
	s_delay_alu instid0(VALU_DEP_2) | instskip(NEXT) | instid1(VALU_DEP_1)
	v_cndmask_b32_e64 v1, 0xff800000, v1, s13
	v_cndmask_b32_e32 v1, 0x7f800001, v1, vcc_lo
; %bb.9206:                             ;   in Loop: Header=BB6_8318 Depth=3
	s_or_b32 exec_lo, exec_lo, s73
.LBB6_9207:                             ;   in Loop: Header=BB6_8318 Depth=3
	s_delay_alu instid0(SALU_CYCLE_1)
	s_or_b32 exec_lo, exec_lo, s72
.LBB6_9208:                             ;   in Loop: Header=BB6_8318 Depth=3
	s_delay_alu instid0(SALU_CYCLE_1) | instskip(NEXT) | instid1(SALU_CYCLE_1)
	s_or_b32 exec_lo, exec_lo, s43
	s_mov_b32 s43, exec_lo
	v_cmpx_ne_u16_e32 0, v54
	s_cbranch_execz .LBB6_9218
; %bb.9209:                             ;   in Loop: Header=BB6_8318 Depth=3
	v_bfrev_b32_e32 v0, 1
	s_mov_b32 s72, exec_lo
	v_cmpx_ne_u16_e32 0xff80, v54
	s_cbranch_execz .LBB6_9217
; %bb.9210:                             ;   in Loop: Header=BB6_8318 Depth=3
	v_and_b32_e32 v0, 0x7c, v54
	v_and_b32_e32 v2, 3, v54
	s_delay_alu instid0(VALU_DEP_2) | instskip(SKIP_1) | instid1(SALU_CYCLE_1)
	v_cmp_ne_u32_e32 vcc_lo, 0x7c, v0
                                        ; implicit-def: $vgpr0
	s_and_saveexec_b32 s13, vcc_lo
	s_xor_b32 s13, exec_lo, s13
	s_cbranch_execz .LBB6_9214
; %bb.9211:                             ;   in Loop: Header=BB6_8318 Depth=3
	v_and_b32_e32 v0, 0xff, v54
	s_mov_b32 s73, exec_lo
	s_delay_alu instid0(VALU_DEP_1) | instskip(NEXT) | instid1(VALU_DEP_1)
	v_bfe_u32 v0, v0, 2, 5
	v_cmpx_eq_u32_e32 0, v0
	s_cbranch_execz .LBB6_9213
; %bb.9212:                             ;   in Loop: Header=BB6_8318 Depth=3
	v_clz_i32_u32_e32 v0, v2
	s_delay_alu instid0(VALU_DEP_1) | instskip(SKIP_1) | instid1(VALU_DEP_2)
	v_min_u32_e32 v0, 32, v0
	v_mov_b32_e32 v55, v21
	v_subrev_nc_u32_e32 v2, 29, v0
	v_sub_nc_u32_e32 v0, 30, v0
	s_delay_alu instid0(VALU_DEP_2) | instskip(NEXT) | instid1(VALU_DEP_1)
	v_lshlrev_b64_e32 v[2:3], v2, v[54:55]
	v_and_b32_e32 v2, 3, v2
.LBB6_9213:                             ;   in Loop: Header=BB6_8318 Depth=3
	s_or_b32 exec_lo, exec_lo, s73
	v_bfe_i32 v3, v54, 0, 16
                                        ; implicit-def: $vgpr54
	s_delay_alu instid0(VALU_DEP_1) | instskip(NEXT) | instid1(VALU_DEP_1)
	v_and_b32_e32 v3, 0x80000000, v3
	v_lshl_add_u32 v0, v0, 23, v3
	s_delay_alu instid0(VALU_DEP_1) | instskip(NEXT) | instid1(VALU_DEP_1)
	v_lshl_or_b32 v0, v2, 21, v0
                                        ; implicit-def: $vgpr2
	v_add_nc_u32_e32 v0, 0x38000000, v0
.LBB6_9214:                             ;   in Loop: Header=BB6_8318 Depth=3
	s_and_not1_saveexec_b32 s73, s13
; %bb.9215:                             ;   in Loop: Header=BB6_8318 Depth=3
	v_cmp_lt_i16_e64 s13, -1, v54
	v_mov_b32_e32 v0, 0x7f800000
	v_cmp_eq_u32_e32 vcc_lo, 0, v2
	s_delay_alu instid0(VALU_DEP_2) | instskip(NEXT) | instid1(VALU_DEP_1)
	v_cndmask_b32_e64 v0, 0xff800000, v0, s13
	v_cndmask_b32_e32 v0, 0x7f800001, v0, vcc_lo
; %bb.9216:                             ;   in Loop: Header=BB6_8318 Depth=3
	s_or_b32 exec_lo, exec_lo, s73
.LBB6_9217:                             ;   in Loop: Header=BB6_8318 Depth=3
	s_delay_alu instid0(SALU_CYCLE_1)
	s_or_b32 exec_lo, exec_lo, s72
.LBB6_9218:                             ;   in Loop: Header=BB6_8318 Depth=3
	s_delay_alu instid0(SALU_CYCLE_1) | instskip(NEXT) | instid1(VALU_DEP_1)
	s_or_b32 exec_lo, exec_lo, s43
	v_mul_f32_e32 v2, v1, v0
	v_mov_b32_e32 v1, v21
                                        ; implicit-def: $vgpr28
	s_delay_alu instid0(VALU_DEP_2) | instskip(NEXT) | instid1(VALU_DEP_1)
	v_and_b32_e32 v0, 0x7f800000, v2
	v_cmp_ne_u64_e32 vcc_lo, 0x7f800000, v[0:1]
	v_and_b32_e32 v0, 0x7fffff, v2
	s_and_saveexec_b32 s13, vcc_lo
	s_delay_alu instid0(SALU_CYCLE_1)
	s_xor_b32 s43, exec_lo, s13
	s_cbranch_execz .LBB6_9236
; %bb.9219:                             ;   in Loop: Header=BB6_8318 Depth=3
	v_and_b32_e32 v28, 0x7fffffff, v2
	v_dual_mov_b32 v29, v21 :: v_dual_lshrrev_b32 v3, 24, v2
	s_delay_alu instid0(VALU_DEP_1) | instskip(NEXT) | instid1(VALU_DEP_2)
	v_cmp_gt_u64_e32 vcc_lo, 0x47600001, v[28:29]
	v_and_b32_e32 v29, 0x80, v3
                                        ; implicit-def: $vgpr28
	s_and_saveexec_b32 s13, vcc_lo
	s_delay_alu instid0(SALU_CYCLE_1)
	s_xor_b32 s72, exec_lo, s13
	s_cbranch_execz .LBB6_9233
; %bb.9220:                             ;   in Loop: Header=BB6_8318 Depth=3
	v_mov_b32_e32 v28, 0
	s_mov_b32 s73, exec_lo
	v_cmpx_ne_u32_e32 0, v2
	s_cbranch_execz .LBB6_9232
; %bb.9221:                             ;   in Loop: Header=BB6_8318 Depth=3
	v_bfe_u32 v28, v2, 23, 8
	v_or_b32_e32 v3, 0x800000, v0
	s_delay_alu instid0(VALU_DEP_2) | instskip(SKIP_2) | instid1(VALU_DEP_2)
	v_cmp_gt_u32_e64 s13, 0x72, v28
	v_sub_nc_u32_e32 v2, 0x71, v28
	v_cmp_eq_u32_e32 vcc_lo, 0, v28
	v_dual_cndmask_b32 v2, 0, v2, s13 :: v_dual_cndmask_b32 v0, v3, v0, vcc_lo
	s_delay_alu instid0(VALU_DEP_1) | instskip(NEXT) | instid1(VALU_DEP_1)
	v_cndmask_b32_e64 v30, v2, 0x70, vcc_lo
	v_dual_add_nc_u32 v2, 21, v30 :: v_dual_add_nc_u32 v31, 20, v30
	s_delay_alu instid0(VALU_DEP_1) | instskip(NEXT) | instid1(VALU_DEP_2)
	v_lshlrev_b64_e64 v[2:3], v2, -1
	v_lshlrev_b64_e64 v[32:33], v31, 1
	s_delay_alu instid0(VALU_DEP_2) | instskip(SKIP_1) | instid1(VALU_DEP_4)
	v_bfi_b32 v2, v2, 0, v0
	v_lshrrev_b64 v[0:1], v30, v[0:1]
	v_bfi_b32 v3, v3, 0, 0
	s_delay_alu instid0(VALU_DEP_1) | instskip(NEXT) | instid1(VALU_DEP_3)
	v_cmp_eq_u64_e64 s13, v[2:3], v[32:33]
	v_mov_b64_e32 v[2:3], v[0:1]
	s_and_saveexec_b32 s74, s13
; %bb.9222:                             ;   in Loop: Header=BB6_8318 Depth=3
	v_bfe_u32 v2, v0, 21, 1
	v_mov_b32_e32 v3, v21
	s_delay_alu instid0(VALU_DEP_1) | instskip(NEXT) | instid1(VALU_DEP_1)
	v_add_nc_u64_e32 v[2:3], v[0:1], v[2:3]
	v_add_nc_u64_e32 v[2:3], -1, v[2:3]
; %bb.9223:                             ;   in Loop: Header=BB6_8318 Depth=3
	s_or_b32 exec_lo, exec_lo, s74
	v_add_nc_u32_e32 v1, 0xffffff81, v28
	v_lshrrev_b32_e32 v3, 23, v0
	s_mov_b32 s13, exec_lo
	s_delay_alu instid0(VALU_DEP_2) | instskip(NEXT) | instid1(VALU_DEP_1)
	v_cndmask_b32_e64 v1, v1, 0xffffff82, vcc_lo
	v_add3_u32 v28, v30, v1, v3
	v_and_b32_e32 v1, 0x1fffff, v2
                                        ; implicit-def: $vgpr2
	s_delay_alu instid0(VALU_DEP_2) | instskip(NEXT) | instid1(VALU_DEP_2)
	v_add_nc_u32_e32 v3, 14, v28
	v_add_nc_u32_e32 v0, v1, v0
	v_mov_b32_e32 v1, v21
	s_delay_alu instid0(VALU_DEP_3)
	v_cmpx_ne_u32_e32 0, v3
	s_xor_b32 s13, exec_lo, s13
; %bb.9224:                             ;   in Loop: Header=BB6_8318 Depth=3
	s_delay_alu instid0(VALU_DEP_2) | instskip(SKIP_1) | instid1(VALU_DEP_1)
	v_cmp_lt_u64_e32 vcc_lo, 0xffffff, v[0:1]
	v_add_nc_u32_e32 v2, 15, v28
	v_cndmask_b32_e32 v2, v3, v2, vcc_lo
	v_cndmask_b32_e64 v3, 0, 1, vcc_lo
	s_delay_alu instid0(VALU_DEP_1)
	v_lshrrev_b64 v[0:1], v3, v[0:1]
; %bb.9225:                             ;   in Loop: Header=BB6_8318 Depth=3
	s_and_not1_saveexec_b32 s13, s13
; %bb.9226:                             ;   in Loop: Header=BB6_8318 Depth=3
	s_delay_alu instid0(VALU_DEP_1)
	v_bfe_u32 v2, v0, 23, 1
; %bb.9227:                             ;   in Loop: Header=BB6_8318 Depth=3
	s_or_b32 exec_lo, exec_lo, s13
	s_delay_alu instid0(VALU_DEP_2) | instskip(NEXT) | instid1(VALU_DEP_2)
	v_lshrrev_b64 v[0:1], 21, v[0:1]
	v_cmp_gt_i32_e32 vcc_lo, 32, v2
	v_cmp_ne_u32_e64 s13, 0, v2
                                        ; implicit-def: $vgpr28
	s_delay_alu instid0(VALU_DEP_3) | instskip(NEXT) | instid1(VALU_DEP_1)
	v_dual_cndmask_b32 v1, 0, v1 :: v_dual_cndmask_b32 v0, 3, v0
	v_cmp_ne_u64_e32 vcc_lo, 0, v[0:1]
	s_or_b32 s13, s13, vcc_lo
	s_delay_alu instid0(SALU_CYCLE_1) | instskip(NEXT) | instid1(SALU_CYCLE_1)
	s_and_saveexec_b32 s74, s13
	s_xor_b32 s13, exec_lo, s74
; %bb.9228:                             ;   in Loop: Header=BB6_8318 Depth=3
	v_min_i32_e32 v1, 31, v2
	s_delay_alu instid0(VALU_DEP_1) | instskip(NEXT) | instid1(VALU_DEP_1)
	v_lshl_or_b32 v1, v1, 2, v29
                                        ; implicit-def: $vgpr29
	v_and_or_b32 v28, v0, 3, v1
; %bb.9229:                             ;   in Loop: Header=BB6_8318 Depth=3
	s_and_not1_saveexec_b32 s13, s13
; %bb.9230:                             ;   in Loop: Header=BB6_8318 Depth=3
	v_mov_b32_e32 v28, v29
; %bb.9231:                             ;   in Loop: Header=BB6_8318 Depth=3
	s_or_b32 exec_lo, exec_lo, s13
.LBB6_9232:                             ;   in Loop: Header=BB6_8318 Depth=3
	s_delay_alu instid0(SALU_CYCLE_1)
	s_or_b32 exec_lo, exec_lo, s73
                                        ; implicit-def: $vgpr29
.LBB6_9233:                             ;   in Loop: Header=BB6_8318 Depth=3
	s_and_not1_saveexec_b32 s13, s72
; %bb.9234:                             ;   in Loop: Header=BB6_8318 Depth=3
	v_or_b32_e32 v28, 0x7b, v29
; %bb.9235:                             ;   in Loop: Header=BB6_8318 Depth=3
	s_or_b32 exec_lo, exec_lo, s13
                                        ; implicit-def: $vgpr2
                                        ; implicit-def: $vgpr0_vgpr1
.LBB6_9236:                             ;   in Loop: Header=BB6_8318 Depth=3
	s_and_not1_saveexec_b32 s13, s43
	s_cbranch_execz .LBB6_9242
; %bb.9237:                             ;   in Loop: Header=BB6_8318 Depth=3
	s_mov_b32 s43, exec_lo
                                        ; implicit-def: $vgpr28
	v_cmpx_ne_u64_e32 0, v[0:1]
	s_xor_b32 s43, exec_lo, s43
; %bb.9238:                             ;   in Loop: Header=BB6_8318 Depth=3
	v_lshrrev_b32_e32 v0, 24, v2
                                        ; implicit-def: $vgpr2
	s_delay_alu instid0(VALU_DEP_1)
	v_or_b32_e32 v28, 0x7f, v0
; %bb.9239:                             ;   in Loop: Header=BB6_8318 Depth=3
	s_and_not1_saveexec_b32 s43, s43
; %bb.9240:                             ;   in Loop: Header=BB6_8318 Depth=3
	v_cmp_lt_i32_e32 vcc_lo, -1, v2
	v_cndmask_b32_e64 v28, -4, 0x7c, vcc_lo
; %bb.9241:                             ;   in Loop: Header=BB6_8318 Depth=3
	s_or_b32 exec_lo, exec_lo, s43
.LBB6_9242:                             ;   in Loop: Header=BB6_8318 Depth=3
	s_delay_alu instid0(SALU_CYCLE_1)
	s_or_b32 exec_lo, exec_lo, s13
	v_dual_mov_b32 v0, 0 :: v_dual_mov_b32 v1, 0
	s_mov_b32 s43, exec_lo
	v_cmpx_ne_u16_e32 0, v52
	s_cbranch_execz .LBB6_9252
; %bb.9243:                             ;   in Loop: Header=BB6_8318 Depth=3
	v_bfrev_b32_e32 v1, 1
	s_mov_b32 s72, exec_lo
	v_cmpx_ne_u16_e32 0xff80, v52
	s_cbranch_execz .LBB6_9251
; %bb.9244:                             ;   in Loop: Header=BB6_8318 Depth=3
	v_and_b32_e32 v1, 0x7c, v52
	v_and_b32_e32 v2, 3, v52
	s_delay_alu instid0(VALU_DEP_2) | instskip(SKIP_1) | instid1(SALU_CYCLE_1)
	v_cmp_ne_u32_e32 vcc_lo, 0x7c, v1
                                        ; implicit-def: $vgpr1
	s_and_saveexec_b32 s13, vcc_lo
	s_xor_b32 s13, exec_lo, s13
	s_cbranch_execz .LBB6_9248
; %bb.9245:                             ;   in Loop: Header=BB6_8318 Depth=3
	v_and_b32_e32 v1, 0xff, v52
	s_mov_b32 s73, exec_lo
	s_delay_alu instid0(VALU_DEP_1) | instskip(NEXT) | instid1(VALU_DEP_1)
	v_bfe_u32 v1, v1, 2, 5
	v_cmpx_eq_u32_e32 0, v1
	s_cbranch_execz .LBB6_9247
; %bb.9246:                             ;   in Loop: Header=BB6_8318 Depth=3
	v_clz_i32_u32_e32 v1, v2
	s_delay_alu instid0(VALU_DEP_1) | instskip(SKIP_1) | instid1(VALU_DEP_2)
	v_min_u32_e32 v1, 32, v1
	v_mov_b32_e32 v53, v21
	v_subrev_nc_u32_e32 v2, 29, v1
	v_sub_nc_u32_e32 v1, 30, v1
	s_delay_alu instid0(VALU_DEP_2) | instskip(NEXT) | instid1(VALU_DEP_1)
	v_lshlrev_b64_e32 v[2:3], v2, v[52:53]
	v_and_b32_e32 v2, 3, v2
.LBB6_9247:                             ;   in Loop: Header=BB6_8318 Depth=3
	s_or_b32 exec_lo, exec_lo, s73
	v_bfe_i32 v3, v52, 0, 16
                                        ; implicit-def: $vgpr52
	s_delay_alu instid0(VALU_DEP_1) | instskip(NEXT) | instid1(VALU_DEP_1)
	v_and_b32_e32 v3, 0x80000000, v3
	v_lshl_add_u32 v1, v1, 23, v3
	s_delay_alu instid0(VALU_DEP_1) | instskip(NEXT) | instid1(VALU_DEP_1)
	v_lshl_or_b32 v1, v2, 21, v1
                                        ; implicit-def: $vgpr2
	v_add_nc_u32_e32 v1, 0x38000000, v1
.LBB6_9248:                             ;   in Loop: Header=BB6_8318 Depth=3
	s_and_not1_saveexec_b32 s73, s13
; %bb.9249:                             ;   in Loop: Header=BB6_8318 Depth=3
	v_cmp_lt_i16_e64 s13, -1, v52
	v_mov_b32_e32 v1, 0x7f800000
	v_cmp_eq_u32_e32 vcc_lo, 0, v2
	s_delay_alu instid0(VALU_DEP_2) | instskip(NEXT) | instid1(VALU_DEP_1)
	v_cndmask_b32_e64 v1, 0xff800000, v1, s13
	v_cndmask_b32_e32 v1, 0x7f800001, v1, vcc_lo
; %bb.9250:                             ;   in Loop: Header=BB6_8318 Depth=3
	s_or_b32 exec_lo, exec_lo, s73
.LBB6_9251:                             ;   in Loop: Header=BB6_8318 Depth=3
	s_delay_alu instid0(SALU_CYCLE_1)
	s_or_b32 exec_lo, exec_lo, s72
.LBB6_9252:                             ;   in Loop: Header=BB6_8318 Depth=3
	s_delay_alu instid0(SALU_CYCLE_1) | instskip(NEXT) | instid1(SALU_CYCLE_1)
	s_or_b32 exec_lo, exec_lo, s43
	s_mov_b32 s43, exec_lo
	v_cmpx_ne_u16_e32 0, v124
	s_cbranch_execz .LBB6_9262
; %bb.9253:                             ;   in Loop: Header=BB6_8318 Depth=3
	v_bfrev_b32_e32 v0, 1
	s_mov_b32 s72, exec_lo
	v_cmpx_ne_u16_e32 0xff80, v124
	s_cbranch_execz .LBB6_9261
; %bb.9254:                             ;   in Loop: Header=BB6_8318 Depth=3
	v_and_b32_e32 v0, 0x7c, v124
	v_and_b32_e32 v2, 3, v124
	s_delay_alu instid0(VALU_DEP_2) | instskip(SKIP_1) | instid1(SALU_CYCLE_1)
	v_cmp_ne_u32_e32 vcc_lo, 0x7c, v0
                                        ; implicit-def: $vgpr0
	s_and_saveexec_b32 s13, vcc_lo
	s_xor_b32 s13, exec_lo, s13
	s_cbranch_execz .LBB6_9258
; %bb.9255:                             ;   in Loop: Header=BB6_8318 Depth=3
	v_and_b32_e32 v0, 0xff, v124
	s_mov_b32 s73, exec_lo
	s_delay_alu instid0(VALU_DEP_1) | instskip(NEXT) | instid1(VALU_DEP_1)
	v_bfe_u32 v0, v0, 2, 5
	v_cmpx_eq_u32_e32 0, v0
	s_cbranch_execz .LBB6_9257
; %bb.9256:                             ;   in Loop: Header=BB6_8318 Depth=3
	v_clz_i32_u32_e32 v0, v2
	s_delay_alu instid0(VALU_DEP_1) | instskip(SKIP_1) | instid1(VALU_DEP_2)
	v_min_u32_e32 v0, 32, v0
	v_mov_b32_e32 v125, v21
	v_subrev_nc_u32_e32 v2, 29, v0
	v_sub_nc_u32_e32 v0, 30, v0
	s_delay_alu instid0(VALU_DEP_2) | instskip(NEXT) | instid1(VALU_DEP_1)
	v_lshlrev_b64_e32 v[2:3], v2, v[124:125]
	v_and_b32_e32 v2, 3, v2
.LBB6_9257:                             ;   in Loop: Header=BB6_8318 Depth=3
	s_or_b32 exec_lo, exec_lo, s73
	v_bfe_i32 v3, v124, 0, 16
                                        ; implicit-def: $vgpr124
	s_delay_alu instid0(VALU_DEP_1) | instskip(NEXT) | instid1(VALU_DEP_1)
	v_and_b32_e32 v3, 0x80000000, v3
	v_lshl_add_u32 v0, v0, 23, v3
	s_delay_alu instid0(VALU_DEP_1) | instskip(NEXT) | instid1(VALU_DEP_1)
	v_lshl_or_b32 v0, v2, 21, v0
                                        ; implicit-def: $vgpr2
	v_add_nc_u32_e32 v0, 0x38000000, v0
.LBB6_9258:                             ;   in Loop: Header=BB6_8318 Depth=3
	s_and_not1_saveexec_b32 s73, s13
; %bb.9259:                             ;   in Loop: Header=BB6_8318 Depth=3
	v_cmp_lt_i16_e64 s13, -1, v124
	v_mov_b32_e32 v0, 0x7f800000
	v_cmp_eq_u32_e32 vcc_lo, 0, v2
	s_delay_alu instid0(VALU_DEP_2) | instskip(NEXT) | instid1(VALU_DEP_1)
	v_cndmask_b32_e64 v0, 0xff800000, v0, s13
	v_cndmask_b32_e32 v0, 0x7f800001, v0, vcc_lo
; %bb.9260:                             ;   in Loop: Header=BB6_8318 Depth=3
	s_or_b32 exec_lo, exec_lo, s73
.LBB6_9261:                             ;   in Loop: Header=BB6_8318 Depth=3
	s_delay_alu instid0(SALU_CYCLE_1)
	s_or_b32 exec_lo, exec_lo, s72
.LBB6_9262:                             ;   in Loop: Header=BB6_8318 Depth=3
	s_delay_alu instid0(SALU_CYCLE_1) | instskip(NEXT) | instid1(VALU_DEP_1)
	s_or_b32 exec_lo, exec_lo, s43
	v_mul_f32_e32 v2, v1, v0
	v_mov_b32_e32 v1, v21
                                        ; implicit-def: $vgpr29
	s_delay_alu instid0(VALU_DEP_2) | instskip(NEXT) | instid1(VALU_DEP_1)
	v_and_b32_e32 v0, 0x7f800000, v2
	v_cmp_ne_u64_e32 vcc_lo, 0x7f800000, v[0:1]
	v_and_b32_e32 v0, 0x7fffff, v2
	s_and_saveexec_b32 s13, vcc_lo
	s_delay_alu instid0(SALU_CYCLE_1)
	s_xor_b32 s43, exec_lo, s13
	s_cbranch_execz .LBB6_9280
; %bb.9263:                             ;   in Loop: Header=BB6_8318 Depth=3
	v_and_b32_e32 v30, 0x7fffffff, v2
	v_dual_mov_b32 v31, v21 :: v_dual_lshrrev_b32 v3, 24, v2
                                        ; implicit-def: $vgpr29
	s_delay_alu instid0(VALU_DEP_1) | instskip(NEXT) | instid1(VALU_DEP_2)
	v_cmp_gt_u64_e32 vcc_lo, 0x47600001, v[30:31]
	v_and_b32_e32 v30, 0x80, v3
	s_and_saveexec_b32 s13, vcc_lo
	s_delay_alu instid0(SALU_CYCLE_1)
	s_xor_b32 s72, exec_lo, s13
	s_cbranch_execz .LBB6_9277
; %bb.9264:                             ;   in Loop: Header=BB6_8318 Depth=3
	v_mov_b32_e32 v29, 0
	s_mov_b32 s73, exec_lo
	v_cmpx_ne_u32_e32 0, v2
	s_cbranch_execz .LBB6_9276
; %bb.9265:                             ;   in Loop: Header=BB6_8318 Depth=3
	v_bfe_u32 v29, v2, 23, 8
	v_or_b32_e32 v3, 0x800000, v0
	s_delay_alu instid0(VALU_DEP_2) | instskip(SKIP_2) | instid1(VALU_DEP_2)
	v_cmp_gt_u32_e64 s13, 0x72, v29
	v_sub_nc_u32_e32 v2, 0x71, v29
	v_cmp_eq_u32_e32 vcc_lo, 0, v29
	v_dual_cndmask_b32 v2, 0, v2, s13 :: v_dual_cndmask_b32 v0, v3, v0, vcc_lo
	s_delay_alu instid0(VALU_DEP_1) | instskip(NEXT) | instid1(VALU_DEP_1)
	v_cndmask_b32_e64 v31, v2, 0x70, vcc_lo
	v_dual_add_nc_u32 v2, 21, v31 :: v_dual_add_nc_u32 v32, 20, v31
	s_delay_alu instid0(VALU_DEP_1) | instskip(NEXT) | instid1(VALU_DEP_2)
	v_lshlrev_b64_e64 v[2:3], v2, -1
	v_lshlrev_b64_e64 v[32:33], v32, 1
	s_delay_alu instid0(VALU_DEP_2) | instskip(SKIP_1) | instid1(VALU_DEP_4)
	v_bfi_b32 v2, v2, 0, v0
	v_lshrrev_b64 v[0:1], v31, v[0:1]
	v_bfi_b32 v3, v3, 0, 0
	s_delay_alu instid0(VALU_DEP_1) | instskip(NEXT) | instid1(VALU_DEP_3)
	v_cmp_eq_u64_e64 s13, v[2:3], v[32:33]
	v_mov_b64_e32 v[2:3], v[0:1]
	s_and_saveexec_b32 s74, s13
; %bb.9266:                             ;   in Loop: Header=BB6_8318 Depth=3
	v_bfe_u32 v2, v0, 21, 1
	v_mov_b32_e32 v3, v21
	s_delay_alu instid0(VALU_DEP_1) | instskip(NEXT) | instid1(VALU_DEP_1)
	v_add_nc_u64_e32 v[2:3], v[0:1], v[2:3]
	v_add_nc_u64_e32 v[2:3], -1, v[2:3]
; %bb.9267:                             ;   in Loop: Header=BB6_8318 Depth=3
	s_or_b32 exec_lo, exec_lo, s74
	v_add_nc_u32_e32 v1, 0xffffff81, v29
	v_lshrrev_b32_e32 v3, 23, v0
	s_mov_b32 s13, exec_lo
	s_delay_alu instid0(VALU_DEP_2) | instskip(NEXT) | instid1(VALU_DEP_1)
	v_cndmask_b32_e64 v1, v1, 0xffffff82, vcc_lo
	v_add3_u32 v29, v31, v1, v3
	v_and_b32_e32 v1, 0x1fffff, v2
                                        ; implicit-def: $vgpr2
	s_delay_alu instid0(VALU_DEP_1) | instskip(SKIP_1) | instid1(VALU_DEP_2)
	v_dual_add_nc_u32 v3, 14, v29 :: v_dual_add_nc_u32 v0, v1, v0
	v_mov_b32_e32 v1, v21
	v_cmpx_ne_u32_e32 0, v3
	s_xor_b32 s13, exec_lo, s13
; %bb.9268:                             ;   in Loop: Header=BB6_8318 Depth=3
	s_delay_alu instid0(VALU_DEP_2) | instskip(SKIP_1) | instid1(VALU_DEP_1)
	v_cmp_lt_u64_e32 vcc_lo, 0xffffff, v[0:1]
	v_add_nc_u32_e32 v2, 15, v29
	v_cndmask_b32_e32 v2, v3, v2, vcc_lo
	v_cndmask_b32_e64 v3, 0, 1, vcc_lo
	s_delay_alu instid0(VALU_DEP_1)
	v_lshrrev_b64 v[0:1], v3, v[0:1]
; %bb.9269:                             ;   in Loop: Header=BB6_8318 Depth=3
	s_and_not1_saveexec_b32 s13, s13
; %bb.9270:                             ;   in Loop: Header=BB6_8318 Depth=3
	s_delay_alu instid0(VALU_DEP_1)
	v_bfe_u32 v2, v0, 23, 1
; %bb.9271:                             ;   in Loop: Header=BB6_8318 Depth=3
	s_or_b32 exec_lo, exec_lo, s13
	s_delay_alu instid0(VALU_DEP_2) | instskip(NEXT) | instid1(VALU_DEP_2)
	v_lshrrev_b64 v[0:1], 21, v[0:1]
	v_cmp_gt_i32_e32 vcc_lo, 32, v2
	v_cmp_ne_u32_e64 s13, 0, v2
                                        ; implicit-def: $vgpr29
	s_delay_alu instid0(VALU_DEP_3) | instskip(NEXT) | instid1(VALU_DEP_1)
	v_dual_cndmask_b32 v1, 0, v1 :: v_dual_cndmask_b32 v0, 3, v0
	v_cmp_ne_u64_e32 vcc_lo, 0, v[0:1]
	s_or_b32 s13, s13, vcc_lo
	s_delay_alu instid0(SALU_CYCLE_1) | instskip(NEXT) | instid1(SALU_CYCLE_1)
	s_and_saveexec_b32 s74, s13
	s_xor_b32 s13, exec_lo, s74
; %bb.9272:                             ;   in Loop: Header=BB6_8318 Depth=3
	v_min_i32_e32 v1, 31, v2
	s_delay_alu instid0(VALU_DEP_1) | instskip(NEXT) | instid1(VALU_DEP_1)
	v_lshl_or_b32 v1, v1, 2, v30
                                        ; implicit-def: $vgpr30
	v_and_or_b32 v29, v0, 3, v1
; %bb.9273:                             ;   in Loop: Header=BB6_8318 Depth=3
	s_and_not1_saveexec_b32 s13, s13
; %bb.9274:                             ;   in Loop: Header=BB6_8318 Depth=3
	v_mov_b32_e32 v29, v30
; %bb.9275:                             ;   in Loop: Header=BB6_8318 Depth=3
	s_or_b32 exec_lo, exec_lo, s13
.LBB6_9276:                             ;   in Loop: Header=BB6_8318 Depth=3
	s_delay_alu instid0(SALU_CYCLE_1)
	s_or_b32 exec_lo, exec_lo, s73
                                        ; implicit-def: $vgpr30
.LBB6_9277:                             ;   in Loop: Header=BB6_8318 Depth=3
	s_and_not1_saveexec_b32 s13, s72
; %bb.9278:                             ;   in Loop: Header=BB6_8318 Depth=3
	v_or_b32_e32 v29, 0x7b, v30
; %bb.9279:                             ;   in Loop: Header=BB6_8318 Depth=3
	s_or_b32 exec_lo, exec_lo, s13
                                        ; implicit-def: $vgpr2
                                        ; implicit-def: $vgpr0_vgpr1
.LBB6_9280:                             ;   in Loop: Header=BB6_8318 Depth=3
	s_and_not1_saveexec_b32 s13, s43
	s_cbranch_execz .LBB6_9286
; %bb.9281:                             ;   in Loop: Header=BB6_8318 Depth=3
	s_mov_b32 s43, exec_lo
                                        ; implicit-def: $vgpr29
	v_cmpx_ne_u64_e32 0, v[0:1]
	s_xor_b32 s43, exec_lo, s43
; %bb.9282:                             ;   in Loop: Header=BB6_8318 Depth=3
	v_lshrrev_b32_e32 v0, 24, v2
                                        ; implicit-def: $vgpr2
	s_delay_alu instid0(VALU_DEP_1)
	v_or_b32_e32 v29, 0x7f, v0
; %bb.9283:                             ;   in Loop: Header=BB6_8318 Depth=3
	s_and_not1_saveexec_b32 s43, s43
; %bb.9284:                             ;   in Loop: Header=BB6_8318 Depth=3
	v_cmp_lt_i32_e32 vcc_lo, -1, v2
	v_cndmask_b32_e64 v29, -4, 0x7c, vcc_lo
; %bb.9285:                             ;   in Loop: Header=BB6_8318 Depth=3
	s_or_b32 exec_lo, exec_lo, s43
.LBB6_9286:                             ;   in Loop: Header=BB6_8318 Depth=3
	s_delay_alu instid0(SALU_CYCLE_1)
	s_or_b32 exec_lo, exec_lo, s13
	v_dual_mov_b32 v0, 0 :: v_dual_mov_b32 v1, 0
	s_mov_b32 s43, exec_lo
	v_cmpx_ne_u16_e32 0, v122
	s_cbranch_execz .LBB6_9296
; %bb.9287:                             ;   in Loop: Header=BB6_8318 Depth=3
	v_bfrev_b32_e32 v1, 1
	s_mov_b32 s72, exec_lo
	v_cmpx_ne_u16_e32 0xff80, v122
	s_cbranch_execz .LBB6_9295
; %bb.9288:                             ;   in Loop: Header=BB6_8318 Depth=3
	v_and_b32_e32 v1, 0x7c, v122
	v_and_b32_e32 v2, 3, v122
	s_delay_alu instid0(VALU_DEP_2) | instskip(SKIP_1) | instid1(SALU_CYCLE_1)
	v_cmp_ne_u32_e32 vcc_lo, 0x7c, v1
                                        ; implicit-def: $vgpr1
	s_and_saveexec_b32 s13, vcc_lo
	s_xor_b32 s13, exec_lo, s13
	s_cbranch_execz .LBB6_9292
; %bb.9289:                             ;   in Loop: Header=BB6_8318 Depth=3
	v_and_b32_e32 v1, 0xff, v122
	s_mov_b32 s73, exec_lo
	s_delay_alu instid0(VALU_DEP_1) | instskip(NEXT) | instid1(VALU_DEP_1)
	v_bfe_u32 v1, v1, 2, 5
	v_cmpx_eq_u32_e32 0, v1
	s_cbranch_execz .LBB6_9291
; %bb.9290:                             ;   in Loop: Header=BB6_8318 Depth=3
	v_clz_i32_u32_e32 v1, v2
	s_delay_alu instid0(VALU_DEP_1) | instskip(SKIP_1) | instid1(VALU_DEP_2)
	v_min_u32_e32 v1, 32, v1
	v_mov_b32_e32 v123, v21
	v_subrev_nc_u32_e32 v2, 29, v1
	v_sub_nc_u32_e32 v1, 30, v1
	s_delay_alu instid0(VALU_DEP_2) | instskip(NEXT) | instid1(VALU_DEP_1)
	v_lshlrev_b64_e32 v[2:3], v2, v[122:123]
	v_and_b32_e32 v2, 3, v2
.LBB6_9291:                             ;   in Loop: Header=BB6_8318 Depth=3
	s_or_b32 exec_lo, exec_lo, s73
	v_bfe_i32 v3, v122, 0, 16
                                        ; implicit-def: $vgpr122
	s_delay_alu instid0(VALU_DEP_1) | instskip(NEXT) | instid1(VALU_DEP_1)
	v_and_b32_e32 v3, 0x80000000, v3
	v_lshl_add_u32 v1, v1, 23, v3
	s_delay_alu instid0(VALU_DEP_1) | instskip(NEXT) | instid1(VALU_DEP_1)
	v_lshl_or_b32 v1, v2, 21, v1
                                        ; implicit-def: $vgpr2
	v_add_nc_u32_e32 v1, 0x38000000, v1
.LBB6_9292:                             ;   in Loop: Header=BB6_8318 Depth=3
	s_and_not1_saveexec_b32 s73, s13
; %bb.9293:                             ;   in Loop: Header=BB6_8318 Depth=3
	v_cmp_lt_i16_e64 s13, -1, v122
	v_mov_b32_e32 v1, 0x7f800000
	v_cmp_eq_u32_e32 vcc_lo, 0, v2
	s_delay_alu instid0(VALU_DEP_2) | instskip(NEXT) | instid1(VALU_DEP_1)
	v_cndmask_b32_e64 v1, 0xff800000, v1, s13
	v_cndmask_b32_e32 v1, 0x7f800001, v1, vcc_lo
; %bb.9294:                             ;   in Loop: Header=BB6_8318 Depth=3
	s_or_b32 exec_lo, exec_lo, s73
.LBB6_9295:                             ;   in Loop: Header=BB6_8318 Depth=3
	s_delay_alu instid0(SALU_CYCLE_1)
	s_or_b32 exec_lo, exec_lo, s72
.LBB6_9296:                             ;   in Loop: Header=BB6_8318 Depth=3
	s_delay_alu instid0(SALU_CYCLE_1) | instskip(NEXT) | instid1(SALU_CYCLE_1)
	s_or_b32 exec_lo, exec_lo, s43
	s_mov_b32 s43, exec_lo
	v_cmpx_ne_u16_e32 0, v120
	s_cbranch_execz .LBB6_9306
; %bb.9297:                             ;   in Loop: Header=BB6_8318 Depth=3
	v_bfrev_b32_e32 v0, 1
	s_mov_b32 s72, exec_lo
	v_cmpx_ne_u16_e32 0xff80, v120
	s_cbranch_execz .LBB6_9305
; %bb.9298:                             ;   in Loop: Header=BB6_8318 Depth=3
	v_and_b32_e32 v0, 0x7c, v120
	v_and_b32_e32 v2, 3, v120
	s_delay_alu instid0(VALU_DEP_2) | instskip(SKIP_1) | instid1(SALU_CYCLE_1)
	v_cmp_ne_u32_e32 vcc_lo, 0x7c, v0
                                        ; implicit-def: $vgpr0
	s_and_saveexec_b32 s13, vcc_lo
	s_xor_b32 s13, exec_lo, s13
	s_cbranch_execz .LBB6_9302
; %bb.9299:                             ;   in Loop: Header=BB6_8318 Depth=3
	v_and_b32_e32 v0, 0xff, v120
	s_mov_b32 s73, exec_lo
	s_delay_alu instid0(VALU_DEP_1) | instskip(NEXT) | instid1(VALU_DEP_1)
	v_bfe_u32 v0, v0, 2, 5
	v_cmpx_eq_u32_e32 0, v0
	s_cbranch_execz .LBB6_9301
; %bb.9300:                             ;   in Loop: Header=BB6_8318 Depth=3
	v_clz_i32_u32_e32 v0, v2
	s_delay_alu instid0(VALU_DEP_1) | instskip(SKIP_1) | instid1(VALU_DEP_2)
	v_min_u32_e32 v0, 32, v0
	v_mov_b32_e32 v121, v21
	v_subrev_nc_u32_e32 v2, 29, v0
	v_sub_nc_u32_e32 v0, 30, v0
	s_delay_alu instid0(VALU_DEP_2) | instskip(NEXT) | instid1(VALU_DEP_1)
	v_lshlrev_b64_e32 v[2:3], v2, v[120:121]
	v_and_b32_e32 v2, 3, v2
.LBB6_9301:                             ;   in Loop: Header=BB6_8318 Depth=3
	s_or_b32 exec_lo, exec_lo, s73
	v_bfe_i32 v3, v120, 0, 16
                                        ; implicit-def: $vgpr120
	s_delay_alu instid0(VALU_DEP_1) | instskip(NEXT) | instid1(VALU_DEP_1)
	v_and_b32_e32 v3, 0x80000000, v3
	v_lshl_add_u32 v0, v0, 23, v3
	s_delay_alu instid0(VALU_DEP_1) | instskip(NEXT) | instid1(VALU_DEP_1)
	v_lshl_or_b32 v0, v2, 21, v0
                                        ; implicit-def: $vgpr2
	v_add_nc_u32_e32 v0, 0x38000000, v0
.LBB6_9302:                             ;   in Loop: Header=BB6_8318 Depth=3
	s_and_not1_saveexec_b32 s73, s13
; %bb.9303:                             ;   in Loop: Header=BB6_8318 Depth=3
	v_cmp_lt_i16_e64 s13, -1, v120
	v_mov_b32_e32 v0, 0x7f800000
	v_cmp_eq_u32_e32 vcc_lo, 0, v2
	s_delay_alu instid0(VALU_DEP_2) | instskip(NEXT) | instid1(VALU_DEP_1)
	v_cndmask_b32_e64 v0, 0xff800000, v0, s13
	v_cndmask_b32_e32 v0, 0x7f800001, v0, vcc_lo
; %bb.9304:                             ;   in Loop: Header=BB6_8318 Depth=3
	s_or_b32 exec_lo, exec_lo, s73
.LBB6_9305:                             ;   in Loop: Header=BB6_8318 Depth=3
	s_delay_alu instid0(SALU_CYCLE_1)
	s_or_b32 exec_lo, exec_lo, s72
.LBB6_9306:                             ;   in Loop: Header=BB6_8318 Depth=3
	s_delay_alu instid0(SALU_CYCLE_1) | instskip(NEXT) | instid1(VALU_DEP_1)
	s_or_b32 exec_lo, exec_lo, s43
	v_mul_f32_e32 v2, v1, v0
	v_mov_b32_e32 v1, v21
                                        ; implicit-def: $vgpr30
	s_delay_alu instid0(VALU_DEP_2) | instskip(NEXT) | instid1(VALU_DEP_1)
	v_and_b32_e32 v0, 0x7f800000, v2
	v_cmp_ne_u64_e32 vcc_lo, 0x7f800000, v[0:1]
	v_and_b32_e32 v0, 0x7fffff, v2
	s_and_saveexec_b32 s13, vcc_lo
	s_delay_alu instid0(SALU_CYCLE_1)
	s_xor_b32 s43, exec_lo, s13
	s_cbranch_execz .LBB6_9324
; %bb.9307:                             ;   in Loop: Header=BB6_8318 Depth=3
	v_and_b32_e32 v30, 0x7fffffff, v2
	v_dual_mov_b32 v31, v21 :: v_dual_lshrrev_b32 v3, 24, v2
	s_delay_alu instid0(VALU_DEP_1) | instskip(NEXT) | instid1(VALU_DEP_2)
	v_cmp_gt_u64_e32 vcc_lo, 0x47600001, v[30:31]
	v_and_b32_e32 v31, 0x80, v3
                                        ; implicit-def: $vgpr30
	s_and_saveexec_b32 s13, vcc_lo
	s_delay_alu instid0(SALU_CYCLE_1)
	s_xor_b32 s72, exec_lo, s13
	s_cbranch_execz .LBB6_9321
; %bb.9308:                             ;   in Loop: Header=BB6_8318 Depth=3
	v_mov_b32_e32 v30, 0
	s_mov_b32 s73, exec_lo
	v_cmpx_ne_u32_e32 0, v2
	s_cbranch_execz .LBB6_9320
; %bb.9309:                             ;   in Loop: Header=BB6_8318 Depth=3
	v_bfe_u32 v30, v2, 23, 8
	v_or_b32_e32 v3, 0x800000, v0
	s_delay_alu instid0(VALU_DEP_2) | instskip(SKIP_2) | instid1(VALU_DEP_2)
	v_cmp_gt_u32_e64 s13, 0x72, v30
	v_sub_nc_u32_e32 v2, 0x71, v30
	v_cmp_eq_u32_e32 vcc_lo, 0, v30
	v_dual_cndmask_b32 v2, 0, v2, s13 :: v_dual_cndmask_b32 v0, v3, v0, vcc_lo
	s_delay_alu instid0(VALU_DEP_1) | instskip(NEXT) | instid1(VALU_DEP_1)
	v_cndmask_b32_e64 v33, v2, 0x70, vcc_lo
	v_dual_add_nc_u32 v2, 21, v33 :: v_dual_add_nc_u32 v32, 20, v33
	s_delay_alu instid0(VALU_DEP_1) | instskip(NEXT) | instid1(VALU_DEP_2)
	v_lshlrev_b64_e64 v[2:3], v2, -1
	v_lshlrev_b64_e64 v[52:53], v32, 1
	s_delay_alu instid0(VALU_DEP_2) | instskip(SKIP_1) | instid1(VALU_DEP_4)
	v_bfi_b32 v2, v2, 0, v0
	v_lshrrev_b64 v[0:1], v33, v[0:1]
	v_bfi_b32 v3, v3, 0, 0
	s_delay_alu instid0(VALU_DEP_1) | instskip(NEXT) | instid1(VALU_DEP_3)
	v_cmp_eq_u64_e64 s13, v[2:3], v[52:53]
	v_mov_b64_e32 v[2:3], v[0:1]
	s_and_saveexec_b32 s74, s13
; %bb.9310:                             ;   in Loop: Header=BB6_8318 Depth=3
	v_bfe_u32 v2, v0, 21, 1
	v_mov_b32_e32 v3, v21
	s_delay_alu instid0(VALU_DEP_1) | instskip(NEXT) | instid1(VALU_DEP_1)
	v_add_nc_u64_e32 v[2:3], v[0:1], v[2:3]
	v_add_nc_u64_e32 v[2:3], -1, v[2:3]
; %bb.9311:                             ;   in Loop: Header=BB6_8318 Depth=3
	s_or_b32 exec_lo, exec_lo, s74
	v_add_nc_u32_e32 v1, 0xffffff81, v30
	v_lshrrev_b32_e32 v3, 23, v0
	s_mov_b32 s13, exec_lo
	s_delay_alu instid0(VALU_DEP_2) | instskip(NEXT) | instid1(VALU_DEP_1)
	v_cndmask_b32_e64 v1, v1, 0xffffff82, vcc_lo
	v_add3_u32 v30, v33, v1, v3
	v_and_b32_e32 v1, 0x1fffff, v2
                                        ; implicit-def: $vgpr2
	s_delay_alu instid0(VALU_DEP_1) | instskip(SKIP_1) | instid1(VALU_DEP_2)
	v_dual_add_nc_u32 v3, 14, v30 :: v_dual_add_nc_u32 v0, v1, v0
	v_mov_b32_e32 v1, v21
	v_cmpx_ne_u32_e32 0, v3
	s_xor_b32 s13, exec_lo, s13
; %bb.9312:                             ;   in Loop: Header=BB6_8318 Depth=3
	s_delay_alu instid0(VALU_DEP_2) | instskip(SKIP_1) | instid1(VALU_DEP_1)
	v_cmp_lt_u64_e32 vcc_lo, 0xffffff, v[0:1]
	v_add_nc_u32_e32 v2, 15, v30
	v_cndmask_b32_e32 v2, v3, v2, vcc_lo
	v_cndmask_b32_e64 v3, 0, 1, vcc_lo
	s_delay_alu instid0(VALU_DEP_1)
	v_lshrrev_b64 v[0:1], v3, v[0:1]
; %bb.9313:                             ;   in Loop: Header=BB6_8318 Depth=3
	s_and_not1_saveexec_b32 s13, s13
; %bb.9314:                             ;   in Loop: Header=BB6_8318 Depth=3
	s_delay_alu instid0(VALU_DEP_1)
	v_bfe_u32 v2, v0, 23, 1
; %bb.9315:                             ;   in Loop: Header=BB6_8318 Depth=3
	s_or_b32 exec_lo, exec_lo, s13
	s_delay_alu instid0(VALU_DEP_2) | instskip(NEXT) | instid1(VALU_DEP_2)
	v_lshrrev_b64 v[0:1], 21, v[0:1]
	v_cmp_gt_i32_e32 vcc_lo, 32, v2
	v_cmp_ne_u32_e64 s13, 0, v2
                                        ; implicit-def: $vgpr30
	s_delay_alu instid0(VALU_DEP_3) | instskip(NEXT) | instid1(VALU_DEP_1)
	v_dual_cndmask_b32 v1, 0, v1 :: v_dual_cndmask_b32 v0, 3, v0
	v_cmp_ne_u64_e32 vcc_lo, 0, v[0:1]
	s_or_b32 s13, s13, vcc_lo
	s_delay_alu instid0(SALU_CYCLE_1) | instskip(NEXT) | instid1(SALU_CYCLE_1)
	s_and_saveexec_b32 s74, s13
	s_xor_b32 s13, exec_lo, s74
; %bb.9316:                             ;   in Loop: Header=BB6_8318 Depth=3
	v_min_i32_e32 v1, 31, v2
	s_delay_alu instid0(VALU_DEP_1) | instskip(NEXT) | instid1(VALU_DEP_1)
	v_lshl_or_b32 v1, v1, 2, v31
                                        ; implicit-def: $vgpr31
	v_and_or_b32 v30, v0, 3, v1
; %bb.9317:                             ;   in Loop: Header=BB6_8318 Depth=3
	s_and_not1_saveexec_b32 s13, s13
; %bb.9318:                             ;   in Loop: Header=BB6_8318 Depth=3
	v_mov_b32_e32 v30, v31
; %bb.9319:                             ;   in Loop: Header=BB6_8318 Depth=3
	s_or_b32 exec_lo, exec_lo, s13
.LBB6_9320:                             ;   in Loop: Header=BB6_8318 Depth=3
	s_delay_alu instid0(SALU_CYCLE_1)
	s_or_b32 exec_lo, exec_lo, s73
                                        ; implicit-def: $vgpr31
.LBB6_9321:                             ;   in Loop: Header=BB6_8318 Depth=3
	s_and_not1_saveexec_b32 s13, s72
; %bb.9322:                             ;   in Loop: Header=BB6_8318 Depth=3
	v_or_b32_e32 v30, 0x7b, v31
; %bb.9323:                             ;   in Loop: Header=BB6_8318 Depth=3
	s_or_b32 exec_lo, exec_lo, s13
                                        ; implicit-def: $vgpr2
                                        ; implicit-def: $vgpr0_vgpr1
.LBB6_9324:                             ;   in Loop: Header=BB6_8318 Depth=3
	s_and_not1_saveexec_b32 s13, s43
	s_cbranch_execz .LBB6_9330
; %bb.9325:                             ;   in Loop: Header=BB6_8318 Depth=3
	s_mov_b32 s43, exec_lo
                                        ; implicit-def: $vgpr30
	v_cmpx_ne_u64_e32 0, v[0:1]
	s_xor_b32 s43, exec_lo, s43
; %bb.9326:                             ;   in Loop: Header=BB6_8318 Depth=3
	v_lshrrev_b32_e32 v0, 24, v2
                                        ; implicit-def: $vgpr2
	s_delay_alu instid0(VALU_DEP_1)
	v_or_b32_e32 v30, 0x7f, v0
; %bb.9327:                             ;   in Loop: Header=BB6_8318 Depth=3
	s_and_not1_saveexec_b32 s43, s43
; %bb.9328:                             ;   in Loop: Header=BB6_8318 Depth=3
	v_cmp_lt_i32_e32 vcc_lo, -1, v2
	v_cndmask_b32_e64 v30, -4, 0x7c, vcc_lo
; %bb.9329:                             ;   in Loop: Header=BB6_8318 Depth=3
	s_or_b32 exec_lo, exec_lo, s43
.LBB6_9330:                             ;   in Loop: Header=BB6_8318 Depth=3
	s_delay_alu instid0(SALU_CYCLE_1)
	s_or_b32 exec_lo, exec_lo, s13
	v_dual_mov_b32 v0, 0 :: v_dual_mov_b32 v1, 0
	s_mov_b32 s43, exec_lo
	v_cmpx_ne_u16_e32 0, v110
	s_cbranch_execz .LBB6_9340
; %bb.9331:                             ;   in Loop: Header=BB6_8318 Depth=3
	v_bfrev_b32_e32 v1, 1
	s_mov_b32 s72, exec_lo
	v_cmpx_ne_u16_e32 0xff80, v110
	s_cbranch_execz .LBB6_9339
; %bb.9332:                             ;   in Loop: Header=BB6_8318 Depth=3
	v_and_b32_e32 v1, 0x7c, v110
	v_and_b32_e32 v2, 3, v110
	s_delay_alu instid0(VALU_DEP_2) | instskip(SKIP_1) | instid1(SALU_CYCLE_1)
	v_cmp_ne_u32_e32 vcc_lo, 0x7c, v1
                                        ; implicit-def: $vgpr1
	s_and_saveexec_b32 s13, vcc_lo
	s_xor_b32 s13, exec_lo, s13
	s_cbranch_execz .LBB6_9336
; %bb.9333:                             ;   in Loop: Header=BB6_8318 Depth=3
	v_and_b32_e32 v1, 0xff, v110
	s_mov_b32 s73, exec_lo
	s_delay_alu instid0(VALU_DEP_1) | instskip(NEXT) | instid1(VALU_DEP_1)
	v_bfe_u32 v1, v1, 2, 5
	v_cmpx_eq_u32_e32 0, v1
	s_cbranch_execz .LBB6_9335
; %bb.9334:                             ;   in Loop: Header=BB6_8318 Depth=3
	v_clz_i32_u32_e32 v1, v2
	s_delay_alu instid0(VALU_DEP_1) | instskip(SKIP_1) | instid1(VALU_DEP_2)
	v_min_u32_e32 v1, 32, v1
	v_mov_b32_e32 v111, v21
	v_subrev_nc_u32_e32 v2, 29, v1
	v_sub_nc_u32_e32 v1, 30, v1
	s_delay_alu instid0(VALU_DEP_2) | instskip(NEXT) | instid1(VALU_DEP_1)
	v_lshlrev_b64_e32 v[2:3], v2, v[110:111]
	v_and_b32_e32 v2, 3, v2
.LBB6_9335:                             ;   in Loop: Header=BB6_8318 Depth=3
	s_or_b32 exec_lo, exec_lo, s73
	v_bfe_i32 v3, v110, 0, 16
                                        ; implicit-def: $vgpr110
	s_delay_alu instid0(VALU_DEP_1) | instskip(NEXT) | instid1(VALU_DEP_1)
	v_and_b32_e32 v3, 0x80000000, v3
	v_lshl_add_u32 v1, v1, 23, v3
	s_delay_alu instid0(VALU_DEP_1) | instskip(NEXT) | instid1(VALU_DEP_1)
	v_lshl_or_b32 v1, v2, 21, v1
                                        ; implicit-def: $vgpr2
	v_add_nc_u32_e32 v1, 0x38000000, v1
.LBB6_9336:                             ;   in Loop: Header=BB6_8318 Depth=3
	s_and_not1_saveexec_b32 s73, s13
; %bb.9337:                             ;   in Loop: Header=BB6_8318 Depth=3
	v_cmp_lt_i16_e64 s13, -1, v110
	v_mov_b32_e32 v1, 0x7f800000
	v_cmp_eq_u32_e32 vcc_lo, 0, v2
	s_delay_alu instid0(VALU_DEP_2) | instskip(NEXT) | instid1(VALU_DEP_1)
	v_cndmask_b32_e64 v1, 0xff800000, v1, s13
	v_cndmask_b32_e32 v1, 0x7f800001, v1, vcc_lo
; %bb.9338:                             ;   in Loop: Header=BB6_8318 Depth=3
	s_or_b32 exec_lo, exec_lo, s73
.LBB6_9339:                             ;   in Loop: Header=BB6_8318 Depth=3
	s_delay_alu instid0(SALU_CYCLE_1)
	s_or_b32 exec_lo, exec_lo, s72
.LBB6_9340:                             ;   in Loop: Header=BB6_8318 Depth=3
	s_delay_alu instid0(SALU_CYCLE_1) | instskip(NEXT) | instid1(SALU_CYCLE_1)
	s_or_b32 exec_lo, exec_lo, s43
	s_mov_b32 s43, exec_lo
	v_cmpx_ne_u16_e32 0, v108
	s_cbranch_execz .LBB6_9350
; %bb.9341:                             ;   in Loop: Header=BB6_8318 Depth=3
	v_bfrev_b32_e32 v0, 1
	s_mov_b32 s72, exec_lo
	v_cmpx_ne_u16_e32 0xff80, v108
	s_cbranch_execz .LBB6_9349
; %bb.9342:                             ;   in Loop: Header=BB6_8318 Depth=3
	v_and_b32_e32 v0, 0x7c, v108
	v_and_b32_e32 v2, 3, v108
	s_delay_alu instid0(VALU_DEP_2) | instskip(SKIP_1) | instid1(SALU_CYCLE_1)
	v_cmp_ne_u32_e32 vcc_lo, 0x7c, v0
                                        ; implicit-def: $vgpr0
	s_and_saveexec_b32 s13, vcc_lo
	s_xor_b32 s13, exec_lo, s13
	s_cbranch_execz .LBB6_9346
; %bb.9343:                             ;   in Loop: Header=BB6_8318 Depth=3
	v_and_b32_e32 v0, 0xff, v108
	s_mov_b32 s73, exec_lo
	s_delay_alu instid0(VALU_DEP_1) | instskip(NEXT) | instid1(VALU_DEP_1)
	v_bfe_u32 v0, v0, 2, 5
	v_cmpx_eq_u32_e32 0, v0
	s_cbranch_execz .LBB6_9345
; %bb.9344:                             ;   in Loop: Header=BB6_8318 Depth=3
	v_clz_i32_u32_e32 v0, v2
	s_delay_alu instid0(VALU_DEP_1) | instskip(SKIP_1) | instid1(VALU_DEP_2)
	v_min_u32_e32 v0, 32, v0
	v_mov_b32_e32 v109, v21
	v_subrev_nc_u32_e32 v2, 29, v0
	v_sub_nc_u32_e32 v0, 30, v0
	s_delay_alu instid0(VALU_DEP_2) | instskip(NEXT) | instid1(VALU_DEP_1)
	v_lshlrev_b64_e32 v[2:3], v2, v[108:109]
	v_and_b32_e32 v2, 3, v2
.LBB6_9345:                             ;   in Loop: Header=BB6_8318 Depth=3
	s_or_b32 exec_lo, exec_lo, s73
	v_bfe_i32 v3, v108, 0, 16
                                        ; implicit-def: $vgpr108
	s_delay_alu instid0(VALU_DEP_1) | instskip(NEXT) | instid1(VALU_DEP_1)
	v_and_b32_e32 v3, 0x80000000, v3
	v_lshl_add_u32 v0, v0, 23, v3
	s_delay_alu instid0(VALU_DEP_1) | instskip(NEXT) | instid1(VALU_DEP_1)
	v_lshl_or_b32 v0, v2, 21, v0
                                        ; implicit-def: $vgpr2
	v_add_nc_u32_e32 v0, 0x38000000, v0
.LBB6_9346:                             ;   in Loop: Header=BB6_8318 Depth=3
	s_and_not1_saveexec_b32 s73, s13
; %bb.9347:                             ;   in Loop: Header=BB6_8318 Depth=3
	v_cmp_lt_i16_e64 s13, -1, v108
	v_mov_b32_e32 v0, 0x7f800000
	v_cmp_eq_u32_e32 vcc_lo, 0, v2
	s_delay_alu instid0(VALU_DEP_2) | instskip(NEXT) | instid1(VALU_DEP_1)
	v_cndmask_b32_e64 v0, 0xff800000, v0, s13
	v_cndmask_b32_e32 v0, 0x7f800001, v0, vcc_lo
; %bb.9348:                             ;   in Loop: Header=BB6_8318 Depth=3
	s_or_b32 exec_lo, exec_lo, s73
.LBB6_9349:                             ;   in Loop: Header=BB6_8318 Depth=3
	s_delay_alu instid0(SALU_CYCLE_1)
	s_or_b32 exec_lo, exec_lo, s72
.LBB6_9350:                             ;   in Loop: Header=BB6_8318 Depth=3
	s_delay_alu instid0(SALU_CYCLE_1) | instskip(NEXT) | instid1(VALU_DEP_1)
	s_or_b32 exec_lo, exec_lo, s43
	v_mul_f32_e32 v2, v1, v0
	v_mov_b32_e32 v1, v21
                                        ; implicit-def: $vgpr31
	s_delay_alu instid0(VALU_DEP_2) | instskip(NEXT) | instid1(VALU_DEP_1)
	v_and_b32_e32 v0, 0x7f800000, v2
	v_cmp_ne_u64_e32 vcc_lo, 0x7f800000, v[0:1]
	v_and_b32_e32 v0, 0x7fffff, v2
	s_and_saveexec_b32 s13, vcc_lo
	s_delay_alu instid0(SALU_CYCLE_1)
	s_xor_b32 s43, exec_lo, s13
	s_cbranch_execz .LBB6_9368
; %bb.9351:                             ;   in Loop: Header=BB6_8318 Depth=3
	v_and_b32_e32 v32, 0x7fffffff, v2
	v_dual_mov_b32 v33, v21 :: v_dual_lshrrev_b32 v3, 24, v2
                                        ; implicit-def: $vgpr31
	s_delay_alu instid0(VALU_DEP_1) | instskip(NEXT) | instid1(VALU_DEP_2)
	v_cmp_gt_u64_e32 vcc_lo, 0x47600001, v[32:33]
	v_and_b32_e32 v33, 0x80, v3
	s_and_saveexec_b32 s13, vcc_lo
	s_delay_alu instid0(SALU_CYCLE_1)
	s_xor_b32 s72, exec_lo, s13
	s_cbranch_execz .LBB6_9365
; %bb.9352:                             ;   in Loop: Header=BB6_8318 Depth=3
	v_mov_b32_e32 v31, 0
	s_mov_b32 s73, exec_lo
	v_cmpx_ne_u32_e32 0, v2
	s_cbranch_execz .LBB6_9364
; %bb.9353:                             ;   in Loop: Header=BB6_8318 Depth=3
	v_bfe_u32 v31, v2, 23, 8
	v_or_b32_e32 v3, 0x800000, v0
	s_delay_alu instid0(VALU_DEP_2) | instskip(SKIP_2) | instid1(VALU_DEP_2)
	v_cmp_gt_u32_e64 s13, 0x72, v31
	v_sub_nc_u32_e32 v2, 0x71, v31
	v_cmp_eq_u32_e32 vcc_lo, 0, v31
	v_dual_cndmask_b32 v2, 0, v2, s13 :: v_dual_cndmask_b32 v0, v3, v0, vcc_lo
	s_delay_alu instid0(VALU_DEP_1) | instskip(NEXT) | instid1(VALU_DEP_1)
	v_cndmask_b32_e64 v35, v2, 0x70, vcc_lo
	v_dual_add_nc_u32 v2, 21, v35 :: v_dual_add_nc_u32 v32, 20, v35
	s_delay_alu instid0(VALU_DEP_1) | instskip(NEXT) | instid1(VALU_DEP_2)
	v_lshlrev_b64_e64 v[2:3], v2, -1
	v_lshlrev_b64_e64 v[52:53], v32, 1
	s_delay_alu instid0(VALU_DEP_2) | instskip(SKIP_1) | instid1(VALU_DEP_4)
	v_bfi_b32 v2, v2, 0, v0
	v_lshrrev_b64 v[0:1], v35, v[0:1]
	v_bfi_b32 v3, v3, 0, 0
	s_delay_alu instid0(VALU_DEP_1) | instskip(NEXT) | instid1(VALU_DEP_3)
	v_cmp_eq_u64_e64 s13, v[2:3], v[52:53]
	v_mov_b64_e32 v[2:3], v[0:1]
	s_and_saveexec_b32 s74, s13
; %bb.9354:                             ;   in Loop: Header=BB6_8318 Depth=3
	v_bfe_u32 v2, v0, 21, 1
	v_mov_b32_e32 v3, v21
	s_delay_alu instid0(VALU_DEP_1) | instskip(NEXT) | instid1(VALU_DEP_1)
	v_add_nc_u64_e32 v[2:3], v[0:1], v[2:3]
	v_add_nc_u64_e32 v[2:3], -1, v[2:3]
; %bb.9355:                             ;   in Loop: Header=BB6_8318 Depth=3
	s_or_b32 exec_lo, exec_lo, s74
	v_add_nc_u32_e32 v1, 0xffffff81, v31
	v_lshrrev_b32_e32 v3, 23, v0
	s_mov_b32 s13, exec_lo
	s_delay_alu instid0(VALU_DEP_2) | instskip(NEXT) | instid1(VALU_DEP_1)
	v_cndmask_b32_e64 v1, v1, 0xffffff82, vcc_lo
	v_add3_u32 v31, v35, v1, v3
	v_and_b32_e32 v1, 0x1fffff, v2
                                        ; implicit-def: $vgpr2
	s_delay_alu instid0(VALU_DEP_1) | instskip(SKIP_1) | instid1(VALU_DEP_2)
	v_dual_add_nc_u32 v3, 14, v31 :: v_dual_add_nc_u32 v0, v1, v0
	v_mov_b32_e32 v1, v21
	v_cmpx_ne_u32_e32 0, v3
	s_xor_b32 s13, exec_lo, s13
; %bb.9356:                             ;   in Loop: Header=BB6_8318 Depth=3
	s_delay_alu instid0(VALU_DEP_2) | instskip(SKIP_1) | instid1(VALU_DEP_1)
	v_cmp_lt_u64_e32 vcc_lo, 0xffffff, v[0:1]
	v_add_nc_u32_e32 v2, 15, v31
	v_cndmask_b32_e32 v2, v3, v2, vcc_lo
	v_cndmask_b32_e64 v3, 0, 1, vcc_lo
	s_delay_alu instid0(VALU_DEP_1)
	v_lshrrev_b64 v[0:1], v3, v[0:1]
; %bb.9357:                             ;   in Loop: Header=BB6_8318 Depth=3
	s_and_not1_saveexec_b32 s13, s13
; %bb.9358:                             ;   in Loop: Header=BB6_8318 Depth=3
	s_delay_alu instid0(VALU_DEP_1)
	v_bfe_u32 v2, v0, 23, 1
; %bb.9359:                             ;   in Loop: Header=BB6_8318 Depth=3
	s_or_b32 exec_lo, exec_lo, s13
	s_delay_alu instid0(VALU_DEP_2) | instskip(NEXT) | instid1(VALU_DEP_2)
	v_lshrrev_b64 v[0:1], 21, v[0:1]
	v_cmp_gt_i32_e32 vcc_lo, 32, v2
	v_cmp_ne_u32_e64 s13, 0, v2
                                        ; implicit-def: $vgpr31
	s_delay_alu instid0(VALU_DEP_3) | instskip(NEXT) | instid1(VALU_DEP_1)
	v_dual_cndmask_b32 v1, 0, v1 :: v_dual_cndmask_b32 v0, 3, v0
	v_cmp_ne_u64_e32 vcc_lo, 0, v[0:1]
	s_or_b32 s13, s13, vcc_lo
	s_delay_alu instid0(SALU_CYCLE_1) | instskip(NEXT) | instid1(SALU_CYCLE_1)
	s_and_saveexec_b32 s74, s13
	s_xor_b32 s13, exec_lo, s74
; %bb.9360:                             ;   in Loop: Header=BB6_8318 Depth=3
	v_min_i32_e32 v1, 31, v2
	s_delay_alu instid0(VALU_DEP_1) | instskip(NEXT) | instid1(VALU_DEP_1)
	v_lshl_or_b32 v1, v1, 2, v33
                                        ; implicit-def: $vgpr33
	v_and_or_b32 v31, v0, 3, v1
; %bb.9361:                             ;   in Loop: Header=BB6_8318 Depth=3
	s_and_not1_saveexec_b32 s13, s13
; %bb.9362:                             ;   in Loop: Header=BB6_8318 Depth=3
	v_mov_b32_e32 v31, v33
; %bb.9363:                             ;   in Loop: Header=BB6_8318 Depth=3
	s_or_b32 exec_lo, exec_lo, s13
.LBB6_9364:                             ;   in Loop: Header=BB6_8318 Depth=3
	s_delay_alu instid0(SALU_CYCLE_1)
	s_or_b32 exec_lo, exec_lo, s73
                                        ; implicit-def: $vgpr33
.LBB6_9365:                             ;   in Loop: Header=BB6_8318 Depth=3
	s_and_not1_saveexec_b32 s13, s72
; %bb.9366:                             ;   in Loop: Header=BB6_8318 Depth=3
	v_or_b32_e32 v31, 0x7b, v33
; %bb.9367:                             ;   in Loop: Header=BB6_8318 Depth=3
	s_or_b32 exec_lo, exec_lo, s13
                                        ; implicit-def: $vgpr2
                                        ; implicit-def: $vgpr0_vgpr1
.LBB6_9368:                             ;   in Loop: Header=BB6_8318 Depth=3
	s_and_not1_saveexec_b32 s13, s43
	s_cbranch_execz .LBB6_9374
; %bb.9369:                             ;   in Loop: Header=BB6_8318 Depth=3
	s_mov_b32 s43, exec_lo
                                        ; implicit-def: $vgpr31
	v_cmpx_ne_u64_e32 0, v[0:1]
	s_xor_b32 s43, exec_lo, s43
; %bb.9370:                             ;   in Loop: Header=BB6_8318 Depth=3
	v_lshrrev_b32_e32 v0, 24, v2
                                        ; implicit-def: $vgpr2
	s_delay_alu instid0(VALU_DEP_1)
	v_or_b32_e32 v31, 0x7f, v0
; %bb.9371:                             ;   in Loop: Header=BB6_8318 Depth=3
	s_and_not1_saveexec_b32 s43, s43
; %bb.9372:                             ;   in Loop: Header=BB6_8318 Depth=3
	v_cmp_lt_i32_e32 vcc_lo, -1, v2
	v_cndmask_b32_e64 v31, -4, 0x7c, vcc_lo
; %bb.9373:                             ;   in Loop: Header=BB6_8318 Depth=3
	s_or_b32 exec_lo, exec_lo, s43
.LBB6_9374:                             ;   in Loop: Header=BB6_8318 Depth=3
	s_delay_alu instid0(SALU_CYCLE_1)
	s_or_b32 exec_lo, exec_lo, s13
	v_dual_mov_b32 v0, 0 :: v_dual_mov_b32 v1, 0
	s_mov_b32 s43, exec_lo
	v_cmpx_ne_u16_e32 0, v106
	s_cbranch_execz .LBB6_9384
; %bb.9375:                             ;   in Loop: Header=BB6_8318 Depth=3
	v_bfrev_b32_e32 v1, 1
	s_mov_b32 s72, exec_lo
	v_cmpx_ne_u16_e32 0xff80, v106
	s_cbranch_execz .LBB6_9383
; %bb.9376:                             ;   in Loop: Header=BB6_8318 Depth=3
	v_and_b32_e32 v1, 0x7c, v106
	v_and_b32_e32 v2, 3, v106
	s_delay_alu instid0(VALU_DEP_2) | instskip(SKIP_1) | instid1(SALU_CYCLE_1)
	v_cmp_ne_u32_e32 vcc_lo, 0x7c, v1
                                        ; implicit-def: $vgpr1
	s_and_saveexec_b32 s13, vcc_lo
	s_xor_b32 s13, exec_lo, s13
	s_cbranch_execz .LBB6_9380
; %bb.9377:                             ;   in Loop: Header=BB6_8318 Depth=3
	v_and_b32_e32 v1, 0xff, v106
	s_mov_b32 s73, exec_lo
	s_delay_alu instid0(VALU_DEP_1) | instskip(NEXT) | instid1(VALU_DEP_1)
	v_bfe_u32 v1, v1, 2, 5
	v_cmpx_eq_u32_e32 0, v1
	s_cbranch_execz .LBB6_9379
; %bb.9378:                             ;   in Loop: Header=BB6_8318 Depth=3
	v_clz_i32_u32_e32 v1, v2
	s_delay_alu instid0(VALU_DEP_1) | instskip(SKIP_1) | instid1(VALU_DEP_2)
	v_min_u32_e32 v1, 32, v1
	v_mov_b32_e32 v107, v21
	v_subrev_nc_u32_e32 v2, 29, v1
	v_sub_nc_u32_e32 v1, 30, v1
	s_delay_alu instid0(VALU_DEP_2) | instskip(NEXT) | instid1(VALU_DEP_1)
	v_lshlrev_b64_e32 v[2:3], v2, v[106:107]
	v_and_b32_e32 v2, 3, v2
.LBB6_9379:                             ;   in Loop: Header=BB6_8318 Depth=3
	s_or_b32 exec_lo, exec_lo, s73
	v_bfe_i32 v3, v106, 0, 16
                                        ; implicit-def: $vgpr106
	s_delay_alu instid0(VALU_DEP_1) | instskip(NEXT) | instid1(VALU_DEP_1)
	v_and_b32_e32 v3, 0x80000000, v3
	v_lshl_add_u32 v1, v1, 23, v3
	s_delay_alu instid0(VALU_DEP_1) | instskip(NEXT) | instid1(VALU_DEP_1)
	v_lshl_or_b32 v1, v2, 21, v1
                                        ; implicit-def: $vgpr2
	v_add_nc_u32_e32 v1, 0x38000000, v1
.LBB6_9380:                             ;   in Loop: Header=BB6_8318 Depth=3
	s_and_not1_saveexec_b32 s73, s13
; %bb.9381:                             ;   in Loop: Header=BB6_8318 Depth=3
	v_cmp_lt_i16_e64 s13, -1, v106
	v_mov_b32_e32 v1, 0x7f800000
	v_cmp_eq_u32_e32 vcc_lo, 0, v2
	s_delay_alu instid0(VALU_DEP_2) | instskip(NEXT) | instid1(VALU_DEP_1)
	v_cndmask_b32_e64 v1, 0xff800000, v1, s13
	v_cndmask_b32_e32 v1, 0x7f800001, v1, vcc_lo
; %bb.9382:                             ;   in Loop: Header=BB6_8318 Depth=3
	s_or_b32 exec_lo, exec_lo, s73
.LBB6_9383:                             ;   in Loop: Header=BB6_8318 Depth=3
	s_delay_alu instid0(SALU_CYCLE_1)
	s_or_b32 exec_lo, exec_lo, s72
.LBB6_9384:                             ;   in Loop: Header=BB6_8318 Depth=3
	s_delay_alu instid0(SALU_CYCLE_1) | instskip(NEXT) | instid1(SALU_CYCLE_1)
	s_or_b32 exec_lo, exec_lo, s43
	s_mov_b32 s43, exec_lo
	v_cmpx_ne_u16_e32 0, v104
	s_cbranch_execz .LBB6_9394
; %bb.9385:                             ;   in Loop: Header=BB6_8318 Depth=3
	v_bfrev_b32_e32 v0, 1
	s_mov_b32 s72, exec_lo
	v_cmpx_ne_u16_e32 0xff80, v104
	s_cbranch_execz .LBB6_9393
; %bb.9386:                             ;   in Loop: Header=BB6_8318 Depth=3
	v_and_b32_e32 v0, 0x7c, v104
	v_and_b32_e32 v2, 3, v104
	s_delay_alu instid0(VALU_DEP_2) | instskip(SKIP_1) | instid1(SALU_CYCLE_1)
	v_cmp_ne_u32_e32 vcc_lo, 0x7c, v0
                                        ; implicit-def: $vgpr0
	s_and_saveexec_b32 s13, vcc_lo
	s_xor_b32 s13, exec_lo, s13
	s_cbranch_execz .LBB6_9390
; %bb.9387:                             ;   in Loop: Header=BB6_8318 Depth=3
	v_and_b32_e32 v0, 0xff, v104
	s_mov_b32 s73, exec_lo
	s_delay_alu instid0(VALU_DEP_1) | instskip(NEXT) | instid1(VALU_DEP_1)
	v_bfe_u32 v0, v0, 2, 5
	v_cmpx_eq_u32_e32 0, v0
	s_cbranch_execz .LBB6_9389
; %bb.9388:                             ;   in Loop: Header=BB6_8318 Depth=3
	v_clz_i32_u32_e32 v0, v2
	s_delay_alu instid0(VALU_DEP_1) | instskip(SKIP_1) | instid1(VALU_DEP_2)
	v_min_u32_e32 v0, 32, v0
	v_mov_b32_e32 v105, v21
	v_subrev_nc_u32_e32 v2, 29, v0
	v_sub_nc_u32_e32 v0, 30, v0
	s_delay_alu instid0(VALU_DEP_2) | instskip(NEXT) | instid1(VALU_DEP_1)
	v_lshlrev_b64_e32 v[2:3], v2, v[104:105]
	v_and_b32_e32 v2, 3, v2
.LBB6_9389:                             ;   in Loop: Header=BB6_8318 Depth=3
	s_or_b32 exec_lo, exec_lo, s73
	v_bfe_i32 v3, v104, 0, 16
                                        ; implicit-def: $vgpr104
	s_delay_alu instid0(VALU_DEP_1) | instskip(NEXT) | instid1(VALU_DEP_1)
	v_and_b32_e32 v3, 0x80000000, v3
	v_lshl_add_u32 v0, v0, 23, v3
	s_delay_alu instid0(VALU_DEP_1) | instskip(NEXT) | instid1(VALU_DEP_1)
	v_lshl_or_b32 v0, v2, 21, v0
                                        ; implicit-def: $vgpr2
	v_add_nc_u32_e32 v0, 0x38000000, v0
.LBB6_9390:                             ;   in Loop: Header=BB6_8318 Depth=3
	s_and_not1_saveexec_b32 s73, s13
; %bb.9391:                             ;   in Loop: Header=BB6_8318 Depth=3
	v_cmp_lt_i16_e64 s13, -1, v104
	v_mov_b32_e32 v0, 0x7f800000
	v_cmp_eq_u32_e32 vcc_lo, 0, v2
	s_delay_alu instid0(VALU_DEP_2) | instskip(NEXT) | instid1(VALU_DEP_1)
	v_cndmask_b32_e64 v0, 0xff800000, v0, s13
	v_cndmask_b32_e32 v0, 0x7f800001, v0, vcc_lo
; %bb.9392:                             ;   in Loop: Header=BB6_8318 Depth=3
	s_or_b32 exec_lo, exec_lo, s73
.LBB6_9393:                             ;   in Loop: Header=BB6_8318 Depth=3
	s_delay_alu instid0(SALU_CYCLE_1)
	s_or_b32 exec_lo, exec_lo, s72
.LBB6_9394:                             ;   in Loop: Header=BB6_8318 Depth=3
	s_delay_alu instid0(SALU_CYCLE_1) | instskip(NEXT) | instid1(VALU_DEP_1)
	s_or_b32 exec_lo, exec_lo, s43
	v_mul_f32_e32 v2, v1, v0
	v_mov_b32_e32 v1, v21
                                        ; implicit-def: $vgpr52
	s_delay_alu instid0(VALU_DEP_2) | instskip(NEXT) | instid1(VALU_DEP_1)
	v_and_b32_e32 v0, 0x7f800000, v2
	v_cmp_ne_u64_e32 vcc_lo, 0x7f800000, v[0:1]
	v_and_b32_e32 v0, 0x7fffff, v2
	s_and_saveexec_b32 s13, vcc_lo
	s_delay_alu instid0(SALU_CYCLE_1)
	s_xor_b32 s43, exec_lo, s13
	s_cbranch_execz .LBB6_9412
; %bb.9395:                             ;   in Loop: Header=BB6_8318 Depth=3
	v_and_b32_e32 v32, 0x7fffffff, v2
	v_dual_mov_b32 v33, v21 :: v_dual_lshrrev_b32 v3, 24, v2
                                        ; implicit-def: $vgpr52
	s_delay_alu instid0(VALU_DEP_1) | instskip(NEXT) | instid1(VALU_DEP_2)
	v_cmp_gt_u64_e32 vcc_lo, 0x47600001, v[32:33]
	v_and_b32_e32 v33, 0x80, v3
	s_and_saveexec_b32 s13, vcc_lo
	s_delay_alu instid0(SALU_CYCLE_1)
	s_xor_b32 s72, exec_lo, s13
	s_cbranch_execz .LBB6_9409
; %bb.9396:                             ;   in Loop: Header=BB6_8318 Depth=3
	v_mov_b32_e32 v52, 0
	s_mov_b32 s73, exec_lo
	v_cmpx_ne_u32_e32 0, v2
	s_cbranch_execz .LBB6_9408
; %bb.9397:                             ;   in Loop: Header=BB6_8318 Depth=3
	v_bfe_u32 v35, v2, 23, 8
	v_or_b32_e32 v3, 0x800000, v0
	s_delay_alu instid0(VALU_DEP_2) | instskip(SKIP_2) | instid1(VALU_DEP_2)
	v_cmp_gt_u32_e64 s13, 0x72, v35
	v_sub_nc_u32_e32 v2, 0x71, v35
	v_cmp_eq_u32_e32 vcc_lo, 0, v35
	v_dual_cndmask_b32 v2, 0, v2, s13 :: v_dual_cndmask_b32 v0, v3, v0, vcc_lo
	s_delay_alu instid0(VALU_DEP_1) | instskip(NEXT) | instid1(VALU_DEP_1)
	v_cndmask_b32_e64 v37, v2, 0x70, vcc_lo
	v_dual_add_nc_u32 v2, 21, v37 :: v_dual_add_nc_u32 v32, 20, v37
	s_delay_alu instid0(VALU_DEP_1) | instskip(NEXT) | instid1(VALU_DEP_2)
	v_lshlrev_b64_e64 v[2:3], v2, -1
	v_lshlrev_b64_e64 v[52:53], v32, 1
	s_delay_alu instid0(VALU_DEP_2) | instskip(SKIP_1) | instid1(VALU_DEP_4)
	v_bfi_b32 v2, v2, 0, v0
	v_lshrrev_b64 v[0:1], v37, v[0:1]
	v_bfi_b32 v3, v3, 0, 0
	s_delay_alu instid0(VALU_DEP_1) | instskip(NEXT) | instid1(VALU_DEP_3)
	v_cmp_eq_u64_e64 s13, v[2:3], v[52:53]
	v_mov_b64_e32 v[2:3], v[0:1]
	s_and_saveexec_b32 s74, s13
; %bb.9398:                             ;   in Loop: Header=BB6_8318 Depth=3
	v_bfe_u32 v2, v0, 21, 1
	v_mov_b32_e32 v3, v21
	s_delay_alu instid0(VALU_DEP_1) | instskip(NEXT) | instid1(VALU_DEP_1)
	v_add_nc_u64_e32 v[2:3], v[0:1], v[2:3]
	v_add_nc_u64_e32 v[2:3], -1, v[2:3]
; %bb.9399:                             ;   in Loop: Header=BB6_8318 Depth=3
	s_or_b32 exec_lo, exec_lo, s74
	v_add_nc_u32_e32 v1, 0xffffff81, v35
	v_lshrrev_b32_e32 v3, 23, v0
	s_mov_b32 s13, exec_lo
	s_delay_alu instid0(VALU_DEP_2) | instskip(NEXT) | instid1(VALU_DEP_1)
	v_cndmask_b32_e64 v1, v1, 0xffffff82, vcc_lo
	v_add3_u32 v35, v37, v1, v3
	v_and_b32_e32 v1, 0x1fffff, v2
                                        ; implicit-def: $vgpr2
	s_delay_alu instid0(VALU_DEP_1) | instskip(SKIP_1) | instid1(VALU_DEP_2)
	v_dual_add_nc_u32 v3, 14, v35 :: v_dual_add_nc_u32 v0, v1, v0
	v_mov_b32_e32 v1, v21
	v_cmpx_ne_u32_e32 0, v3
	s_xor_b32 s13, exec_lo, s13
; %bb.9400:                             ;   in Loop: Header=BB6_8318 Depth=3
	s_delay_alu instid0(VALU_DEP_2) | instskip(SKIP_1) | instid1(VALU_DEP_1)
	v_cmp_lt_u64_e32 vcc_lo, 0xffffff, v[0:1]
	v_add_nc_u32_e32 v2, 15, v35
	v_cndmask_b32_e32 v2, v3, v2, vcc_lo
	v_cndmask_b32_e64 v3, 0, 1, vcc_lo
	s_delay_alu instid0(VALU_DEP_1)
	v_lshrrev_b64 v[0:1], v3, v[0:1]
; %bb.9401:                             ;   in Loop: Header=BB6_8318 Depth=3
	s_and_not1_saveexec_b32 s13, s13
; %bb.9402:                             ;   in Loop: Header=BB6_8318 Depth=3
	s_delay_alu instid0(VALU_DEP_1)
	v_bfe_u32 v2, v0, 23, 1
; %bb.9403:                             ;   in Loop: Header=BB6_8318 Depth=3
	s_or_b32 exec_lo, exec_lo, s13
	s_delay_alu instid0(VALU_DEP_2) | instskip(NEXT) | instid1(VALU_DEP_2)
	v_lshrrev_b64 v[0:1], 21, v[0:1]
	v_cmp_gt_i32_e32 vcc_lo, 32, v2
	v_cmp_ne_u32_e64 s13, 0, v2
                                        ; implicit-def: $vgpr52
	s_delay_alu instid0(VALU_DEP_3) | instskip(NEXT) | instid1(VALU_DEP_1)
	v_dual_cndmask_b32 v1, 0, v1 :: v_dual_cndmask_b32 v0, 3, v0
	v_cmp_ne_u64_e32 vcc_lo, 0, v[0:1]
	s_or_b32 s13, s13, vcc_lo
	s_delay_alu instid0(SALU_CYCLE_1) | instskip(NEXT) | instid1(SALU_CYCLE_1)
	s_and_saveexec_b32 s74, s13
	s_xor_b32 s13, exec_lo, s74
; %bb.9404:                             ;   in Loop: Header=BB6_8318 Depth=3
	v_min_i32_e32 v1, 31, v2
	s_delay_alu instid0(VALU_DEP_1) | instskip(NEXT) | instid1(VALU_DEP_1)
	v_lshl_or_b32 v1, v1, 2, v33
                                        ; implicit-def: $vgpr33
	v_and_or_b32 v52, v0, 3, v1
; %bb.9405:                             ;   in Loop: Header=BB6_8318 Depth=3
	s_and_not1_saveexec_b32 s13, s13
; %bb.9406:                             ;   in Loop: Header=BB6_8318 Depth=3
	v_mov_b32_e32 v52, v33
; %bb.9407:                             ;   in Loop: Header=BB6_8318 Depth=3
	s_or_b32 exec_lo, exec_lo, s13
.LBB6_9408:                             ;   in Loop: Header=BB6_8318 Depth=3
	s_delay_alu instid0(SALU_CYCLE_1)
	s_or_b32 exec_lo, exec_lo, s73
                                        ; implicit-def: $vgpr33
.LBB6_9409:                             ;   in Loop: Header=BB6_8318 Depth=3
	s_and_not1_saveexec_b32 s13, s72
; %bb.9410:                             ;   in Loop: Header=BB6_8318 Depth=3
	v_or_b32_e32 v52, 0x7b, v33
; %bb.9411:                             ;   in Loop: Header=BB6_8318 Depth=3
	s_or_b32 exec_lo, exec_lo, s13
                                        ; implicit-def: $vgpr2
                                        ; implicit-def: $vgpr0_vgpr1
.LBB6_9412:                             ;   in Loop: Header=BB6_8318 Depth=3
	s_and_not1_saveexec_b32 s13, s43
	s_cbranch_execz .LBB6_9418
; %bb.9413:                             ;   in Loop: Header=BB6_8318 Depth=3
	s_mov_b32 s43, exec_lo
                                        ; implicit-def: $vgpr52
	v_cmpx_ne_u64_e32 0, v[0:1]
	s_xor_b32 s43, exec_lo, s43
; %bb.9414:                             ;   in Loop: Header=BB6_8318 Depth=3
	v_lshrrev_b32_e32 v0, 24, v2
                                        ; implicit-def: $vgpr2
	s_delay_alu instid0(VALU_DEP_1)
	v_or_b32_e32 v52, 0x7f, v0
; %bb.9415:                             ;   in Loop: Header=BB6_8318 Depth=3
	s_and_not1_saveexec_b32 s43, s43
; %bb.9416:                             ;   in Loop: Header=BB6_8318 Depth=3
	v_cmp_lt_i32_e32 vcc_lo, -1, v2
	v_cndmask_b32_e64 v52, -4, 0x7c, vcc_lo
; %bb.9417:                             ;   in Loop: Header=BB6_8318 Depth=3
	s_or_b32 exec_lo, exec_lo, s43
.LBB6_9418:                             ;   in Loop: Header=BB6_8318 Depth=3
	s_delay_alu instid0(SALU_CYCLE_1)
	s_or_b32 exec_lo, exec_lo, s13
	v_dual_mov_b32 v0, 0 :: v_dual_mov_b32 v1, 0
	s_mov_b32 s43, exec_lo
	v_cmpx_ne_u16_e32 0, v94
	s_cbranch_execz .LBB6_9428
; %bb.9419:                             ;   in Loop: Header=BB6_8318 Depth=3
	v_bfrev_b32_e32 v1, 1
	s_mov_b32 s72, exec_lo
	v_cmpx_ne_u16_e32 0xff80, v94
	s_cbranch_execz .LBB6_9427
; %bb.9420:                             ;   in Loop: Header=BB6_8318 Depth=3
	v_and_b32_e32 v1, 0x7c, v94
	v_and_b32_e32 v2, 3, v94
	s_delay_alu instid0(VALU_DEP_2) | instskip(SKIP_1) | instid1(SALU_CYCLE_1)
	v_cmp_ne_u32_e32 vcc_lo, 0x7c, v1
                                        ; implicit-def: $vgpr1
	s_and_saveexec_b32 s13, vcc_lo
	s_xor_b32 s13, exec_lo, s13
	s_cbranch_execz .LBB6_9424
; %bb.9421:                             ;   in Loop: Header=BB6_8318 Depth=3
	v_and_b32_e32 v1, 0xff, v94
	s_mov_b32 s73, exec_lo
	s_delay_alu instid0(VALU_DEP_1) | instskip(NEXT) | instid1(VALU_DEP_1)
	v_bfe_u32 v1, v1, 2, 5
	v_cmpx_eq_u32_e32 0, v1
	s_cbranch_execz .LBB6_9423
; %bb.9422:                             ;   in Loop: Header=BB6_8318 Depth=3
	v_clz_i32_u32_e32 v1, v2
	s_delay_alu instid0(VALU_DEP_1) | instskip(SKIP_1) | instid1(VALU_DEP_2)
	v_min_u32_e32 v1, 32, v1
	v_mov_b32_e32 v95, v21
	v_subrev_nc_u32_e32 v2, 29, v1
	v_sub_nc_u32_e32 v1, 30, v1
	s_delay_alu instid0(VALU_DEP_2) | instskip(NEXT) | instid1(VALU_DEP_1)
	v_lshlrev_b64_e32 v[2:3], v2, v[94:95]
	v_and_b32_e32 v2, 3, v2
.LBB6_9423:                             ;   in Loop: Header=BB6_8318 Depth=3
	s_or_b32 exec_lo, exec_lo, s73
	v_bfe_i32 v3, v94, 0, 16
                                        ; implicit-def: $vgpr94
	s_delay_alu instid0(VALU_DEP_1) | instskip(NEXT) | instid1(VALU_DEP_1)
	v_and_b32_e32 v3, 0x80000000, v3
	v_lshl_add_u32 v1, v1, 23, v3
	s_delay_alu instid0(VALU_DEP_1) | instskip(NEXT) | instid1(VALU_DEP_1)
	v_lshl_or_b32 v1, v2, 21, v1
                                        ; implicit-def: $vgpr2
	v_add_nc_u32_e32 v1, 0x38000000, v1
.LBB6_9424:                             ;   in Loop: Header=BB6_8318 Depth=3
	s_and_not1_saveexec_b32 s73, s13
; %bb.9425:                             ;   in Loop: Header=BB6_8318 Depth=3
	v_cmp_lt_i16_e64 s13, -1, v94
	v_mov_b32_e32 v1, 0x7f800000
	v_cmp_eq_u32_e32 vcc_lo, 0, v2
	s_delay_alu instid0(VALU_DEP_2) | instskip(NEXT) | instid1(VALU_DEP_1)
	v_cndmask_b32_e64 v1, 0xff800000, v1, s13
	v_cndmask_b32_e32 v1, 0x7f800001, v1, vcc_lo
; %bb.9426:                             ;   in Loop: Header=BB6_8318 Depth=3
	s_or_b32 exec_lo, exec_lo, s73
.LBB6_9427:                             ;   in Loop: Header=BB6_8318 Depth=3
	s_delay_alu instid0(SALU_CYCLE_1)
	s_or_b32 exec_lo, exec_lo, s72
.LBB6_9428:                             ;   in Loop: Header=BB6_8318 Depth=3
	s_delay_alu instid0(SALU_CYCLE_1) | instskip(NEXT) | instid1(SALU_CYCLE_1)
	s_or_b32 exec_lo, exec_lo, s43
	s_mov_b32 s43, exec_lo
	v_cmpx_ne_u16_e32 0, v92
	s_cbranch_execz .LBB6_9438
; %bb.9429:                             ;   in Loop: Header=BB6_8318 Depth=3
	v_bfrev_b32_e32 v0, 1
	s_mov_b32 s72, exec_lo
	v_cmpx_ne_u16_e32 0xff80, v92
	s_cbranch_execz .LBB6_9437
; %bb.9430:                             ;   in Loop: Header=BB6_8318 Depth=3
	v_and_b32_e32 v0, 0x7c, v92
	v_and_b32_e32 v2, 3, v92
	s_delay_alu instid0(VALU_DEP_2) | instskip(SKIP_1) | instid1(SALU_CYCLE_1)
	v_cmp_ne_u32_e32 vcc_lo, 0x7c, v0
                                        ; implicit-def: $vgpr0
	s_and_saveexec_b32 s13, vcc_lo
	s_xor_b32 s13, exec_lo, s13
	s_cbranch_execz .LBB6_9434
; %bb.9431:                             ;   in Loop: Header=BB6_8318 Depth=3
	v_and_b32_e32 v0, 0xff, v92
	s_mov_b32 s73, exec_lo
	s_delay_alu instid0(VALU_DEP_1) | instskip(NEXT) | instid1(VALU_DEP_1)
	v_bfe_u32 v0, v0, 2, 5
	v_cmpx_eq_u32_e32 0, v0
	s_cbranch_execz .LBB6_9433
; %bb.9432:                             ;   in Loop: Header=BB6_8318 Depth=3
	v_clz_i32_u32_e32 v0, v2
	s_delay_alu instid0(VALU_DEP_1) | instskip(SKIP_1) | instid1(VALU_DEP_2)
	v_min_u32_e32 v0, 32, v0
	v_mov_b32_e32 v93, v21
	v_subrev_nc_u32_e32 v2, 29, v0
	v_sub_nc_u32_e32 v0, 30, v0
	s_delay_alu instid0(VALU_DEP_2) | instskip(NEXT) | instid1(VALU_DEP_1)
	v_lshlrev_b64_e32 v[2:3], v2, v[92:93]
	v_and_b32_e32 v2, 3, v2
.LBB6_9433:                             ;   in Loop: Header=BB6_8318 Depth=3
	s_or_b32 exec_lo, exec_lo, s73
	v_bfe_i32 v3, v92, 0, 16
                                        ; implicit-def: $vgpr92
	s_delay_alu instid0(VALU_DEP_1) | instskip(NEXT) | instid1(VALU_DEP_1)
	v_and_b32_e32 v3, 0x80000000, v3
	v_lshl_add_u32 v0, v0, 23, v3
	s_delay_alu instid0(VALU_DEP_1) | instskip(NEXT) | instid1(VALU_DEP_1)
	v_lshl_or_b32 v0, v2, 21, v0
                                        ; implicit-def: $vgpr2
	v_add_nc_u32_e32 v0, 0x38000000, v0
.LBB6_9434:                             ;   in Loop: Header=BB6_8318 Depth=3
	s_and_not1_saveexec_b32 s73, s13
; %bb.9435:                             ;   in Loop: Header=BB6_8318 Depth=3
	v_cmp_lt_i16_e64 s13, -1, v92
	v_mov_b32_e32 v0, 0x7f800000
	v_cmp_eq_u32_e32 vcc_lo, 0, v2
	s_delay_alu instid0(VALU_DEP_2) | instskip(NEXT) | instid1(VALU_DEP_1)
	v_cndmask_b32_e64 v0, 0xff800000, v0, s13
	v_cndmask_b32_e32 v0, 0x7f800001, v0, vcc_lo
; %bb.9436:                             ;   in Loop: Header=BB6_8318 Depth=3
	s_or_b32 exec_lo, exec_lo, s73
.LBB6_9437:                             ;   in Loop: Header=BB6_8318 Depth=3
	s_delay_alu instid0(SALU_CYCLE_1)
	s_or_b32 exec_lo, exec_lo, s72
.LBB6_9438:                             ;   in Loop: Header=BB6_8318 Depth=3
	s_delay_alu instid0(SALU_CYCLE_1) | instskip(NEXT) | instid1(VALU_DEP_1)
	s_or_b32 exec_lo, exec_lo, s43
	v_mul_f32_e32 v2, v1, v0
	v_mov_b32_e32 v1, v21
                                        ; implicit-def: $vgpr53
	s_delay_alu instid0(VALU_DEP_2) | instskip(NEXT) | instid1(VALU_DEP_1)
	v_and_b32_e32 v0, 0x7f800000, v2
	v_cmp_ne_u64_e32 vcc_lo, 0x7f800000, v[0:1]
	v_and_b32_e32 v0, 0x7fffff, v2
	s_and_saveexec_b32 s13, vcc_lo
	s_delay_alu instid0(SALU_CYCLE_1)
	s_xor_b32 s43, exec_lo, s13
	s_cbranch_execz .LBB6_9456
; %bb.9439:                             ;   in Loop: Header=BB6_8318 Depth=3
	v_and_b32_e32 v32, 0x7fffffff, v2
	v_dual_mov_b32 v33, v21 :: v_dual_lshrrev_b32 v3, 24, v2
                                        ; implicit-def: $vgpr53
	s_delay_alu instid0(VALU_DEP_1) | instskip(NEXT) | instid1(VALU_DEP_2)
	v_cmp_gt_u64_e32 vcc_lo, 0x47600001, v[32:33]
	v_and_b32_e32 v33, 0x80, v3
	s_and_saveexec_b32 s13, vcc_lo
	s_delay_alu instid0(SALU_CYCLE_1)
	s_xor_b32 s72, exec_lo, s13
	s_cbranch_execz .LBB6_9453
; %bb.9440:                             ;   in Loop: Header=BB6_8318 Depth=3
	v_mov_b32_e32 v53, 0
	s_mov_b32 s73, exec_lo
	v_cmpx_ne_u32_e32 0, v2
	s_cbranch_execz .LBB6_9452
; %bb.9441:                             ;   in Loop: Header=BB6_8318 Depth=3
	v_bfe_u32 v35, v2, 23, 8
	v_or_b32_e32 v3, 0x800000, v0
	s_delay_alu instid0(VALU_DEP_2) | instskip(SKIP_2) | instid1(VALU_DEP_2)
	v_cmp_gt_u32_e64 s13, 0x72, v35
	v_sub_nc_u32_e32 v2, 0x71, v35
	v_cmp_eq_u32_e32 vcc_lo, 0, v35
	v_dual_cndmask_b32 v2, 0, v2, s13 :: v_dual_cndmask_b32 v0, v3, v0, vcc_lo
	s_delay_alu instid0(VALU_DEP_1) | instskip(NEXT) | instid1(VALU_DEP_1)
	v_cndmask_b32_e64 v37, v2, 0x70, vcc_lo
	v_dual_add_nc_u32 v2, 21, v37 :: v_dual_add_nc_u32 v32, 20, v37
	s_delay_alu instid0(VALU_DEP_1) | instskip(NEXT) | instid1(VALU_DEP_2)
	v_lshlrev_b64_e64 v[2:3], v2, -1
	v_lshlrev_b64_e64 v[54:55], v32, 1
	s_delay_alu instid0(VALU_DEP_2) | instskip(SKIP_1) | instid1(VALU_DEP_4)
	v_bfi_b32 v2, v2, 0, v0
	v_lshrrev_b64 v[0:1], v37, v[0:1]
	v_bfi_b32 v3, v3, 0, 0
	s_delay_alu instid0(VALU_DEP_1) | instskip(NEXT) | instid1(VALU_DEP_3)
	v_cmp_eq_u64_e64 s13, v[2:3], v[54:55]
	v_mov_b64_e32 v[2:3], v[0:1]
	s_and_saveexec_b32 s74, s13
; %bb.9442:                             ;   in Loop: Header=BB6_8318 Depth=3
	v_bfe_u32 v2, v0, 21, 1
	v_mov_b32_e32 v3, v21
	s_delay_alu instid0(VALU_DEP_1) | instskip(NEXT) | instid1(VALU_DEP_1)
	v_add_nc_u64_e32 v[2:3], v[0:1], v[2:3]
	v_add_nc_u64_e32 v[2:3], -1, v[2:3]
; %bb.9443:                             ;   in Loop: Header=BB6_8318 Depth=3
	s_or_b32 exec_lo, exec_lo, s74
	v_add_nc_u32_e32 v1, 0xffffff81, v35
	v_lshrrev_b32_e32 v3, 23, v0
	s_mov_b32 s13, exec_lo
	s_delay_alu instid0(VALU_DEP_2) | instskip(NEXT) | instid1(VALU_DEP_1)
	v_cndmask_b32_e64 v1, v1, 0xffffff82, vcc_lo
	v_add3_u32 v35, v37, v1, v3
	v_and_b32_e32 v1, 0x1fffff, v2
                                        ; implicit-def: $vgpr2
	s_delay_alu instid0(VALU_DEP_1) | instskip(SKIP_1) | instid1(VALU_DEP_2)
	v_dual_add_nc_u32 v3, 14, v35 :: v_dual_add_nc_u32 v0, v1, v0
	v_mov_b32_e32 v1, v21
	v_cmpx_ne_u32_e32 0, v3
	s_xor_b32 s13, exec_lo, s13
; %bb.9444:                             ;   in Loop: Header=BB6_8318 Depth=3
	s_delay_alu instid0(VALU_DEP_2) | instskip(SKIP_1) | instid1(VALU_DEP_1)
	v_cmp_lt_u64_e32 vcc_lo, 0xffffff, v[0:1]
	v_add_nc_u32_e32 v2, 15, v35
	v_cndmask_b32_e32 v2, v3, v2, vcc_lo
	v_cndmask_b32_e64 v3, 0, 1, vcc_lo
	s_delay_alu instid0(VALU_DEP_1)
	v_lshrrev_b64 v[0:1], v3, v[0:1]
; %bb.9445:                             ;   in Loop: Header=BB6_8318 Depth=3
	s_and_not1_saveexec_b32 s13, s13
; %bb.9446:                             ;   in Loop: Header=BB6_8318 Depth=3
	s_delay_alu instid0(VALU_DEP_1)
	v_bfe_u32 v2, v0, 23, 1
; %bb.9447:                             ;   in Loop: Header=BB6_8318 Depth=3
	s_or_b32 exec_lo, exec_lo, s13
	s_delay_alu instid0(VALU_DEP_2) | instskip(NEXT) | instid1(VALU_DEP_2)
	v_lshrrev_b64 v[0:1], 21, v[0:1]
	v_cmp_gt_i32_e32 vcc_lo, 32, v2
	v_cmp_ne_u32_e64 s13, 0, v2
                                        ; implicit-def: $vgpr53
	s_delay_alu instid0(VALU_DEP_3) | instskip(NEXT) | instid1(VALU_DEP_1)
	v_dual_cndmask_b32 v1, 0, v1 :: v_dual_cndmask_b32 v0, 3, v0
	v_cmp_ne_u64_e32 vcc_lo, 0, v[0:1]
	s_or_b32 s13, s13, vcc_lo
	s_delay_alu instid0(SALU_CYCLE_1) | instskip(NEXT) | instid1(SALU_CYCLE_1)
	s_and_saveexec_b32 s74, s13
	s_xor_b32 s13, exec_lo, s74
; %bb.9448:                             ;   in Loop: Header=BB6_8318 Depth=3
	v_min_i32_e32 v1, 31, v2
	s_delay_alu instid0(VALU_DEP_1) | instskip(NEXT) | instid1(VALU_DEP_1)
	v_lshl_or_b32 v1, v1, 2, v33
                                        ; implicit-def: $vgpr33
	v_and_or_b32 v53, v0, 3, v1
; %bb.9449:                             ;   in Loop: Header=BB6_8318 Depth=3
	s_and_not1_saveexec_b32 s13, s13
; %bb.9450:                             ;   in Loop: Header=BB6_8318 Depth=3
	v_mov_b32_e32 v53, v33
; %bb.9451:                             ;   in Loop: Header=BB6_8318 Depth=3
	s_or_b32 exec_lo, exec_lo, s13
.LBB6_9452:                             ;   in Loop: Header=BB6_8318 Depth=3
	s_delay_alu instid0(SALU_CYCLE_1)
	s_or_b32 exec_lo, exec_lo, s73
                                        ; implicit-def: $vgpr33
.LBB6_9453:                             ;   in Loop: Header=BB6_8318 Depth=3
	s_and_not1_saveexec_b32 s13, s72
; %bb.9454:                             ;   in Loop: Header=BB6_8318 Depth=3
	v_or_b32_e32 v53, 0x7b, v33
; %bb.9455:                             ;   in Loop: Header=BB6_8318 Depth=3
	s_or_b32 exec_lo, exec_lo, s13
                                        ; implicit-def: $vgpr2
                                        ; implicit-def: $vgpr0_vgpr1
.LBB6_9456:                             ;   in Loop: Header=BB6_8318 Depth=3
	s_and_not1_saveexec_b32 s13, s43
	s_cbranch_execz .LBB6_9462
; %bb.9457:                             ;   in Loop: Header=BB6_8318 Depth=3
	s_mov_b32 s43, exec_lo
                                        ; implicit-def: $vgpr53
	v_cmpx_ne_u64_e32 0, v[0:1]
	s_xor_b32 s43, exec_lo, s43
; %bb.9458:                             ;   in Loop: Header=BB6_8318 Depth=3
	v_lshrrev_b32_e32 v0, 24, v2
                                        ; implicit-def: $vgpr2
	s_delay_alu instid0(VALU_DEP_1)
	v_or_b32_e32 v53, 0x7f, v0
; %bb.9459:                             ;   in Loop: Header=BB6_8318 Depth=3
	s_and_not1_saveexec_b32 s43, s43
; %bb.9460:                             ;   in Loop: Header=BB6_8318 Depth=3
	v_cmp_lt_i32_e32 vcc_lo, -1, v2
	v_cndmask_b32_e64 v53, -4, 0x7c, vcc_lo
; %bb.9461:                             ;   in Loop: Header=BB6_8318 Depth=3
	s_or_b32 exec_lo, exec_lo, s43
.LBB6_9462:                             ;   in Loop: Header=BB6_8318 Depth=3
	s_delay_alu instid0(SALU_CYCLE_1)
	s_or_b32 exec_lo, exec_lo, s13
	v_dual_mov_b32 v0, 0 :: v_dual_mov_b32 v1, 0
	s_mov_b32 s43, exec_lo
	v_cmpx_ne_u16_e32 0, v50
	s_cbranch_execz .LBB6_9472
; %bb.9463:                             ;   in Loop: Header=BB6_8318 Depth=3
	v_bfrev_b32_e32 v1, 1
	s_mov_b32 s72, exec_lo
	v_cmpx_ne_u16_e32 0xff80, v50
	s_cbranch_execz .LBB6_9471
; %bb.9464:                             ;   in Loop: Header=BB6_8318 Depth=3
	v_and_b32_e32 v1, 0x7c, v50
	v_and_b32_e32 v2, 3, v50
	s_delay_alu instid0(VALU_DEP_2) | instskip(SKIP_1) | instid1(SALU_CYCLE_1)
	v_cmp_ne_u32_e32 vcc_lo, 0x7c, v1
                                        ; implicit-def: $vgpr1
	s_and_saveexec_b32 s13, vcc_lo
	s_xor_b32 s13, exec_lo, s13
	s_cbranch_execz .LBB6_9468
; %bb.9465:                             ;   in Loop: Header=BB6_8318 Depth=3
	v_and_b32_e32 v1, 0xff, v50
	s_mov_b32 s73, exec_lo
	s_delay_alu instid0(VALU_DEP_1) | instskip(NEXT) | instid1(VALU_DEP_1)
	v_bfe_u32 v1, v1, 2, 5
	v_cmpx_eq_u32_e32 0, v1
	s_cbranch_execz .LBB6_9467
; %bb.9466:                             ;   in Loop: Header=BB6_8318 Depth=3
	v_clz_i32_u32_e32 v1, v2
	s_delay_alu instid0(VALU_DEP_1) | instskip(SKIP_1) | instid1(VALU_DEP_2)
	v_min_u32_e32 v1, 32, v1
	v_mov_b32_e32 v51, v21
	v_subrev_nc_u32_e32 v2, 29, v1
	v_sub_nc_u32_e32 v1, 30, v1
	s_delay_alu instid0(VALU_DEP_2) | instskip(NEXT) | instid1(VALU_DEP_1)
	v_lshlrev_b64_e32 v[2:3], v2, v[50:51]
	v_and_b32_e32 v2, 3, v2
.LBB6_9467:                             ;   in Loop: Header=BB6_8318 Depth=3
	s_or_b32 exec_lo, exec_lo, s73
	v_bfe_i32 v3, v50, 0, 16
                                        ; implicit-def: $vgpr50
	s_delay_alu instid0(VALU_DEP_1) | instskip(NEXT) | instid1(VALU_DEP_1)
	v_and_b32_e32 v3, 0x80000000, v3
	v_lshl_add_u32 v1, v1, 23, v3
	s_delay_alu instid0(VALU_DEP_1) | instskip(NEXT) | instid1(VALU_DEP_1)
	v_lshl_or_b32 v1, v2, 21, v1
                                        ; implicit-def: $vgpr2
	v_add_nc_u32_e32 v1, 0x38000000, v1
.LBB6_9468:                             ;   in Loop: Header=BB6_8318 Depth=3
	s_and_not1_saveexec_b32 s73, s13
; %bb.9469:                             ;   in Loop: Header=BB6_8318 Depth=3
	v_cmp_lt_i16_e64 s13, -1, v50
	v_mov_b32_e32 v1, 0x7f800000
	v_cmp_eq_u32_e32 vcc_lo, 0, v2
	s_delay_alu instid0(VALU_DEP_2) | instskip(NEXT) | instid1(VALU_DEP_1)
	v_cndmask_b32_e64 v1, 0xff800000, v1, s13
	v_cndmask_b32_e32 v1, 0x7f800001, v1, vcc_lo
; %bb.9470:                             ;   in Loop: Header=BB6_8318 Depth=3
	s_or_b32 exec_lo, exec_lo, s73
.LBB6_9471:                             ;   in Loop: Header=BB6_8318 Depth=3
	s_delay_alu instid0(SALU_CYCLE_1)
	s_or_b32 exec_lo, exec_lo, s72
.LBB6_9472:                             ;   in Loop: Header=BB6_8318 Depth=3
	s_delay_alu instid0(SALU_CYCLE_1) | instskip(NEXT) | instid1(SALU_CYCLE_1)
	s_or_b32 exec_lo, exec_lo, s43
	s_mov_b32 s43, exec_lo
	v_cmpx_ne_u16_e32 0, v48
	s_cbranch_execz .LBB6_9482
; %bb.9473:                             ;   in Loop: Header=BB6_8318 Depth=3
	v_bfrev_b32_e32 v0, 1
	s_mov_b32 s72, exec_lo
	v_cmpx_ne_u16_e32 0xff80, v48
	s_cbranch_execz .LBB6_9481
; %bb.9474:                             ;   in Loop: Header=BB6_8318 Depth=3
	v_and_b32_e32 v0, 0x7c, v48
	v_and_b32_e32 v2, 3, v48
	s_delay_alu instid0(VALU_DEP_2) | instskip(SKIP_1) | instid1(SALU_CYCLE_1)
	v_cmp_ne_u32_e32 vcc_lo, 0x7c, v0
                                        ; implicit-def: $vgpr0
	s_and_saveexec_b32 s13, vcc_lo
	s_xor_b32 s13, exec_lo, s13
	s_cbranch_execz .LBB6_9478
; %bb.9475:                             ;   in Loop: Header=BB6_8318 Depth=3
	v_and_b32_e32 v0, 0xff, v48
	s_mov_b32 s73, exec_lo
	s_delay_alu instid0(VALU_DEP_1) | instskip(NEXT) | instid1(VALU_DEP_1)
	v_bfe_u32 v0, v0, 2, 5
	v_cmpx_eq_u32_e32 0, v0
	s_cbranch_execz .LBB6_9477
; %bb.9476:                             ;   in Loop: Header=BB6_8318 Depth=3
	v_clz_i32_u32_e32 v0, v2
	s_delay_alu instid0(VALU_DEP_1) | instskip(SKIP_1) | instid1(VALU_DEP_2)
	v_min_u32_e32 v0, 32, v0
	v_mov_b32_e32 v49, v21
	v_subrev_nc_u32_e32 v2, 29, v0
	v_sub_nc_u32_e32 v0, 30, v0
	s_delay_alu instid0(VALU_DEP_2) | instskip(NEXT) | instid1(VALU_DEP_1)
	v_lshlrev_b64_e32 v[2:3], v2, v[48:49]
	v_and_b32_e32 v2, 3, v2
.LBB6_9477:                             ;   in Loop: Header=BB6_8318 Depth=3
	s_or_b32 exec_lo, exec_lo, s73
	v_bfe_i32 v3, v48, 0, 16
                                        ; implicit-def: $vgpr48
	s_delay_alu instid0(VALU_DEP_1) | instskip(NEXT) | instid1(VALU_DEP_1)
	v_and_b32_e32 v3, 0x80000000, v3
	v_lshl_add_u32 v0, v0, 23, v3
	s_delay_alu instid0(VALU_DEP_1) | instskip(NEXT) | instid1(VALU_DEP_1)
	v_lshl_or_b32 v0, v2, 21, v0
                                        ; implicit-def: $vgpr2
	v_add_nc_u32_e32 v0, 0x38000000, v0
.LBB6_9478:                             ;   in Loop: Header=BB6_8318 Depth=3
	s_and_not1_saveexec_b32 s73, s13
; %bb.9479:                             ;   in Loop: Header=BB6_8318 Depth=3
	v_cmp_lt_i16_e64 s13, -1, v48
	v_mov_b32_e32 v0, 0x7f800000
	v_cmp_eq_u32_e32 vcc_lo, 0, v2
	s_delay_alu instid0(VALU_DEP_2) | instskip(NEXT) | instid1(VALU_DEP_1)
	v_cndmask_b32_e64 v0, 0xff800000, v0, s13
	v_cndmask_b32_e32 v0, 0x7f800001, v0, vcc_lo
; %bb.9480:                             ;   in Loop: Header=BB6_8318 Depth=3
	s_or_b32 exec_lo, exec_lo, s73
.LBB6_9481:                             ;   in Loop: Header=BB6_8318 Depth=3
	s_delay_alu instid0(SALU_CYCLE_1)
	s_or_b32 exec_lo, exec_lo, s72
.LBB6_9482:                             ;   in Loop: Header=BB6_8318 Depth=3
	s_delay_alu instid0(SALU_CYCLE_1) | instskip(NEXT) | instid1(VALU_DEP_1)
	s_or_b32 exec_lo, exec_lo, s43
	v_mul_f32_e32 v2, v1, v0
	v_mov_b32_e32 v1, v21
                                        ; implicit-def: $vgpr48
	s_delay_alu instid0(VALU_DEP_2) | instskip(NEXT) | instid1(VALU_DEP_1)
	v_and_b32_e32 v0, 0x7f800000, v2
	v_cmp_ne_u64_e32 vcc_lo, 0x7f800000, v[0:1]
	v_and_b32_e32 v0, 0x7fffff, v2
	s_and_saveexec_b32 s13, vcc_lo
	s_delay_alu instid0(SALU_CYCLE_1)
	s_xor_b32 s43, exec_lo, s13
	s_cbranch_execz .LBB6_9500
; %bb.9483:                             ;   in Loop: Header=BB6_8318 Depth=3
	v_and_b32_e32 v32, 0x7fffffff, v2
	v_dual_mov_b32 v33, v21 :: v_dual_lshrrev_b32 v3, 24, v2
                                        ; implicit-def: $vgpr48
	s_delay_alu instid0(VALU_DEP_1) | instskip(NEXT) | instid1(VALU_DEP_2)
	v_cmp_gt_u64_e32 vcc_lo, 0x47600001, v[32:33]
	v_and_b32_e32 v33, 0x80, v3
	s_and_saveexec_b32 s13, vcc_lo
	s_delay_alu instid0(SALU_CYCLE_1)
	s_xor_b32 s72, exec_lo, s13
	s_cbranch_execz .LBB6_9497
; %bb.9484:                             ;   in Loop: Header=BB6_8318 Depth=3
	v_mov_b32_e32 v48, 0
	s_mov_b32 s73, exec_lo
	v_cmpx_ne_u32_e32 0, v2
	s_cbranch_execz .LBB6_9496
; %bb.9485:                             ;   in Loop: Header=BB6_8318 Depth=3
	v_bfe_u32 v35, v2, 23, 8
	v_or_b32_e32 v3, 0x800000, v0
	s_delay_alu instid0(VALU_DEP_2) | instskip(SKIP_2) | instid1(VALU_DEP_2)
	v_cmp_gt_u32_e64 s13, 0x72, v35
	v_sub_nc_u32_e32 v2, 0x71, v35
	v_cmp_eq_u32_e32 vcc_lo, 0, v35
	v_dual_cndmask_b32 v2, 0, v2, s13 :: v_dual_cndmask_b32 v0, v3, v0, vcc_lo
	s_delay_alu instid0(VALU_DEP_1) | instskip(NEXT) | instid1(VALU_DEP_1)
	v_cndmask_b32_e64 v37, v2, 0x70, vcc_lo
	v_dual_add_nc_u32 v2, 21, v37 :: v_dual_add_nc_u32 v32, 20, v37
	s_delay_alu instid0(VALU_DEP_1) | instskip(NEXT) | instid1(VALU_DEP_2)
	v_lshlrev_b64_e64 v[2:3], v2, -1
	v_lshlrev_b64_e64 v[48:49], v32, 1
	s_delay_alu instid0(VALU_DEP_2) | instskip(SKIP_1) | instid1(VALU_DEP_4)
	v_bfi_b32 v2, v2, 0, v0
	v_lshrrev_b64 v[0:1], v37, v[0:1]
	v_bfi_b32 v3, v3, 0, 0
	s_delay_alu instid0(VALU_DEP_1) | instskip(NEXT) | instid1(VALU_DEP_3)
	v_cmp_eq_u64_e64 s13, v[2:3], v[48:49]
	v_mov_b64_e32 v[2:3], v[0:1]
	s_and_saveexec_b32 s74, s13
; %bb.9486:                             ;   in Loop: Header=BB6_8318 Depth=3
	v_bfe_u32 v2, v0, 21, 1
	v_mov_b32_e32 v3, v21
	s_delay_alu instid0(VALU_DEP_1) | instskip(NEXT) | instid1(VALU_DEP_1)
	v_add_nc_u64_e32 v[2:3], v[0:1], v[2:3]
	v_add_nc_u64_e32 v[2:3], -1, v[2:3]
; %bb.9487:                             ;   in Loop: Header=BB6_8318 Depth=3
	s_or_b32 exec_lo, exec_lo, s74
	v_add_nc_u32_e32 v1, 0xffffff81, v35
	v_lshrrev_b32_e32 v3, 23, v0
	s_mov_b32 s13, exec_lo
	s_delay_alu instid0(VALU_DEP_2) | instskip(NEXT) | instid1(VALU_DEP_1)
	v_cndmask_b32_e64 v1, v1, 0xffffff82, vcc_lo
	v_add3_u32 v35, v37, v1, v3
	v_and_b32_e32 v1, 0x1fffff, v2
                                        ; implicit-def: $vgpr2
	s_delay_alu instid0(VALU_DEP_1) | instskip(SKIP_1) | instid1(VALU_DEP_2)
	v_dual_add_nc_u32 v3, 14, v35 :: v_dual_add_nc_u32 v0, v1, v0
	v_mov_b32_e32 v1, v21
	v_cmpx_ne_u32_e32 0, v3
	s_xor_b32 s13, exec_lo, s13
; %bb.9488:                             ;   in Loop: Header=BB6_8318 Depth=3
	s_delay_alu instid0(VALU_DEP_2) | instskip(SKIP_1) | instid1(VALU_DEP_1)
	v_cmp_lt_u64_e32 vcc_lo, 0xffffff, v[0:1]
	v_add_nc_u32_e32 v2, 15, v35
	v_cndmask_b32_e32 v2, v3, v2, vcc_lo
	v_cndmask_b32_e64 v3, 0, 1, vcc_lo
	s_delay_alu instid0(VALU_DEP_1)
	v_lshrrev_b64 v[0:1], v3, v[0:1]
; %bb.9489:                             ;   in Loop: Header=BB6_8318 Depth=3
	s_and_not1_saveexec_b32 s13, s13
; %bb.9490:                             ;   in Loop: Header=BB6_8318 Depth=3
	s_delay_alu instid0(VALU_DEP_1)
	v_bfe_u32 v2, v0, 23, 1
; %bb.9491:                             ;   in Loop: Header=BB6_8318 Depth=3
	s_or_b32 exec_lo, exec_lo, s13
	s_delay_alu instid0(VALU_DEP_2) | instskip(NEXT) | instid1(VALU_DEP_2)
	v_lshrrev_b64 v[0:1], 21, v[0:1]
	v_cmp_gt_i32_e32 vcc_lo, 32, v2
	v_cmp_ne_u32_e64 s13, 0, v2
                                        ; implicit-def: $vgpr48
	s_delay_alu instid0(VALU_DEP_3) | instskip(NEXT) | instid1(VALU_DEP_1)
	v_dual_cndmask_b32 v1, 0, v1 :: v_dual_cndmask_b32 v0, 3, v0
	v_cmp_ne_u64_e32 vcc_lo, 0, v[0:1]
	s_or_b32 s13, s13, vcc_lo
	s_delay_alu instid0(SALU_CYCLE_1) | instskip(NEXT) | instid1(SALU_CYCLE_1)
	s_and_saveexec_b32 s74, s13
	s_xor_b32 s13, exec_lo, s74
; %bb.9492:                             ;   in Loop: Header=BB6_8318 Depth=3
	v_min_i32_e32 v1, 31, v2
	s_delay_alu instid0(VALU_DEP_1) | instskip(NEXT) | instid1(VALU_DEP_1)
	v_lshl_or_b32 v1, v1, 2, v33
                                        ; implicit-def: $vgpr33
	v_and_or_b32 v48, v0, 3, v1
; %bb.9493:                             ;   in Loop: Header=BB6_8318 Depth=3
	s_and_not1_saveexec_b32 s13, s13
; %bb.9494:                             ;   in Loop: Header=BB6_8318 Depth=3
	v_mov_b32_e32 v48, v33
; %bb.9495:                             ;   in Loop: Header=BB6_8318 Depth=3
	s_or_b32 exec_lo, exec_lo, s13
.LBB6_9496:                             ;   in Loop: Header=BB6_8318 Depth=3
	s_delay_alu instid0(SALU_CYCLE_1)
	s_or_b32 exec_lo, exec_lo, s73
                                        ; implicit-def: $vgpr33
.LBB6_9497:                             ;   in Loop: Header=BB6_8318 Depth=3
	s_and_not1_saveexec_b32 s13, s72
; %bb.9498:                             ;   in Loop: Header=BB6_8318 Depth=3
	v_or_b32_e32 v48, 0x7b, v33
; %bb.9499:                             ;   in Loop: Header=BB6_8318 Depth=3
	s_or_b32 exec_lo, exec_lo, s13
                                        ; implicit-def: $vgpr2
                                        ; implicit-def: $vgpr0_vgpr1
.LBB6_9500:                             ;   in Loop: Header=BB6_8318 Depth=3
	s_and_not1_saveexec_b32 s13, s43
	s_cbranch_execz .LBB6_9506
; %bb.9501:                             ;   in Loop: Header=BB6_8318 Depth=3
	s_mov_b32 s43, exec_lo
                                        ; implicit-def: $vgpr48
	v_cmpx_ne_u64_e32 0, v[0:1]
	s_xor_b32 s43, exec_lo, s43
; %bb.9502:                             ;   in Loop: Header=BB6_8318 Depth=3
	v_lshrrev_b32_e32 v0, 24, v2
                                        ; implicit-def: $vgpr2
	s_delay_alu instid0(VALU_DEP_1)
	v_or_b32_e32 v48, 0x7f, v0
; %bb.9503:                             ;   in Loop: Header=BB6_8318 Depth=3
	s_and_not1_saveexec_b32 s43, s43
; %bb.9504:                             ;   in Loop: Header=BB6_8318 Depth=3
	v_cmp_lt_i32_e32 vcc_lo, -1, v2
	v_cndmask_b32_e64 v48, -4, 0x7c, vcc_lo
; %bb.9505:                             ;   in Loop: Header=BB6_8318 Depth=3
	s_or_b32 exec_lo, exec_lo, s43
.LBB6_9506:                             ;   in Loop: Header=BB6_8318 Depth=3
	s_delay_alu instid0(SALU_CYCLE_1)
	s_or_b32 exec_lo, exec_lo, s13
	v_dual_mov_b32 v0, 0 :: v_dual_mov_b32 v1, 0
	s_mov_b32 s43, exec_lo
	v_cmpx_ne_u16_e32 0, v38
	s_cbranch_execz .LBB6_9516
; %bb.9507:                             ;   in Loop: Header=BB6_8318 Depth=3
	v_bfrev_b32_e32 v1, 1
	s_mov_b32 s72, exec_lo
	v_cmpx_ne_u16_e32 0xff80, v38
	s_cbranch_execz .LBB6_9515
; %bb.9508:                             ;   in Loop: Header=BB6_8318 Depth=3
	v_and_b32_e32 v1, 0x7c, v38
	v_and_b32_e32 v2, 3, v38
	s_delay_alu instid0(VALU_DEP_2) | instskip(SKIP_1) | instid1(SALU_CYCLE_1)
	v_cmp_ne_u32_e32 vcc_lo, 0x7c, v1
                                        ; implicit-def: $vgpr1
	s_and_saveexec_b32 s13, vcc_lo
	s_xor_b32 s13, exec_lo, s13
	s_cbranch_execz .LBB6_9512
; %bb.9509:                             ;   in Loop: Header=BB6_8318 Depth=3
	v_and_b32_e32 v1, 0xff, v38
	s_mov_b32 s73, exec_lo
	s_delay_alu instid0(VALU_DEP_1) | instskip(NEXT) | instid1(VALU_DEP_1)
	v_bfe_u32 v1, v1, 2, 5
	v_cmpx_eq_u32_e32 0, v1
	s_cbranch_execz .LBB6_9511
; %bb.9510:                             ;   in Loop: Header=BB6_8318 Depth=3
	v_clz_i32_u32_e32 v1, v2
	s_delay_alu instid0(VALU_DEP_1) | instskip(SKIP_1) | instid1(VALU_DEP_2)
	v_min_u32_e32 v1, 32, v1
	v_mov_b32_e32 v39, v21
	v_subrev_nc_u32_e32 v2, 29, v1
	v_sub_nc_u32_e32 v1, 30, v1
	s_delay_alu instid0(VALU_DEP_2) | instskip(NEXT) | instid1(VALU_DEP_1)
	v_lshlrev_b64_e32 v[2:3], v2, v[38:39]
	v_and_b32_e32 v2, 3, v2
.LBB6_9511:                             ;   in Loop: Header=BB6_8318 Depth=3
	s_or_b32 exec_lo, exec_lo, s73
	v_bfe_i32 v3, v38, 0, 16
                                        ; implicit-def: $vgpr38
	s_delay_alu instid0(VALU_DEP_1) | instskip(NEXT) | instid1(VALU_DEP_1)
	v_and_b32_e32 v3, 0x80000000, v3
	v_lshl_add_u32 v1, v1, 23, v3
	s_delay_alu instid0(VALU_DEP_1) | instskip(NEXT) | instid1(VALU_DEP_1)
	v_lshl_or_b32 v1, v2, 21, v1
                                        ; implicit-def: $vgpr2
	v_add_nc_u32_e32 v1, 0x38000000, v1
.LBB6_9512:                             ;   in Loop: Header=BB6_8318 Depth=3
	s_and_not1_saveexec_b32 s73, s13
; %bb.9513:                             ;   in Loop: Header=BB6_8318 Depth=3
	v_cmp_lt_i16_e64 s13, -1, v38
	v_mov_b32_e32 v1, 0x7f800000
	v_cmp_eq_u32_e32 vcc_lo, 0, v2
	s_delay_alu instid0(VALU_DEP_2) | instskip(NEXT) | instid1(VALU_DEP_1)
	v_cndmask_b32_e64 v1, 0xff800000, v1, s13
	v_cndmask_b32_e32 v1, 0x7f800001, v1, vcc_lo
; %bb.9514:                             ;   in Loop: Header=BB6_8318 Depth=3
	s_or_b32 exec_lo, exec_lo, s73
.LBB6_9515:                             ;   in Loop: Header=BB6_8318 Depth=3
	s_delay_alu instid0(SALU_CYCLE_1)
	s_or_b32 exec_lo, exec_lo, s72
.LBB6_9516:                             ;   in Loop: Header=BB6_8318 Depth=3
	s_delay_alu instid0(SALU_CYCLE_1) | instskip(NEXT) | instid1(SALU_CYCLE_1)
	s_or_b32 exec_lo, exec_lo, s43
	s_mov_b32 s43, exec_lo
	v_cmpx_ne_u16_e32 0, v36
	s_cbranch_execz .LBB6_9526
; %bb.9517:                             ;   in Loop: Header=BB6_8318 Depth=3
	v_bfrev_b32_e32 v0, 1
	s_mov_b32 s72, exec_lo
	v_cmpx_ne_u16_e32 0xff80, v36
	s_cbranch_execz .LBB6_9525
; %bb.9518:                             ;   in Loop: Header=BB6_8318 Depth=3
	v_and_b32_e32 v0, 0x7c, v36
	v_and_b32_e32 v2, 3, v36
	s_delay_alu instid0(VALU_DEP_2) | instskip(SKIP_1) | instid1(SALU_CYCLE_1)
	v_cmp_ne_u32_e32 vcc_lo, 0x7c, v0
                                        ; implicit-def: $vgpr0
	s_and_saveexec_b32 s13, vcc_lo
	s_xor_b32 s13, exec_lo, s13
	s_cbranch_execz .LBB6_9522
; %bb.9519:                             ;   in Loop: Header=BB6_8318 Depth=3
	v_and_b32_e32 v0, 0xff, v36
	s_mov_b32 s73, exec_lo
	s_delay_alu instid0(VALU_DEP_1) | instskip(NEXT) | instid1(VALU_DEP_1)
	v_bfe_u32 v0, v0, 2, 5
	v_cmpx_eq_u32_e32 0, v0
	s_cbranch_execz .LBB6_9521
; %bb.9520:                             ;   in Loop: Header=BB6_8318 Depth=3
	v_clz_i32_u32_e32 v0, v2
	s_delay_alu instid0(VALU_DEP_1) | instskip(SKIP_1) | instid1(VALU_DEP_2)
	v_min_u32_e32 v0, 32, v0
	v_mov_b32_e32 v37, v21
	v_subrev_nc_u32_e32 v2, 29, v0
	v_sub_nc_u32_e32 v0, 30, v0
	s_delay_alu instid0(VALU_DEP_2) | instskip(NEXT) | instid1(VALU_DEP_1)
	v_lshlrev_b64_e32 v[2:3], v2, v[36:37]
	v_and_b32_e32 v2, 3, v2
.LBB6_9521:                             ;   in Loop: Header=BB6_8318 Depth=3
	s_or_b32 exec_lo, exec_lo, s73
	v_bfe_i32 v3, v36, 0, 16
                                        ; implicit-def: $vgpr36
	s_delay_alu instid0(VALU_DEP_1) | instskip(NEXT) | instid1(VALU_DEP_1)
	v_and_b32_e32 v3, 0x80000000, v3
	v_lshl_add_u32 v0, v0, 23, v3
	s_delay_alu instid0(VALU_DEP_1) | instskip(NEXT) | instid1(VALU_DEP_1)
	v_lshl_or_b32 v0, v2, 21, v0
                                        ; implicit-def: $vgpr2
	v_add_nc_u32_e32 v0, 0x38000000, v0
.LBB6_9522:                             ;   in Loop: Header=BB6_8318 Depth=3
	s_and_not1_saveexec_b32 s73, s13
; %bb.9523:                             ;   in Loop: Header=BB6_8318 Depth=3
	v_cmp_lt_i16_e64 s13, -1, v36
	v_mov_b32_e32 v0, 0x7f800000
	v_cmp_eq_u32_e32 vcc_lo, 0, v2
	s_delay_alu instid0(VALU_DEP_2) | instskip(NEXT) | instid1(VALU_DEP_1)
	v_cndmask_b32_e64 v0, 0xff800000, v0, s13
	v_cndmask_b32_e32 v0, 0x7f800001, v0, vcc_lo
; %bb.9524:                             ;   in Loop: Header=BB6_8318 Depth=3
	s_or_b32 exec_lo, exec_lo, s73
.LBB6_9525:                             ;   in Loop: Header=BB6_8318 Depth=3
	s_delay_alu instid0(SALU_CYCLE_1)
	s_or_b32 exec_lo, exec_lo, s72
.LBB6_9526:                             ;   in Loop: Header=BB6_8318 Depth=3
	s_delay_alu instid0(SALU_CYCLE_1) | instskip(NEXT) | instid1(VALU_DEP_1)
	s_or_b32 exec_lo, exec_lo, s43
	v_mul_f32_e32 v2, v1, v0
	v_mov_b32_e32 v1, v21
                                        ; implicit-def: $vgpr36
	s_delay_alu instid0(VALU_DEP_2) | instskip(NEXT) | instid1(VALU_DEP_1)
	v_and_b32_e32 v0, 0x7f800000, v2
	v_cmp_ne_u64_e32 vcc_lo, 0x7f800000, v[0:1]
	v_and_b32_e32 v0, 0x7fffff, v2
	s_and_saveexec_b32 s13, vcc_lo
	s_delay_alu instid0(SALU_CYCLE_1)
	s_xor_b32 s43, exec_lo, s13
	s_cbranch_execz .LBB6_9544
; %bb.9527:                             ;   in Loop: Header=BB6_8318 Depth=3
	v_and_b32_e32 v32, 0x7fffffff, v2
	v_dual_mov_b32 v33, v21 :: v_dual_lshrrev_b32 v3, 24, v2
                                        ; implicit-def: $vgpr36
	s_delay_alu instid0(VALU_DEP_1) | instskip(NEXT) | instid1(VALU_DEP_2)
	v_cmp_gt_u64_e32 vcc_lo, 0x47600001, v[32:33]
	v_and_b32_e32 v33, 0x80, v3
	s_and_saveexec_b32 s13, vcc_lo
	s_delay_alu instid0(SALU_CYCLE_1)
	s_xor_b32 s72, exec_lo, s13
	s_cbranch_execz .LBB6_9541
; %bb.9528:                             ;   in Loop: Header=BB6_8318 Depth=3
	v_mov_b32_e32 v36, 0
	s_mov_b32 s73, exec_lo
	v_cmpx_ne_u32_e32 0, v2
	s_cbranch_execz .LBB6_9540
; %bb.9529:                             ;   in Loop: Header=BB6_8318 Depth=3
	v_bfe_u32 v35, v2, 23, 8
	v_or_b32_e32 v3, 0x800000, v0
	s_delay_alu instid0(VALU_DEP_2) | instskip(SKIP_2) | instid1(VALU_DEP_2)
	v_cmp_gt_u32_e64 s13, 0x72, v35
	v_sub_nc_u32_e32 v2, 0x71, v35
	v_cmp_eq_u32_e32 vcc_lo, 0, v35
	v_dual_cndmask_b32 v2, 0, v2, s13 :: v_dual_cndmask_b32 v0, v3, v0, vcc_lo
	s_delay_alu instid0(VALU_DEP_1) | instskip(NEXT) | instid1(VALU_DEP_1)
	v_cndmask_b32_e64 v36, v2, 0x70, vcc_lo
	v_dual_add_nc_u32 v2, 21, v36 :: v_dual_add_nc_u32 v32, 20, v36
	s_delay_alu instid0(VALU_DEP_1) | instskip(NEXT) | instid1(VALU_DEP_2)
	v_lshlrev_b64_e64 v[2:3], v2, -1
	v_lshlrev_b64_e64 v[38:39], v32, 1
	s_delay_alu instid0(VALU_DEP_2) | instskip(SKIP_1) | instid1(VALU_DEP_4)
	v_bfi_b32 v2, v2, 0, v0
	v_lshrrev_b64 v[0:1], v36, v[0:1]
	v_bfi_b32 v3, v3, 0, 0
	s_delay_alu instid0(VALU_DEP_1) | instskip(NEXT) | instid1(VALU_DEP_3)
	v_cmp_eq_u64_e64 s13, v[2:3], v[38:39]
	v_mov_b64_e32 v[2:3], v[0:1]
	s_and_saveexec_b32 s74, s13
; %bb.9530:                             ;   in Loop: Header=BB6_8318 Depth=3
	v_bfe_u32 v2, v0, 21, 1
	v_mov_b32_e32 v3, v21
	s_delay_alu instid0(VALU_DEP_1) | instskip(NEXT) | instid1(VALU_DEP_1)
	v_add_nc_u64_e32 v[2:3], v[0:1], v[2:3]
	v_add_nc_u64_e32 v[2:3], -1, v[2:3]
; %bb.9531:                             ;   in Loop: Header=BB6_8318 Depth=3
	s_or_b32 exec_lo, exec_lo, s74
	v_add_nc_u32_e32 v1, 0xffffff81, v35
	v_lshrrev_b32_e32 v3, 23, v0
	s_mov_b32 s13, exec_lo
	s_delay_alu instid0(VALU_DEP_2) | instskip(NEXT) | instid1(VALU_DEP_1)
	v_cndmask_b32_e64 v1, v1, 0xffffff82, vcc_lo
	v_add3_u32 v35, v36, v1, v3
	v_and_b32_e32 v1, 0x1fffff, v2
                                        ; implicit-def: $vgpr2
	s_delay_alu instid0(VALU_DEP_1) | instskip(SKIP_1) | instid1(VALU_DEP_2)
	v_dual_add_nc_u32 v3, 14, v35 :: v_dual_add_nc_u32 v0, v1, v0
	v_mov_b32_e32 v1, v21
	v_cmpx_ne_u32_e32 0, v3
	s_xor_b32 s13, exec_lo, s13
; %bb.9532:                             ;   in Loop: Header=BB6_8318 Depth=3
	s_delay_alu instid0(VALU_DEP_2) | instskip(SKIP_1) | instid1(VALU_DEP_1)
	v_cmp_lt_u64_e32 vcc_lo, 0xffffff, v[0:1]
	v_add_nc_u32_e32 v2, 15, v35
	v_cndmask_b32_e32 v2, v3, v2, vcc_lo
	v_cndmask_b32_e64 v3, 0, 1, vcc_lo
	s_delay_alu instid0(VALU_DEP_1)
	v_lshrrev_b64 v[0:1], v3, v[0:1]
; %bb.9533:                             ;   in Loop: Header=BB6_8318 Depth=3
	s_and_not1_saveexec_b32 s13, s13
; %bb.9534:                             ;   in Loop: Header=BB6_8318 Depth=3
	s_delay_alu instid0(VALU_DEP_1)
	v_bfe_u32 v2, v0, 23, 1
; %bb.9535:                             ;   in Loop: Header=BB6_8318 Depth=3
	s_or_b32 exec_lo, exec_lo, s13
	s_delay_alu instid0(VALU_DEP_2) | instskip(NEXT) | instid1(VALU_DEP_2)
	v_lshrrev_b64 v[0:1], 21, v[0:1]
	v_cmp_gt_i32_e32 vcc_lo, 32, v2
	v_cmp_ne_u32_e64 s13, 0, v2
                                        ; implicit-def: $vgpr36
	s_delay_alu instid0(VALU_DEP_3) | instskip(NEXT) | instid1(VALU_DEP_1)
	v_dual_cndmask_b32 v1, 0, v1 :: v_dual_cndmask_b32 v0, 3, v0
	v_cmp_ne_u64_e32 vcc_lo, 0, v[0:1]
	s_or_b32 s13, s13, vcc_lo
	s_delay_alu instid0(SALU_CYCLE_1) | instskip(NEXT) | instid1(SALU_CYCLE_1)
	s_and_saveexec_b32 s74, s13
	s_xor_b32 s13, exec_lo, s74
; %bb.9536:                             ;   in Loop: Header=BB6_8318 Depth=3
	v_min_i32_e32 v1, 31, v2
	s_delay_alu instid0(VALU_DEP_1) | instskip(NEXT) | instid1(VALU_DEP_1)
	v_lshl_or_b32 v1, v1, 2, v33
                                        ; implicit-def: $vgpr33
	v_and_or_b32 v36, v0, 3, v1
; %bb.9537:                             ;   in Loop: Header=BB6_8318 Depth=3
	s_and_not1_saveexec_b32 s13, s13
; %bb.9538:                             ;   in Loop: Header=BB6_8318 Depth=3
	v_mov_b32_e32 v36, v33
; %bb.9539:                             ;   in Loop: Header=BB6_8318 Depth=3
	s_or_b32 exec_lo, exec_lo, s13
.LBB6_9540:                             ;   in Loop: Header=BB6_8318 Depth=3
	s_delay_alu instid0(SALU_CYCLE_1)
	s_or_b32 exec_lo, exec_lo, s73
                                        ; implicit-def: $vgpr33
.LBB6_9541:                             ;   in Loop: Header=BB6_8318 Depth=3
	s_and_not1_saveexec_b32 s13, s72
; %bb.9542:                             ;   in Loop: Header=BB6_8318 Depth=3
	v_or_b32_e32 v36, 0x7b, v33
; %bb.9543:                             ;   in Loop: Header=BB6_8318 Depth=3
	s_or_b32 exec_lo, exec_lo, s13
                                        ; implicit-def: $vgpr2
                                        ; implicit-def: $vgpr0_vgpr1
.LBB6_9544:                             ;   in Loop: Header=BB6_8318 Depth=3
	s_and_not1_saveexec_b32 s13, s43
	s_cbranch_execz .LBB6_9550
; %bb.9545:                             ;   in Loop: Header=BB6_8318 Depth=3
	s_mov_b32 s43, exec_lo
                                        ; implicit-def: $vgpr36
	v_cmpx_ne_u64_e32 0, v[0:1]
	s_xor_b32 s43, exec_lo, s43
; %bb.9546:                             ;   in Loop: Header=BB6_8318 Depth=3
	v_lshrrev_b32_e32 v0, 24, v2
                                        ; implicit-def: $vgpr2
	s_delay_alu instid0(VALU_DEP_1)
	v_or_b32_e32 v36, 0x7f, v0
; %bb.9547:                             ;   in Loop: Header=BB6_8318 Depth=3
	s_and_not1_saveexec_b32 s43, s43
; %bb.9548:                             ;   in Loop: Header=BB6_8318 Depth=3
	v_cmp_lt_i32_e32 vcc_lo, -1, v2
	v_cndmask_b32_e64 v36, -4, 0x7c, vcc_lo
; %bb.9549:                             ;   in Loop: Header=BB6_8318 Depth=3
	s_or_b32 exec_lo, exec_lo, s43
.LBB6_9550:                             ;   in Loop: Header=BB6_8318 Depth=3
	s_delay_alu instid0(SALU_CYCLE_1)
	s_or_b32 exec_lo, exec_lo, s13
	v_dual_mov_b32 v0, 0 :: v_dual_mov_b32 v1, 0
	s_mov_b32 s43, exec_lo
	v_cmpx_ne_u16_e32 0, v34
	s_cbranch_execz .LBB6_9560
; %bb.9551:                             ;   in Loop: Header=BB6_8318 Depth=3
	v_bfrev_b32_e32 v1, 1
	s_mov_b32 s72, exec_lo
	v_cmpx_ne_u16_e32 0xff80, v34
	s_cbranch_execz .LBB6_9559
; %bb.9552:                             ;   in Loop: Header=BB6_8318 Depth=3
	v_and_b32_e32 v1, 0x7c, v34
	v_and_b32_e32 v2, 3, v34
	s_delay_alu instid0(VALU_DEP_2) | instskip(SKIP_1) | instid1(SALU_CYCLE_1)
	v_cmp_ne_u32_e32 vcc_lo, 0x7c, v1
                                        ; implicit-def: $vgpr1
	s_and_saveexec_b32 s13, vcc_lo
	s_xor_b32 s13, exec_lo, s13
	s_cbranch_execz .LBB6_9556
; %bb.9553:                             ;   in Loop: Header=BB6_8318 Depth=3
	v_and_b32_e32 v1, 0xff, v34
	s_mov_b32 s73, exec_lo
	s_delay_alu instid0(VALU_DEP_1) | instskip(NEXT) | instid1(VALU_DEP_1)
	v_bfe_u32 v1, v1, 2, 5
	v_cmpx_eq_u32_e32 0, v1
	s_cbranch_execz .LBB6_9555
; %bb.9554:                             ;   in Loop: Header=BB6_8318 Depth=3
	v_clz_i32_u32_e32 v1, v2
	s_delay_alu instid0(VALU_DEP_1) | instskip(SKIP_1) | instid1(VALU_DEP_2)
	v_min_u32_e32 v1, 32, v1
	v_mov_b32_e32 v35, v21
	v_subrev_nc_u32_e32 v2, 29, v1
	v_sub_nc_u32_e32 v1, 30, v1
	s_delay_alu instid0(VALU_DEP_2) | instskip(NEXT) | instid1(VALU_DEP_1)
	v_lshlrev_b64_e32 v[2:3], v2, v[34:35]
	v_and_b32_e32 v2, 3, v2
.LBB6_9555:                             ;   in Loop: Header=BB6_8318 Depth=3
	s_or_b32 exec_lo, exec_lo, s73
	v_bfe_i32 v3, v34, 0, 16
                                        ; implicit-def: $vgpr34
	s_delay_alu instid0(VALU_DEP_1) | instskip(NEXT) | instid1(VALU_DEP_1)
	v_and_b32_e32 v3, 0x80000000, v3
	v_lshl_add_u32 v1, v1, 23, v3
	s_delay_alu instid0(VALU_DEP_1) | instskip(NEXT) | instid1(VALU_DEP_1)
	v_lshl_or_b32 v1, v2, 21, v1
                                        ; implicit-def: $vgpr2
	v_add_nc_u32_e32 v1, 0x38000000, v1
.LBB6_9556:                             ;   in Loop: Header=BB6_8318 Depth=3
	s_and_not1_saveexec_b32 s73, s13
; %bb.9557:                             ;   in Loop: Header=BB6_8318 Depth=3
	v_cmp_lt_i16_e64 s13, -1, v34
	v_mov_b32_e32 v1, 0x7f800000
	v_cmp_eq_u32_e32 vcc_lo, 0, v2
	s_delay_alu instid0(VALU_DEP_2) | instskip(NEXT) | instid1(VALU_DEP_1)
	v_cndmask_b32_e64 v1, 0xff800000, v1, s13
	v_cndmask_b32_e32 v1, 0x7f800001, v1, vcc_lo
; %bb.9558:                             ;   in Loop: Header=BB6_8318 Depth=3
	s_or_b32 exec_lo, exec_lo, s73
.LBB6_9559:                             ;   in Loop: Header=BB6_8318 Depth=3
	s_delay_alu instid0(SALU_CYCLE_1)
	s_or_b32 exec_lo, exec_lo, s72
.LBB6_9560:                             ;   in Loop: Header=BB6_8318 Depth=3
	s_delay_alu instid0(SALU_CYCLE_1)
	s_or_b32 exec_lo, exec_lo, s43
	scratch_load_b64 v[2:3], off, s33 offset:260 ; 8-byte Folded Reload
	s_mov_b32 s43, exec_lo
	s_wait_loadcnt 0x0
	s_wait_xcnt 0x0
	v_cmpx_ne_u16_e32 0, v2
	s_cbranch_execz .LBB6_9570
; %bb.9561:                             ;   in Loop: Header=BB6_8318 Depth=3
	v_bfrev_b32_e32 v0, 1
	s_mov_b32 s72, exec_lo
	v_cmpx_ne_u16_e32 0xff80, v2
	s_cbranch_execz .LBB6_9569
; %bb.9562:                             ;   in Loop: Header=BB6_8318 Depth=3
	v_and_b32_e32 v0, 0x7c, v2
	v_and_b32_e32 v2, 3, v2
	s_delay_alu instid0(VALU_DEP_2) | instskip(SKIP_1) | instid1(SALU_CYCLE_1)
	v_cmp_ne_u32_e32 vcc_lo, 0x7c, v0
                                        ; implicit-def: $vgpr0
	s_and_saveexec_b32 s13, vcc_lo
	s_xor_b32 s13, exec_lo, s13
	s_cbranch_execz .LBB6_9566
; %bb.9563:                             ;   in Loop: Header=BB6_8318 Depth=3
	scratch_load_b64 v[32:33], off, s33 offset:260 ; 8-byte Folded Reload
	s_mov_b32 s73, exec_lo
	s_wait_loadcnt 0x0
	v_and_b32_e32 v0, 0xff, v32
	s_delay_alu instid0(VALU_DEP_1) | instskip(SKIP_1) | instid1(VALU_DEP_1)
	v_bfe_u32 v0, v0, 2, 5
	s_wait_xcnt 0x0
	v_cmpx_eq_u32_e32 0, v0
	s_cbranch_execz .LBB6_9565
; %bb.9564:                             ;   in Loop: Header=BB6_8318 Depth=3
	v_clz_i32_u32_e32 v0, v2
	s_delay_alu instid0(VALU_DEP_1) | instskip(SKIP_1) | instid1(VALU_DEP_2)
	v_min_u32_e32 v0, 32, v0
	v_mov_b32_e32 v33, v21
	v_subrev_nc_u32_e32 v2, 29, v0
	v_sub_nc_u32_e32 v0, 30, v0
	s_delay_alu instid0(VALU_DEP_2) | instskip(NEXT) | instid1(VALU_DEP_1)
	v_lshlrev_b64_e32 v[2:3], v2, v[32:33]
	v_and_b32_e32 v2, 3, v2
.LBB6_9565:                             ;   in Loop: Header=BB6_8318 Depth=3
	s_or_b32 exec_lo, exec_lo, s73
	v_bfe_i32 v3, v32, 0, 16
                                        ; implicit-def: $vgpr32
	scratch_store_b64 off, v[32:33], s33 offset:260 ; 8-byte Folded Spill
	v_and_b32_e32 v3, 0x80000000, v3
	s_delay_alu instid0(VALU_DEP_1) | instskip(NEXT) | instid1(VALU_DEP_1)
	v_lshl_add_u32 v0, v0, 23, v3
	v_lshl_or_b32 v0, v2, 21, v0
                                        ; implicit-def: $vgpr2
	s_delay_alu instid0(VALU_DEP_1)
	v_add_nc_u32_e32 v0, 0x38000000, v0
.LBB6_9566:                             ;   in Loop: Header=BB6_8318 Depth=3
	s_wait_xcnt 0x0
	s_and_not1_saveexec_b32 s73, s13
	s_cbranch_execz .LBB6_9568
; %bb.9567:                             ;   in Loop: Header=BB6_8318 Depth=3
	v_cmp_eq_u32_e32 vcc_lo, 0, v2
	scratch_load_b64 v[2:3], off, s33 offset:260 th:TH_LOAD_LU ; 8-byte Folded Reload
	v_mov_b32_e32 v0, 0x7f800000
	s_wait_loadcnt 0x0
	v_cmp_lt_i16_e64 s13, -1, v2
	s_delay_alu instid0(VALU_DEP_1) | instskip(NEXT) | instid1(VALU_DEP_1)
	v_cndmask_b32_e64 v0, 0xff800000, v0, s13
	v_cndmask_b32_e32 v0, 0x7f800001, v0, vcc_lo
.LBB6_9568:                             ;   in Loop: Header=BB6_8318 Depth=3
	s_wait_xcnt 0x0
	s_or_b32 exec_lo, exec_lo, s73
.LBB6_9569:                             ;   in Loop: Header=BB6_8318 Depth=3
	s_delay_alu instid0(SALU_CYCLE_1)
	s_or_b32 exec_lo, exec_lo, s72
.LBB6_9570:                             ;   in Loop: Header=BB6_8318 Depth=3
	s_delay_alu instid0(SALU_CYCLE_1) | instskip(SKIP_2) | instid1(VALU_DEP_2)
	s_or_b32 exec_lo, exec_lo, s43
	v_mul_f32_e32 v2, v1, v0
	v_mov_b32_e32 v1, v21
                                        ; implicit-def: $vgpr32
	v_and_b32_e32 v0, 0x7f800000, v2
	s_delay_alu instid0(VALU_DEP_1) | instskip(SKIP_2) | instid1(SALU_CYCLE_1)
	v_cmp_ne_u64_e32 vcc_lo, 0x7f800000, v[0:1]
	v_and_b32_e32 v0, 0x7fffff, v2
	s_and_saveexec_b32 s13, vcc_lo
	s_xor_b32 s43, exec_lo, s13
	s_cbranch_execz .LBB6_9588
; %bb.9571:                             ;   in Loop: Header=BB6_8318 Depth=3
	v_and_b32_e32 v32, 0x7fffffff, v2
	v_dual_mov_b32 v33, v21 :: v_dual_lshrrev_b32 v3, 24, v2
	s_delay_alu instid0(VALU_DEP_1) | instskip(NEXT) | instid1(VALU_DEP_2)
	v_cmp_gt_u64_e32 vcc_lo, 0x47600001, v[32:33]
	v_and_b32_e32 v33, 0x80, v3
                                        ; implicit-def: $vgpr32
	s_and_saveexec_b32 s13, vcc_lo
	s_delay_alu instid0(SALU_CYCLE_1)
	s_xor_b32 s72, exec_lo, s13
	s_cbranch_execz .LBB6_9585
; %bb.9572:                             ;   in Loop: Header=BB6_8318 Depth=3
	v_mov_b32_e32 v32, 0
	s_mov_b32 s73, exec_lo
	v_cmpx_ne_u32_e32 0, v2
	s_cbranch_execz .LBB6_9584
; %bb.9573:                             ;   in Loop: Header=BB6_8318 Depth=3
	v_bfe_u32 v32, v2, 23, 8
	v_or_b32_e32 v3, 0x800000, v0
	s_delay_alu instid0(VALU_DEP_2) | instskip(SKIP_2) | instid1(VALU_DEP_2)
	v_cmp_gt_u32_e64 s13, 0x72, v32
	v_sub_nc_u32_e32 v2, 0x71, v32
	v_cmp_eq_u32_e32 vcc_lo, 0, v32
	v_dual_cndmask_b32 v2, 0, v2, s13 :: v_dual_cndmask_b32 v0, v3, v0, vcc_lo
	s_delay_alu instid0(VALU_DEP_1) | instskip(NEXT) | instid1(VALU_DEP_1)
	v_cndmask_b32_e64 v34, v2, 0x70, vcc_lo
	v_dual_add_nc_u32 v2, 21, v34 :: v_dual_add_nc_u32 v35, 20, v34
	s_delay_alu instid0(VALU_DEP_1) | instskip(NEXT) | instid1(VALU_DEP_2)
	v_lshlrev_b64_e64 v[2:3], v2, -1
	v_lshlrev_b64_e64 v[38:39], v35, 1
	s_delay_alu instid0(VALU_DEP_2) | instskip(SKIP_1) | instid1(VALU_DEP_4)
	v_bfi_b32 v2, v2, 0, v0
	v_lshrrev_b64 v[0:1], v34, v[0:1]
	v_bfi_b32 v3, v3, 0, 0
	s_delay_alu instid0(VALU_DEP_1) | instskip(NEXT) | instid1(VALU_DEP_3)
	v_cmp_eq_u64_e64 s13, v[2:3], v[38:39]
	v_mov_b64_e32 v[2:3], v[0:1]
	s_and_saveexec_b32 s74, s13
; %bb.9574:                             ;   in Loop: Header=BB6_8318 Depth=3
	v_bfe_u32 v2, v0, 21, 1
	v_mov_b32_e32 v3, v21
	s_delay_alu instid0(VALU_DEP_1) | instskip(NEXT) | instid1(VALU_DEP_1)
	v_add_nc_u64_e32 v[2:3], v[0:1], v[2:3]
	v_add_nc_u64_e32 v[2:3], -1, v[2:3]
; %bb.9575:                             ;   in Loop: Header=BB6_8318 Depth=3
	s_or_b32 exec_lo, exec_lo, s74
	v_add_nc_u32_e32 v1, 0xffffff81, v32
	v_lshrrev_b32_e32 v3, 23, v0
	s_mov_b32 s13, exec_lo
	s_delay_alu instid0(VALU_DEP_2) | instskip(NEXT) | instid1(VALU_DEP_1)
	v_cndmask_b32_e64 v1, v1, 0xffffff82, vcc_lo
	v_add3_u32 v32, v34, v1, v3
	v_and_b32_e32 v1, 0x1fffff, v2
                                        ; implicit-def: $vgpr2
	s_delay_alu instid0(VALU_DEP_2) | instskip(NEXT) | instid1(VALU_DEP_2)
	v_add_nc_u32_e32 v3, 14, v32
	v_add_nc_u32_e32 v0, v1, v0
	v_mov_b32_e32 v1, v21
	s_delay_alu instid0(VALU_DEP_3)
	v_cmpx_ne_u32_e32 0, v3
	s_xor_b32 s13, exec_lo, s13
; %bb.9576:                             ;   in Loop: Header=BB6_8318 Depth=3
	s_delay_alu instid0(VALU_DEP_2) | instskip(SKIP_1) | instid1(VALU_DEP_1)
	v_cmp_lt_u64_e32 vcc_lo, 0xffffff, v[0:1]
	v_add_nc_u32_e32 v2, 15, v32
	v_cndmask_b32_e32 v2, v3, v2, vcc_lo
	v_cndmask_b32_e64 v3, 0, 1, vcc_lo
	s_delay_alu instid0(VALU_DEP_1)
	v_lshrrev_b64 v[0:1], v3, v[0:1]
; %bb.9577:                             ;   in Loop: Header=BB6_8318 Depth=3
	s_and_not1_saveexec_b32 s13, s13
; %bb.9578:                             ;   in Loop: Header=BB6_8318 Depth=3
	s_delay_alu instid0(VALU_DEP_1)
	v_bfe_u32 v2, v0, 23, 1
; %bb.9579:                             ;   in Loop: Header=BB6_8318 Depth=3
	s_or_b32 exec_lo, exec_lo, s13
	s_delay_alu instid0(VALU_DEP_2) | instskip(NEXT) | instid1(VALU_DEP_2)
	v_lshrrev_b64 v[0:1], 21, v[0:1]
	v_cmp_gt_i32_e32 vcc_lo, 32, v2
	v_cmp_ne_u32_e64 s13, 0, v2
                                        ; implicit-def: $vgpr32
	s_delay_alu instid0(VALU_DEP_3) | instskip(NEXT) | instid1(VALU_DEP_1)
	v_dual_cndmask_b32 v1, 0, v1 :: v_dual_cndmask_b32 v0, 3, v0
	v_cmp_ne_u64_e32 vcc_lo, 0, v[0:1]
	s_or_b32 s13, s13, vcc_lo
	s_delay_alu instid0(SALU_CYCLE_1) | instskip(NEXT) | instid1(SALU_CYCLE_1)
	s_and_saveexec_b32 s74, s13
	s_xor_b32 s13, exec_lo, s74
; %bb.9580:                             ;   in Loop: Header=BB6_8318 Depth=3
	v_min_i32_e32 v1, 31, v2
	s_delay_alu instid0(VALU_DEP_1) | instskip(NEXT) | instid1(VALU_DEP_1)
	v_lshl_or_b32 v1, v1, 2, v33
                                        ; implicit-def: $vgpr33
	v_and_or_b32 v32, v0, 3, v1
; %bb.9581:                             ;   in Loop: Header=BB6_8318 Depth=3
	s_and_not1_saveexec_b32 s13, s13
; %bb.9582:                             ;   in Loop: Header=BB6_8318 Depth=3
	v_mov_b32_e32 v32, v33
; %bb.9583:                             ;   in Loop: Header=BB6_8318 Depth=3
	s_or_b32 exec_lo, exec_lo, s13
.LBB6_9584:                             ;   in Loop: Header=BB6_8318 Depth=3
	s_delay_alu instid0(SALU_CYCLE_1)
	s_or_b32 exec_lo, exec_lo, s73
                                        ; implicit-def: $vgpr33
.LBB6_9585:                             ;   in Loop: Header=BB6_8318 Depth=3
	s_and_not1_saveexec_b32 s13, s72
; %bb.9586:                             ;   in Loop: Header=BB6_8318 Depth=3
	v_or_b32_e32 v32, 0x7b, v33
; %bb.9587:                             ;   in Loop: Header=BB6_8318 Depth=3
	s_or_b32 exec_lo, exec_lo, s13
                                        ; implicit-def: $vgpr2
                                        ; implicit-def: $vgpr0_vgpr1
.LBB6_9588:                             ;   in Loop: Header=BB6_8318 Depth=3
	s_and_not1_saveexec_b32 s13, s43
	s_cbranch_execz .LBB6_9594
; %bb.9589:                             ;   in Loop: Header=BB6_8318 Depth=3
	s_mov_b32 s43, exec_lo
                                        ; implicit-def: $vgpr32
	v_cmpx_ne_u64_e32 0, v[0:1]
	s_xor_b32 s43, exec_lo, s43
; %bb.9590:                             ;   in Loop: Header=BB6_8318 Depth=3
	v_lshrrev_b32_e32 v0, 24, v2
                                        ; implicit-def: $vgpr2
	s_delay_alu instid0(VALU_DEP_1)
	v_or_b32_e32 v32, 0x7f, v0
; %bb.9591:                             ;   in Loop: Header=BB6_8318 Depth=3
	s_and_not1_saveexec_b32 s43, s43
; %bb.9592:                             ;   in Loop: Header=BB6_8318 Depth=3
	v_cmp_lt_i32_e32 vcc_lo, -1, v2
	v_cndmask_b32_e64 v32, -4, 0x7c, vcc_lo
; %bb.9593:                             ;   in Loop: Header=BB6_8318 Depth=3
	s_or_b32 exec_lo, exec_lo, s43
.LBB6_9594:                             ;   in Loop: Header=BB6_8318 Depth=3
	s_delay_alu instid0(SALU_CYCLE_1)
	s_or_b32 exec_lo, exec_lo, s13
	scratch_load_b64 v[2:3], off, s33 offset:236 ; 8-byte Folded Reload
	v_dual_mov_b32 v0, 0 :: v_dual_mov_b32 v1, 0
	s_mov_b32 s43, exec_lo
	s_wait_loadcnt 0x0
	s_wait_xcnt 0x0
	v_cmpx_ne_u16_e32 0, v2
	s_cbranch_execz .LBB6_9604
; %bb.9595:                             ;   in Loop: Header=BB6_8318 Depth=3
	v_bfrev_b32_e32 v1, 1
	s_mov_b32 s72, exec_lo
	v_cmpx_ne_u16_e32 0xff80, v2
	s_cbranch_execz .LBB6_9603
; %bb.9596:                             ;   in Loop: Header=BB6_8318 Depth=3
	v_and_b32_e32 v1, 0x7c, v2
	v_and_b32_e32 v2, 3, v2
	s_delay_alu instid0(VALU_DEP_2) | instskip(SKIP_1) | instid1(SALU_CYCLE_1)
	v_cmp_ne_u32_e32 vcc_lo, 0x7c, v1
                                        ; implicit-def: $vgpr1
	s_and_saveexec_b32 s13, vcc_lo
	s_xor_b32 s13, exec_lo, s13
	s_cbranch_execz .LBB6_9600
; %bb.9597:                             ;   in Loop: Header=BB6_8318 Depth=3
	scratch_load_b64 v[34:35], off, s33 offset:236 ; 8-byte Folded Reload
	s_mov_b32 s73, exec_lo
	s_wait_loadcnt 0x0
	v_and_b32_e32 v1, 0xff, v34
	s_delay_alu instid0(VALU_DEP_1) | instskip(SKIP_1) | instid1(VALU_DEP_1)
	v_bfe_u32 v1, v1, 2, 5
	s_wait_xcnt 0x0
	v_cmpx_eq_u32_e32 0, v1
	s_cbranch_execz .LBB6_9599
; %bb.9598:                             ;   in Loop: Header=BB6_8318 Depth=3
	v_clz_i32_u32_e32 v1, v2
	s_delay_alu instid0(VALU_DEP_1) | instskip(SKIP_1) | instid1(VALU_DEP_2)
	v_min_u32_e32 v1, 32, v1
	v_mov_b32_e32 v35, v21
	v_subrev_nc_u32_e32 v2, 29, v1
	v_sub_nc_u32_e32 v1, 30, v1
	s_delay_alu instid0(VALU_DEP_2) | instskip(NEXT) | instid1(VALU_DEP_1)
	v_lshlrev_b64_e32 v[2:3], v2, v[34:35]
	v_and_b32_e32 v2, 3, v2
.LBB6_9599:                             ;   in Loop: Header=BB6_8318 Depth=3
	s_or_b32 exec_lo, exec_lo, s73
	v_bfe_i32 v3, v34, 0, 16
                                        ; implicit-def: $vgpr34
	scratch_store_b64 off, v[34:35], s33 offset:236 ; 8-byte Folded Spill
	v_and_b32_e32 v3, 0x80000000, v3
	s_delay_alu instid0(VALU_DEP_1) | instskip(NEXT) | instid1(VALU_DEP_1)
	v_lshl_add_u32 v1, v1, 23, v3
	v_lshl_or_b32 v1, v2, 21, v1
                                        ; implicit-def: $vgpr2
	s_delay_alu instid0(VALU_DEP_1)
	v_add_nc_u32_e32 v1, 0x38000000, v1
.LBB6_9600:                             ;   in Loop: Header=BB6_8318 Depth=3
	s_wait_xcnt 0x0
	s_and_not1_saveexec_b32 s73, s13
	s_cbranch_execz .LBB6_9602
; %bb.9601:                             ;   in Loop: Header=BB6_8318 Depth=3
	v_cmp_eq_u32_e32 vcc_lo, 0, v2
	scratch_load_b64 v[2:3], off, s33 offset:236 th:TH_LOAD_LU ; 8-byte Folded Reload
	v_mov_b32_e32 v1, 0x7f800000
	s_wait_loadcnt 0x0
	v_cmp_lt_i16_e64 s13, -1, v2
	s_delay_alu instid0(VALU_DEP_1) | instskip(NEXT) | instid1(VALU_DEP_1)
	v_cndmask_b32_e64 v1, 0xff800000, v1, s13
	v_cndmask_b32_e32 v1, 0x7f800001, v1, vcc_lo
.LBB6_9602:                             ;   in Loop: Header=BB6_8318 Depth=3
	s_wait_xcnt 0x0
	s_or_b32 exec_lo, exec_lo, s73
.LBB6_9603:                             ;   in Loop: Header=BB6_8318 Depth=3
	s_delay_alu instid0(SALU_CYCLE_1)
	s_or_b32 exec_lo, exec_lo, s72
.LBB6_9604:                             ;   in Loop: Header=BB6_8318 Depth=3
	s_delay_alu instid0(SALU_CYCLE_1)
	s_or_b32 exec_lo, exec_lo, s43
	scratch_load_b64 v[2:3], off, s33 offset:228 ; 8-byte Folded Reload
	s_mov_b32 s43, exec_lo
	s_wait_loadcnt 0x0
	s_wait_xcnt 0x0
	v_cmpx_ne_u16_e32 0, v2
	s_cbranch_execz .LBB6_9614
; %bb.9605:                             ;   in Loop: Header=BB6_8318 Depth=3
	v_bfrev_b32_e32 v0, 1
	s_mov_b32 s72, exec_lo
	v_cmpx_ne_u16_e32 0xff80, v2
	s_cbranch_execz .LBB6_9613
; %bb.9606:                             ;   in Loop: Header=BB6_8318 Depth=3
	v_and_b32_e32 v0, 0x7c, v2
	v_and_b32_e32 v2, 3, v2
	s_delay_alu instid0(VALU_DEP_2) | instskip(SKIP_1) | instid1(SALU_CYCLE_1)
	v_cmp_ne_u32_e32 vcc_lo, 0x7c, v0
                                        ; implicit-def: $vgpr0
	s_and_saveexec_b32 s13, vcc_lo
	s_xor_b32 s13, exec_lo, s13
	s_cbranch_execz .LBB6_9610
; %bb.9607:                             ;   in Loop: Header=BB6_8318 Depth=3
	scratch_load_b64 v[34:35], off, s33 offset:228 ; 8-byte Folded Reload
	s_mov_b32 s73, exec_lo
	s_wait_loadcnt 0x0
	v_and_b32_e32 v0, 0xff, v34
	s_delay_alu instid0(VALU_DEP_1) | instskip(SKIP_1) | instid1(VALU_DEP_1)
	v_bfe_u32 v0, v0, 2, 5
	s_wait_xcnt 0x0
	v_cmpx_eq_u32_e32 0, v0
	s_cbranch_execz .LBB6_9609
; %bb.9608:                             ;   in Loop: Header=BB6_8318 Depth=3
	v_clz_i32_u32_e32 v0, v2
	s_delay_alu instid0(VALU_DEP_1) | instskip(SKIP_1) | instid1(VALU_DEP_2)
	v_min_u32_e32 v0, 32, v0
	v_mov_b32_e32 v35, v21
	v_subrev_nc_u32_e32 v2, 29, v0
	v_sub_nc_u32_e32 v0, 30, v0
	s_delay_alu instid0(VALU_DEP_2) | instskip(NEXT) | instid1(VALU_DEP_1)
	v_lshlrev_b64_e32 v[2:3], v2, v[34:35]
	v_and_b32_e32 v2, 3, v2
.LBB6_9609:                             ;   in Loop: Header=BB6_8318 Depth=3
	s_or_b32 exec_lo, exec_lo, s73
	v_bfe_i32 v3, v34, 0, 16
                                        ; implicit-def: $vgpr34
	scratch_store_b64 off, v[34:35], s33 offset:228 ; 8-byte Folded Spill
	v_and_b32_e32 v3, 0x80000000, v3
	s_delay_alu instid0(VALU_DEP_1) | instskip(NEXT) | instid1(VALU_DEP_1)
	v_lshl_add_u32 v0, v0, 23, v3
	v_lshl_or_b32 v0, v2, 21, v0
                                        ; implicit-def: $vgpr2
	s_delay_alu instid0(VALU_DEP_1)
	v_add_nc_u32_e32 v0, 0x38000000, v0
.LBB6_9610:                             ;   in Loop: Header=BB6_8318 Depth=3
	s_wait_xcnt 0x0
	s_and_not1_saveexec_b32 s73, s13
	s_cbranch_execz .LBB6_9612
; %bb.9611:                             ;   in Loop: Header=BB6_8318 Depth=3
	v_cmp_eq_u32_e32 vcc_lo, 0, v2
	scratch_load_b64 v[2:3], off, s33 offset:228 th:TH_LOAD_LU ; 8-byte Folded Reload
	v_mov_b32_e32 v0, 0x7f800000
	s_wait_loadcnt 0x0
	v_cmp_lt_i16_e64 s13, -1, v2
	s_delay_alu instid0(VALU_DEP_1) | instskip(NEXT) | instid1(VALU_DEP_1)
	v_cndmask_b32_e64 v0, 0xff800000, v0, s13
	v_cndmask_b32_e32 v0, 0x7f800001, v0, vcc_lo
.LBB6_9612:                             ;   in Loop: Header=BB6_8318 Depth=3
	s_wait_xcnt 0x0
	s_or_b32 exec_lo, exec_lo, s73
.LBB6_9613:                             ;   in Loop: Header=BB6_8318 Depth=3
	s_delay_alu instid0(SALU_CYCLE_1)
	s_or_b32 exec_lo, exec_lo, s72
.LBB6_9614:                             ;   in Loop: Header=BB6_8318 Depth=3
	s_delay_alu instid0(SALU_CYCLE_1) | instskip(SKIP_2) | instid1(VALU_DEP_2)
	s_or_b32 exec_lo, exec_lo, s43
	v_mul_f32_e32 v2, v1, v0
	v_mov_b32_e32 v1, v21
                                        ; implicit-def: $vgpr33
	v_and_b32_e32 v0, 0x7f800000, v2
	s_delay_alu instid0(VALU_DEP_1) | instskip(SKIP_2) | instid1(SALU_CYCLE_1)
	v_cmp_ne_u64_e32 vcc_lo, 0x7f800000, v[0:1]
	v_and_b32_e32 v0, 0x7fffff, v2
	s_and_saveexec_b32 s13, vcc_lo
	s_xor_b32 s43, exec_lo, s13
	s_cbranch_execz .LBB6_9632
; %bb.9615:                             ;   in Loop: Header=BB6_8318 Depth=3
	v_and_b32_e32 v34, 0x7fffffff, v2
	v_dual_mov_b32 v35, v21 :: v_dual_lshrrev_b32 v3, 24, v2
                                        ; implicit-def: $vgpr33
	s_delay_alu instid0(VALU_DEP_1) | instskip(NEXT) | instid1(VALU_DEP_2)
	v_cmp_gt_u64_e32 vcc_lo, 0x47600001, v[34:35]
	v_and_b32_e32 v34, 0x80, v3
	s_and_saveexec_b32 s13, vcc_lo
	s_delay_alu instid0(SALU_CYCLE_1)
	s_xor_b32 s72, exec_lo, s13
	s_cbranch_execz .LBB6_9629
; %bb.9616:                             ;   in Loop: Header=BB6_8318 Depth=3
	v_mov_b32_e32 v33, 0
	s_mov_b32 s73, exec_lo
	v_cmpx_ne_u32_e32 0, v2
	s_cbranch_execz .LBB6_9628
; %bb.9617:                             ;   in Loop: Header=BB6_8318 Depth=3
	v_bfe_u32 v33, v2, 23, 8
	v_or_b32_e32 v3, 0x800000, v0
	s_delay_alu instid0(VALU_DEP_2) | instskip(SKIP_2) | instid1(VALU_DEP_2)
	v_cmp_gt_u32_e64 s13, 0x72, v33
	v_sub_nc_u32_e32 v2, 0x71, v33
	v_cmp_eq_u32_e32 vcc_lo, 0, v33
	v_dual_cndmask_b32 v2, 0, v2, s13 :: v_dual_cndmask_b32 v0, v3, v0, vcc_lo
	s_delay_alu instid0(VALU_DEP_1) | instskip(NEXT) | instid1(VALU_DEP_1)
	v_cndmask_b32_e64 v35, v2, 0x70, vcc_lo
	v_dual_add_nc_u32 v2, 21, v35 :: v_dual_add_nc_u32 v37, 20, v35
	s_delay_alu instid0(VALU_DEP_1) | instskip(NEXT) | instid1(VALU_DEP_2)
	v_lshlrev_b64_e64 v[2:3], v2, -1
	v_lshlrev_b64_e64 v[38:39], v37, 1
	s_delay_alu instid0(VALU_DEP_2) | instskip(SKIP_1) | instid1(VALU_DEP_4)
	v_bfi_b32 v2, v2, 0, v0
	v_lshrrev_b64 v[0:1], v35, v[0:1]
	v_bfi_b32 v3, v3, 0, 0
	s_delay_alu instid0(VALU_DEP_1) | instskip(NEXT) | instid1(VALU_DEP_3)
	v_cmp_eq_u64_e64 s13, v[2:3], v[38:39]
	v_mov_b64_e32 v[2:3], v[0:1]
	s_and_saveexec_b32 s74, s13
; %bb.9618:                             ;   in Loop: Header=BB6_8318 Depth=3
	v_bfe_u32 v2, v0, 21, 1
	v_mov_b32_e32 v3, v21
	s_delay_alu instid0(VALU_DEP_1) | instskip(NEXT) | instid1(VALU_DEP_1)
	v_add_nc_u64_e32 v[2:3], v[0:1], v[2:3]
	v_add_nc_u64_e32 v[2:3], -1, v[2:3]
; %bb.9619:                             ;   in Loop: Header=BB6_8318 Depth=3
	s_or_b32 exec_lo, exec_lo, s74
	v_add_nc_u32_e32 v1, 0xffffff81, v33
	v_lshrrev_b32_e32 v3, 23, v0
	s_mov_b32 s13, exec_lo
	s_delay_alu instid0(VALU_DEP_2) | instskip(NEXT) | instid1(VALU_DEP_1)
	v_cndmask_b32_e64 v1, v1, 0xffffff82, vcc_lo
	v_add3_u32 v33, v35, v1, v3
	v_and_b32_e32 v1, 0x1fffff, v2
                                        ; implicit-def: $vgpr2
	s_delay_alu instid0(VALU_DEP_1) | instskip(SKIP_1) | instid1(VALU_DEP_2)
	v_dual_add_nc_u32 v3, 14, v33 :: v_dual_add_nc_u32 v0, v1, v0
	v_mov_b32_e32 v1, v21
	v_cmpx_ne_u32_e32 0, v3
	s_xor_b32 s13, exec_lo, s13
; %bb.9620:                             ;   in Loop: Header=BB6_8318 Depth=3
	s_delay_alu instid0(VALU_DEP_2) | instskip(SKIP_1) | instid1(VALU_DEP_1)
	v_cmp_lt_u64_e32 vcc_lo, 0xffffff, v[0:1]
	v_add_nc_u32_e32 v2, 15, v33
	v_cndmask_b32_e32 v2, v3, v2, vcc_lo
	v_cndmask_b32_e64 v3, 0, 1, vcc_lo
	s_delay_alu instid0(VALU_DEP_1)
	v_lshrrev_b64 v[0:1], v3, v[0:1]
; %bb.9621:                             ;   in Loop: Header=BB6_8318 Depth=3
	s_and_not1_saveexec_b32 s13, s13
; %bb.9622:                             ;   in Loop: Header=BB6_8318 Depth=3
	s_delay_alu instid0(VALU_DEP_1)
	v_bfe_u32 v2, v0, 23, 1
; %bb.9623:                             ;   in Loop: Header=BB6_8318 Depth=3
	s_or_b32 exec_lo, exec_lo, s13
	s_delay_alu instid0(VALU_DEP_2) | instskip(NEXT) | instid1(VALU_DEP_2)
	v_lshrrev_b64 v[0:1], 21, v[0:1]
	v_cmp_gt_i32_e32 vcc_lo, 32, v2
	v_cmp_ne_u32_e64 s13, 0, v2
                                        ; implicit-def: $vgpr33
	s_delay_alu instid0(VALU_DEP_3) | instskip(NEXT) | instid1(VALU_DEP_1)
	v_dual_cndmask_b32 v1, 0, v1 :: v_dual_cndmask_b32 v0, 3, v0
	v_cmp_ne_u64_e32 vcc_lo, 0, v[0:1]
	s_or_b32 s13, s13, vcc_lo
	s_delay_alu instid0(SALU_CYCLE_1) | instskip(NEXT) | instid1(SALU_CYCLE_1)
	s_and_saveexec_b32 s74, s13
	s_xor_b32 s13, exec_lo, s74
; %bb.9624:                             ;   in Loop: Header=BB6_8318 Depth=3
	v_min_i32_e32 v1, 31, v2
	s_delay_alu instid0(VALU_DEP_1) | instskip(NEXT) | instid1(VALU_DEP_1)
	v_lshl_or_b32 v1, v1, 2, v34
                                        ; implicit-def: $vgpr34
	v_and_or_b32 v33, v0, 3, v1
; %bb.9625:                             ;   in Loop: Header=BB6_8318 Depth=3
	s_and_not1_saveexec_b32 s13, s13
; %bb.9626:                             ;   in Loop: Header=BB6_8318 Depth=3
	v_mov_b32_e32 v33, v34
; %bb.9627:                             ;   in Loop: Header=BB6_8318 Depth=3
	s_or_b32 exec_lo, exec_lo, s13
.LBB6_9628:                             ;   in Loop: Header=BB6_8318 Depth=3
	s_delay_alu instid0(SALU_CYCLE_1)
	s_or_b32 exec_lo, exec_lo, s73
                                        ; implicit-def: $vgpr34
.LBB6_9629:                             ;   in Loop: Header=BB6_8318 Depth=3
	s_and_not1_saveexec_b32 s13, s72
; %bb.9630:                             ;   in Loop: Header=BB6_8318 Depth=3
	v_or_b32_e32 v33, 0x7b, v34
; %bb.9631:                             ;   in Loop: Header=BB6_8318 Depth=3
	s_or_b32 exec_lo, exec_lo, s13
                                        ; implicit-def: $vgpr2
                                        ; implicit-def: $vgpr0_vgpr1
.LBB6_9632:                             ;   in Loop: Header=BB6_8318 Depth=3
	s_and_not1_saveexec_b32 s13, s43
	s_cbranch_execz .LBB6_9638
; %bb.9633:                             ;   in Loop: Header=BB6_8318 Depth=3
	s_mov_b32 s43, exec_lo
                                        ; implicit-def: $vgpr33
	v_cmpx_ne_u64_e32 0, v[0:1]
	s_xor_b32 s43, exec_lo, s43
; %bb.9634:                             ;   in Loop: Header=BB6_8318 Depth=3
	v_lshrrev_b32_e32 v0, 24, v2
                                        ; implicit-def: $vgpr2
	s_delay_alu instid0(VALU_DEP_1)
	v_or_b32_e32 v33, 0x7f, v0
; %bb.9635:                             ;   in Loop: Header=BB6_8318 Depth=3
	s_and_not1_saveexec_b32 s43, s43
; %bb.9636:                             ;   in Loop: Header=BB6_8318 Depth=3
	v_cmp_lt_i32_e32 vcc_lo, -1, v2
	v_cndmask_b32_e64 v33, -4, 0x7c, vcc_lo
; %bb.9637:                             ;   in Loop: Header=BB6_8318 Depth=3
	s_or_b32 exec_lo, exec_lo, s43
.LBB6_9638:                             ;   in Loop: Header=BB6_8318 Depth=3
	s_delay_alu instid0(SALU_CYCLE_1)
	s_or_b32 exec_lo, exec_lo, s13
	scratch_load_b64 v[2:3], off, s33 offset:220 ; 8-byte Folded Reload
	v_dual_mov_b32 v0, 0 :: v_dual_mov_b32 v1, 0
	s_mov_b32 s43, exec_lo
	s_wait_loadcnt 0x0
	s_wait_xcnt 0x0
	v_cmpx_ne_u16_e32 0, v2
	s_cbranch_execz .LBB6_9648
; %bb.9639:                             ;   in Loop: Header=BB6_8318 Depth=3
	v_bfrev_b32_e32 v1, 1
	s_mov_b32 s72, exec_lo
	v_cmpx_ne_u16_e32 0xff80, v2
	s_cbranch_execz .LBB6_9647
; %bb.9640:                             ;   in Loop: Header=BB6_8318 Depth=3
	v_and_b32_e32 v1, 0x7c, v2
	v_and_b32_e32 v2, 3, v2
	s_delay_alu instid0(VALU_DEP_2) | instskip(SKIP_1) | instid1(SALU_CYCLE_1)
	v_cmp_ne_u32_e32 vcc_lo, 0x7c, v1
                                        ; implicit-def: $vgpr1
	s_and_saveexec_b32 s13, vcc_lo
	s_xor_b32 s13, exec_lo, s13
	s_cbranch_execz .LBB6_9644
; %bb.9641:                             ;   in Loop: Header=BB6_8318 Depth=3
	scratch_load_b64 v[34:35], off, s33 offset:220 ; 8-byte Folded Reload
	s_mov_b32 s73, exec_lo
	s_wait_loadcnt 0x0
	v_and_b32_e32 v1, 0xff, v34
	s_delay_alu instid0(VALU_DEP_1) | instskip(SKIP_1) | instid1(VALU_DEP_1)
	v_bfe_u32 v1, v1, 2, 5
	s_wait_xcnt 0x0
	v_cmpx_eq_u32_e32 0, v1
	s_cbranch_execz .LBB6_9643
; %bb.9642:                             ;   in Loop: Header=BB6_8318 Depth=3
	v_clz_i32_u32_e32 v1, v2
	s_delay_alu instid0(VALU_DEP_1) | instskip(SKIP_1) | instid1(VALU_DEP_2)
	v_min_u32_e32 v1, 32, v1
	v_mov_b32_e32 v35, v21
	v_subrev_nc_u32_e32 v2, 29, v1
	v_sub_nc_u32_e32 v1, 30, v1
	s_delay_alu instid0(VALU_DEP_2) | instskip(NEXT) | instid1(VALU_DEP_1)
	v_lshlrev_b64_e32 v[2:3], v2, v[34:35]
	v_and_b32_e32 v2, 3, v2
.LBB6_9643:                             ;   in Loop: Header=BB6_8318 Depth=3
	s_or_b32 exec_lo, exec_lo, s73
	v_bfe_i32 v3, v34, 0, 16
                                        ; implicit-def: $vgpr34
	scratch_store_b64 off, v[34:35], s33 offset:220 ; 8-byte Folded Spill
	v_and_b32_e32 v3, 0x80000000, v3
	s_delay_alu instid0(VALU_DEP_1) | instskip(NEXT) | instid1(VALU_DEP_1)
	v_lshl_add_u32 v1, v1, 23, v3
	v_lshl_or_b32 v1, v2, 21, v1
                                        ; implicit-def: $vgpr2
	s_delay_alu instid0(VALU_DEP_1)
	v_add_nc_u32_e32 v1, 0x38000000, v1
.LBB6_9644:                             ;   in Loop: Header=BB6_8318 Depth=3
	s_wait_xcnt 0x0
	s_and_not1_saveexec_b32 s73, s13
	s_cbranch_execz .LBB6_9646
; %bb.9645:                             ;   in Loop: Header=BB6_8318 Depth=3
	v_cmp_eq_u32_e32 vcc_lo, 0, v2
	scratch_load_b64 v[2:3], off, s33 offset:220 th:TH_LOAD_LU ; 8-byte Folded Reload
	v_mov_b32_e32 v1, 0x7f800000
	s_wait_loadcnt 0x0
	v_cmp_lt_i16_e64 s13, -1, v2
	s_delay_alu instid0(VALU_DEP_1) | instskip(NEXT) | instid1(VALU_DEP_1)
	v_cndmask_b32_e64 v1, 0xff800000, v1, s13
	v_cndmask_b32_e32 v1, 0x7f800001, v1, vcc_lo
.LBB6_9646:                             ;   in Loop: Header=BB6_8318 Depth=3
	s_wait_xcnt 0x0
	s_or_b32 exec_lo, exec_lo, s73
.LBB6_9647:                             ;   in Loop: Header=BB6_8318 Depth=3
	s_delay_alu instid0(SALU_CYCLE_1)
	s_or_b32 exec_lo, exec_lo, s72
.LBB6_9648:                             ;   in Loop: Header=BB6_8318 Depth=3
	s_delay_alu instid0(SALU_CYCLE_1)
	s_or_b32 exec_lo, exec_lo, s43
	scratch_load_b64 v[2:3], off, s33 offset:212 ; 8-byte Folded Reload
	s_mov_b32 s43, exec_lo
	s_wait_loadcnt 0x0
	s_wait_xcnt 0x0
	v_cmpx_ne_u16_e32 0, v2
	s_cbranch_execz .LBB6_9658
; %bb.9649:                             ;   in Loop: Header=BB6_8318 Depth=3
	v_bfrev_b32_e32 v0, 1
	s_mov_b32 s72, exec_lo
	v_cmpx_ne_u16_e32 0xff80, v2
	s_cbranch_execz .LBB6_9657
; %bb.9650:                             ;   in Loop: Header=BB6_8318 Depth=3
	v_and_b32_e32 v0, 0x7c, v2
	v_and_b32_e32 v2, 3, v2
	s_delay_alu instid0(VALU_DEP_2) | instskip(SKIP_1) | instid1(SALU_CYCLE_1)
	v_cmp_ne_u32_e32 vcc_lo, 0x7c, v0
                                        ; implicit-def: $vgpr0
	s_and_saveexec_b32 s13, vcc_lo
	s_xor_b32 s13, exec_lo, s13
	s_cbranch_execz .LBB6_9654
; %bb.9651:                             ;   in Loop: Header=BB6_8318 Depth=3
	scratch_load_b64 v[34:35], off, s33 offset:212 ; 8-byte Folded Reload
	s_mov_b32 s73, exec_lo
	s_wait_loadcnt 0x0
	v_and_b32_e32 v0, 0xff, v34
	s_delay_alu instid0(VALU_DEP_1) | instskip(SKIP_1) | instid1(VALU_DEP_1)
	v_bfe_u32 v0, v0, 2, 5
	s_wait_xcnt 0x0
	v_cmpx_eq_u32_e32 0, v0
	s_cbranch_execz .LBB6_9653
; %bb.9652:                             ;   in Loop: Header=BB6_8318 Depth=3
	v_clz_i32_u32_e32 v0, v2
	s_delay_alu instid0(VALU_DEP_1) | instskip(SKIP_1) | instid1(VALU_DEP_2)
	v_min_u32_e32 v0, 32, v0
	v_mov_b32_e32 v35, v21
	v_subrev_nc_u32_e32 v2, 29, v0
	v_sub_nc_u32_e32 v0, 30, v0
	s_delay_alu instid0(VALU_DEP_2) | instskip(NEXT) | instid1(VALU_DEP_1)
	v_lshlrev_b64_e32 v[2:3], v2, v[34:35]
	v_and_b32_e32 v2, 3, v2
.LBB6_9653:                             ;   in Loop: Header=BB6_8318 Depth=3
	s_or_b32 exec_lo, exec_lo, s73
	v_bfe_i32 v3, v34, 0, 16
                                        ; implicit-def: $vgpr34
	scratch_store_b64 off, v[34:35], s33 offset:212 ; 8-byte Folded Spill
	v_and_b32_e32 v3, 0x80000000, v3
	s_delay_alu instid0(VALU_DEP_1) | instskip(NEXT) | instid1(VALU_DEP_1)
	v_lshl_add_u32 v0, v0, 23, v3
	v_lshl_or_b32 v0, v2, 21, v0
                                        ; implicit-def: $vgpr2
	s_delay_alu instid0(VALU_DEP_1)
	v_add_nc_u32_e32 v0, 0x38000000, v0
.LBB6_9654:                             ;   in Loop: Header=BB6_8318 Depth=3
	s_wait_xcnt 0x0
	s_and_not1_saveexec_b32 s73, s13
	s_cbranch_execz .LBB6_9656
; %bb.9655:                             ;   in Loop: Header=BB6_8318 Depth=3
	v_cmp_eq_u32_e32 vcc_lo, 0, v2
	scratch_load_b64 v[2:3], off, s33 offset:212 th:TH_LOAD_LU ; 8-byte Folded Reload
	v_mov_b32_e32 v0, 0x7f800000
	s_wait_loadcnt 0x0
	v_cmp_lt_i16_e64 s13, -1, v2
	s_delay_alu instid0(VALU_DEP_1) | instskip(NEXT) | instid1(VALU_DEP_1)
	v_cndmask_b32_e64 v0, 0xff800000, v0, s13
	v_cndmask_b32_e32 v0, 0x7f800001, v0, vcc_lo
.LBB6_9656:                             ;   in Loop: Header=BB6_8318 Depth=3
	s_wait_xcnt 0x0
	s_or_b32 exec_lo, exec_lo, s73
.LBB6_9657:                             ;   in Loop: Header=BB6_8318 Depth=3
	s_delay_alu instid0(SALU_CYCLE_1)
	s_or_b32 exec_lo, exec_lo, s72
.LBB6_9658:                             ;   in Loop: Header=BB6_8318 Depth=3
	s_delay_alu instid0(SALU_CYCLE_1) | instskip(SKIP_2) | instid1(VALU_DEP_2)
	s_or_b32 exec_lo, exec_lo, s43
	v_mul_f32_e32 v2, v1, v0
	v_mov_b32_e32 v1, v21
                                        ; implicit-def: $vgpr34
	v_and_b32_e32 v0, 0x7f800000, v2
	s_delay_alu instid0(VALU_DEP_1) | instskip(SKIP_2) | instid1(SALU_CYCLE_1)
	v_cmp_ne_u64_e32 vcc_lo, 0x7f800000, v[0:1]
	v_and_b32_e32 v0, 0x7fffff, v2
	s_and_saveexec_b32 s13, vcc_lo
	s_xor_b32 s43, exec_lo, s13
	s_cbranch_execz .LBB6_9676
; %bb.9659:                             ;   in Loop: Header=BB6_8318 Depth=3
	v_and_b32_e32 v34, 0x7fffffff, v2
	v_dual_mov_b32 v35, v21 :: v_dual_lshrrev_b32 v3, 24, v2
	s_delay_alu instid0(VALU_DEP_1) | instskip(NEXT) | instid1(VALU_DEP_2)
	v_cmp_gt_u64_e32 vcc_lo, 0x47600001, v[34:35]
	v_and_b32_e32 v35, 0x80, v3
                                        ; implicit-def: $vgpr34
	s_and_saveexec_b32 s13, vcc_lo
	s_delay_alu instid0(SALU_CYCLE_1)
	s_xor_b32 s72, exec_lo, s13
	s_cbranch_execz .LBB6_9673
; %bb.9660:                             ;   in Loop: Header=BB6_8318 Depth=3
	v_mov_b32_e32 v34, 0
	s_mov_b32 s73, exec_lo
	v_cmpx_ne_u32_e32 0, v2
	s_cbranch_execz .LBB6_9672
; %bb.9661:                             ;   in Loop: Header=BB6_8318 Depth=3
	v_bfe_u32 v34, v2, 23, 8
	v_or_b32_e32 v3, 0x800000, v0
	s_delay_alu instid0(VALU_DEP_2) | instskip(SKIP_2) | instid1(VALU_DEP_2)
	v_cmp_gt_u32_e64 s13, 0x72, v34
	v_sub_nc_u32_e32 v2, 0x71, v34
	v_cmp_eq_u32_e32 vcc_lo, 0, v34
	v_dual_cndmask_b32 v2, 0, v2, s13 :: v_dual_cndmask_b32 v0, v3, v0, vcc_lo
	s_delay_alu instid0(VALU_DEP_1) | instskip(NEXT) | instid1(VALU_DEP_1)
	v_cndmask_b32_e64 v37, v2, 0x70, vcc_lo
	v_dual_add_nc_u32 v2, 21, v37 :: v_dual_add_nc_u32 v38, 20, v37
	s_delay_alu instid0(VALU_DEP_1) | instskip(NEXT) | instid1(VALU_DEP_2)
	v_lshlrev_b64_e64 v[2:3], v2, -1
	v_lshlrev_b64_e64 v[38:39], v38, 1
	s_delay_alu instid0(VALU_DEP_2) | instskip(SKIP_1) | instid1(VALU_DEP_4)
	v_bfi_b32 v2, v2, 0, v0
	v_lshrrev_b64 v[0:1], v37, v[0:1]
	v_bfi_b32 v3, v3, 0, 0
	s_delay_alu instid0(VALU_DEP_1) | instskip(NEXT) | instid1(VALU_DEP_3)
	v_cmp_eq_u64_e64 s13, v[2:3], v[38:39]
	v_mov_b64_e32 v[2:3], v[0:1]
	s_and_saveexec_b32 s74, s13
; %bb.9662:                             ;   in Loop: Header=BB6_8318 Depth=3
	v_bfe_u32 v2, v0, 21, 1
	v_mov_b32_e32 v3, v21
	s_delay_alu instid0(VALU_DEP_1) | instskip(NEXT) | instid1(VALU_DEP_1)
	v_add_nc_u64_e32 v[2:3], v[0:1], v[2:3]
	v_add_nc_u64_e32 v[2:3], -1, v[2:3]
; %bb.9663:                             ;   in Loop: Header=BB6_8318 Depth=3
	s_or_b32 exec_lo, exec_lo, s74
	v_add_nc_u32_e32 v1, 0xffffff81, v34
	v_lshrrev_b32_e32 v3, 23, v0
	s_mov_b32 s13, exec_lo
	s_delay_alu instid0(VALU_DEP_2) | instskip(NEXT) | instid1(VALU_DEP_1)
	v_cndmask_b32_e64 v1, v1, 0xffffff82, vcc_lo
	v_add3_u32 v34, v37, v1, v3
	v_and_b32_e32 v1, 0x1fffff, v2
                                        ; implicit-def: $vgpr2
	s_delay_alu instid0(VALU_DEP_1) | instskip(SKIP_1) | instid1(VALU_DEP_2)
	v_dual_add_nc_u32 v3, 14, v34 :: v_dual_add_nc_u32 v0, v1, v0
	v_mov_b32_e32 v1, v21
	v_cmpx_ne_u32_e32 0, v3
	s_xor_b32 s13, exec_lo, s13
; %bb.9664:                             ;   in Loop: Header=BB6_8318 Depth=3
	s_delay_alu instid0(VALU_DEP_2) | instskip(SKIP_1) | instid1(VALU_DEP_1)
	v_cmp_lt_u64_e32 vcc_lo, 0xffffff, v[0:1]
	v_add_nc_u32_e32 v2, 15, v34
	v_cndmask_b32_e32 v2, v3, v2, vcc_lo
	v_cndmask_b32_e64 v3, 0, 1, vcc_lo
	s_delay_alu instid0(VALU_DEP_1)
	v_lshrrev_b64 v[0:1], v3, v[0:1]
; %bb.9665:                             ;   in Loop: Header=BB6_8318 Depth=3
	s_and_not1_saveexec_b32 s13, s13
; %bb.9666:                             ;   in Loop: Header=BB6_8318 Depth=3
	s_delay_alu instid0(VALU_DEP_1)
	v_bfe_u32 v2, v0, 23, 1
; %bb.9667:                             ;   in Loop: Header=BB6_8318 Depth=3
	s_or_b32 exec_lo, exec_lo, s13
	s_delay_alu instid0(VALU_DEP_2) | instskip(NEXT) | instid1(VALU_DEP_2)
	v_lshrrev_b64 v[0:1], 21, v[0:1]
	v_cmp_gt_i32_e32 vcc_lo, 32, v2
	v_cmp_ne_u32_e64 s13, 0, v2
                                        ; implicit-def: $vgpr34
	s_delay_alu instid0(VALU_DEP_3) | instskip(NEXT) | instid1(VALU_DEP_1)
	v_dual_cndmask_b32 v1, 0, v1 :: v_dual_cndmask_b32 v0, 3, v0
	v_cmp_ne_u64_e32 vcc_lo, 0, v[0:1]
	s_or_b32 s13, s13, vcc_lo
	s_delay_alu instid0(SALU_CYCLE_1) | instskip(NEXT) | instid1(SALU_CYCLE_1)
	s_and_saveexec_b32 s74, s13
	s_xor_b32 s13, exec_lo, s74
; %bb.9668:                             ;   in Loop: Header=BB6_8318 Depth=3
	v_min_i32_e32 v1, 31, v2
	s_delay_alu instid0(VALU_DEP_1) | instskip(NEXT) | instid1(VALU_DEP_1)
	v_lshl_or_b32 v1, v1, 2, v35
                                        ; implicit-def: $vgpr35
	v_and_or_b32 v34, v0, 3, v1
; %bb.9669:                             ;   in Loop: Header=BB6_8318 Depth=3
	s_and_not1_saveexec_b32 s13, s13
; %bb.9670:                             ;   in Loop: Header=BB6_8318 Depth=3
	v_mov_b32_e32 v34, v35
; %bb.9671:                             ;   in Loop: Header=BB6_8318 Depth=3
	s_or_b32 exec_lo, exec_lo, s13
.LBB6_9672:                             ;   in Loop: Header=BB6_8318 Depth=3
	s_delay_alu instid0(SALU_CYCLE_1)
	s_or_b32 exec_lo, exec_lo, s73
                                        ; implicit-def: $vgpr35
.LBB6_9673:                             ;   in Loop: Header=BB6_8318 Depth=3
	s_and_not1_saveexec_b32 s13, s72
; %bb.9674:                             ;   in Loop: Header=BB6_8318 Depth=3
	v_or_b32_e32 v34, 0x7b, v35
; %bb.9675:                             ;   in Loop: Header=BB6_8318 Depth=3
	s_or_b32 exec_lo, exec_lo, s13
                                        ; implicit-def: $vgpr2
                                        ; implicit-def: $vgpr0_vgpr1
.LBB6_9676:                             ;   in Loop: Header=BB6_8318 Depth=3
	s_and_not1_saveexec_b32 s13, s43
	s_cbranch_execz .LBB6_9682
; %bb.9677:                             ;   in Loop: Header=BB6_8318 Depth=3
	s_mov_b32 s43, exec_lo
                                        ; implicit-def: $vgpr34
	v_cmpx_ne_u64_e32 0, v[0:1]
	s_xor_b32 s43, exec_lo, s43
; %bb.9678:                             ;   in Loop: Header=BB6_8318 Depth=3
	v_lshrrev_b32_e32 v0, 24, v2
                                        ; implicit-def: $vgpr2
	s_delay_alu instid0(VALU_DEP_1)
	v_or_b32_e32 v34, 0x7f, v0
; %bb.9679:                             ;   in Loop: Header=BB6_8318 Depth=3
	s_and_not1_saveexec_b32 s43, s43
; %bb.9680:                             ;   in Loop: Header=BB6_8318 Depth=3
	v_cmp_lt_i32_e32 vcc_lo, -1, v2
	v_cndmask_b32_e64 v34, -4, 0x7c, vcc_lo
; %bb.9681:                             ;   in Loop: Header=BB6_8318 Depth=3
	s_or_b32 exec_lo, exec_lo, s43
.LBB6_9682:                             ;   in Loop: Header=BB6_8318 Depth=3
	s_delay_alu instid0(SALU_CYCLE_1)
	s_or_b32 exec_lo, exec_lo, s13
	scratch_load_b64 v[2:3], off, s33 offset:204 ; 8-byte Folded Reload
	v_dual_mov_b32 v0, 0 :: v_dual_mov_b32 v1, 0
	s_mov_b32 s43, exec_lo
	s_wait_loadcnt 0x0
	s_wait_xcnt 0x0
	v_cmpx_ne_u16_e32 0, v2
	s_cbranch_execz .LBB6_9692
; %bb.9683:                             ;   in Loop: Header=BB6_8318 Depth=3
	v_bfrev_b32_e32 v1, 1
	s_mov_b32 s72, exec_lo
	v_cmpx_ne_u16_e32 0xff80, v2
	s_cbranch_execz .LBB6_9691
; %bb.9684:                             ;   in Loop: Header=BB6_8318 Depth=3
	v_and_b32_e32 v1, 0x7c, v2
	v_and_b32_e32 v2, 3, v2
	s_delay_alu instid0(VALU_DEP_2) | instskip(SKIP_1) | instid1(SALU_CYCLE_1)
	v_cmp_ne_u32_e32 vcc_lo, 0x7c, v1
                                        ; implicit-def: $vgpr1
	s_and_saveexec_b32 s13, vcc_lo
	s_xor_b32 s13, exec_lo, s13
	s_cbranch_execz .LBB6_9688
; %bb.9685:                             ;   in Loop: Header=BB6_8318 Depth=3
	scratch_load_b64 v[38:39], off, s33 offset:204 ; 8-byte Folded Reload
	s_mov_b32 s73, exec_lo
	s_wait_loadcnt 0x0
	v_and_b32_e32 v1, 0xff, v38
	s_delay_alu instid0(VALU_DEP_1) | instskip(SKIP_1) | instid1(VALU_DEP_1)
	v_bfe_u32 v1, v1, 2, 5
	s_wait_xcnt 0x0
	v_cmpx_eq_u32_e32 0, v1
	s_cbranch_execz .LBB6_9687
; %bb.9686:                             ;   in Loop: Header=BB6_8318 Depth=3
	v_clz_i32_u32_e32 v1, v2
	s_delay_alu instid0(VALU_DEP_1) | instskip(SKIP_1) | instid1(VALU_DEP_2)
	v_min_u32_e32 v1, 32, v1
	v_mov_b32_e32 v39, v21
	v_subrev_nc_u32_e32 v2, 29, v1
	v_sub_nc_u32_e32 v1, 30, v1
	s_delay_alu instid0(VALU_DEP_2) | instskip(NEXT) | instid1(VALU_DEP_1)
	v_lshlrev_b64_e32 v[2:3], v2, v[38:39]
	v_and_b32_e32 v2, 3, v2
.LBB6_9687:                             ;   in Loop: Header=BB6_8318 Depth=3
	s_or_b32 exec_lo, exec_lo, s73
	v_bfe_i32 v3, v38, 0, 16
                                        ; implicit-def: $vgpr38
	scratch_store_b64 off, v[38:39], s33 offset:204 ; 8-byte Folded Spill
	v_and_b32_e32 v3, 0x80000000, v3
	s_delay_alu instid0(VALU_DEP_1) | instskip(NEXT) | instid1(VALU_DEP_1)
	v_lshl_add_u32 v1, v1, 23, v3
	v_lshl_or_b32 v1, v2, 21, v1
                                        ; implicit-def: $vgpr2
	s_delay_alu instid0(VALU_DEP_1)
	v_add_nc_u32_e32 v1, 0x38000000, v1
.LBB6_9688:                             ;   in Loop: Header=BB6_8318 Depth=3
	s_wait_xcnt 0x0
	s_and_not1_saveexec_b32 s73, s13
	s_cbranch_execz .LBB6_9690
; %bb.9689:                             ;   in Loop: Header=BB6_8318 Depth=3
	v_cmp_eq_u32_e32 vcc_lo, 0, v2
	scratch_load_b64 v[2:3], off, s33 offset:204 th:TH_LOAD_LU ; 8-byte Folded Reload
	v_mov_b32_e32 v1, 0x7f800000
	s_wait_loadcnt 0x0
	v_cmp_lt_i16_e64 s13, -1, v2
	s_delay_alu instid0(VALU_DEP_1) | instskip(NEXT) | instid1(VALU_DEP_1)
	v_cndmask_b32_e64 v1, 0xff800000, v1, s13
	v_cndmask_b32_e32 v1, 0x7f800001, v1, vcc_lo
.LBB6_9690:                             ;   in Loop: Header=BB6_8318 Depth=3
	s_wait_xcnt 0x0
	s_or_b32 exec_lo, exec_lo, s73
.LBB6_9691:                             ;   in Loop: Header=BB6_8318 Depth=3
	s_delay_alu instid0(SALU_CYCLE_1)
	s_or_b32 exec_lo, exec_lo, s72
.LBB6_9692:                             ;   in Loop: Header=BB6_8318 Depth=3
	s_delay_alu instid0(SALU_CYCLE_1)
	s_or_b32 exec_lo, exec_lo, s43
	scratch_load_b64 v[2:3], off, s33 offset:196 ; 8-byte Folded Reload
	s_mov_b32 s43, exec_lo
	s_wait_loadcnt 0x0
	s_wait_xcnt 0x0
	v_cmpx_ne_u16_e32 0, v2
	s_cbranch_execz .LBB6_9702
; %bb.9693:                             ;   in Loop: Header=BB6_8318 Depth=3
	v_bfrev_b32_e32 v0, 1
	s_mov_b32 s72, exec_lo
	v_cmpx_ne_u16_e32 0xff80, v2
	s_cbranch_execz .LBB6_9701
; %bb.9694:                             ;   in Loop: Header=BB6_8318 Depth=3
	v_and_b32_e32 v0, 0x7c, v2
	v_and_b32_e32 v2, 3, v2
	s_delay_alu instid0(VALU_DEP_2) | instskip(SKIP_1) | instid1(SALU_CYCLE_1)
	v_cmp_ne_u32_e32 vcc_lo, 0x7c, v0
                                        ; implicit-def: $vgpr0
	s_and_saveexec_b32 s13, vcc_lo
	s_xor_b32 s13, exec_lo, s13
	s_cbranch_execz .LBB6_9698
; %bb.9695:                             ;   in Loop: Header=BB6_8318 Depth=3
	scratch_load_b64 v[38:39], off, s33 offset:196 ; 8-byte Folded Reload
	s_mov_b32 s73, exec_lo
	s_wait_loadcnt 0x0
	v_and_b32_e32 v0, 0xff, v38
	s_delay_alu instid0(VALU_DEP_1) | instskip(SKIP_1) | instid1(VALU_DEP_1)
	v_bfe_u32 v0, v0, 2, 5
	s_wait_xcnt 0x0
	v_cmpx_eq_u32_e32 0, v0
	s_cbranch_execz .LBB6_9697
; %bb.9696:                             ;   in Loop: Header=BB6_8318 Depth=3
	v_clz_i32_u32_e32 v0, v2
	s_delay_alu instid0(VALU_DEP_1) | instskip(SKIP_1) | instid1(VALU_DEP_2)
	v_min_u32_e32 v0, 32, v0
	v_mov_b32_e32 v39, v21
	v_subrev_nc_u32_e32 v2, 29, v0
	v_sub_nc_u32_e32 v0, 30, v0
	s_delay_alu instid0(VALU_DEP_2) | instskip(NEXT) | instid1(VALU_DEP_1)
	v_lshlrev_b64_e32 v[2:3], v2, v[38:39]
	v_and_b32_e32 v2, 3, v2
.LBB6_9697:                             ;   in Loop: Header=BB6_8318 Depth=3
	s_or_b32 exec_lo, exec_lo, s73
	v_bfe_i32 v3, v38, 0, 16
                                        ; implicit-def: $vgpr38
	scratch_store_b64 off, v[38:39], s33 offset:196 ; 8-byte Folded Spill
	v_and_b32_e32 v3, 0x80000000, v3
	s_delay_alu instid0(VALU_DEP_1) | instskip(NEXT) | instid1(VALU_DEP_1)
	v_lshl_add_u32 v0, v0, 23, v3
	v_lshl_or_b32 v0, v2, 21, v0
                                        ; implicit-def: $vgpr2
	s_delay_alu instid0(VALU_DEP_1)
	v_add_nc_u32_e32 v0, 0x38000000, v0
.LBB6_9698:                             ;   in Loop: Header=BB6_8318 Depth=3
	s_wait_xcnt 0x0
	s_and_not1_saveexec_b32 s73, s13
	s_cbranch_execz .LBB6_9700
; %bb.9699:                             ;   in Loop: Header=BB6_8318 Depth=3
	v_cmp_eq_u32_e32 vcc_lo, 0, v2
	scratch_load_b64 v[2:3], off, s33 offset:196 th:TH_LOAD_LU ; 8-byte Folded Reload
	v_mov_b32_e32 v0, 0x7f800000
	s_wait_loadcnt 0x0
	v_cmp_lt_i16_e64 s13, -1, v2
	s_delay_alu instid0(VALU_DEP_1) | instskip(NEXT) | instid1(VALU_DEP_1)
	v_cndmask_b32_e64 v0, 0xff800000, v0, s13
	v_cndmask_b32_e32 v0, 0x7f800001, v0, vcc_lo
.LBB6_9700:                             ;   in Loop: Header=BB6_8318 Depth=3
	s_wait_xcnt 0x0
	s_or_b32 exec_lo, exec_lo, s73
.LBB6_9701:                             ;   in Loop: Header=BB6_8318 Depth=3
	s_delay_alu instid0(SALU_CYCLE_1)
	s_or_b32 exec_lo, exec_lo, s72
.LBB6_9702:                             ;   in Loop: Header=BB6_8318 Depth=3
	s_delay_alu instid0(SALU_CYCLE_1) | instskip(SKIP_2) | instid1(VALU_DEP_2)
	s_or_b32 exec_lo, exec_lo, s43
	v_mul_f32_e32 v3, v1, v0
	v_mov_b32_e32 v1, v21
                                        ; implicit-def: $vgpr2
	v_and_b32_e32 v0, 0x7f800000, v3
	s_delay_alu instid0(VALU_DEP_1) | instskip(SKIP_2) | instid1(SALU_CYCLE_1)
	v_cmp_ne_u64_e32 vcc_lo, 0x7f800000, v[0:1]
	v_and_b32_e32 v0, 0x7fffff, v3
	s_and_saveexec_b32 s13, vcc_lo
	s_xor_b32 s43, exec_lo, s13
	s_cbranch_execz .LBB6_9720
; %bb.9703:                             ;   in Loop: Header=BB6_8318 Depth=3
	v_dual_mov_b32 v39, v21 :: v_dual_lshrrev_b32 v2, 24, v3
	v_and_b32_e32 v38, 0x7fffffff, v3
	s_mov_b32 s13, exec_lo
	s_delay_alu instid0(VALU_DEP_2) | instskip(NEXT) | instid1(VALU_DEP_2)
	v_and_b32_e32 v35, 0x80, v2
                                        ; implicit-def: $vgpr2
	v_cmpx_gt_u64_e32 0x47600001, v[38:39]
	s_xor_b32 s72, exec_lo, s13
	s_cbranch_execz .LBB6_9717
; %bb.9704:                             ;   in Loop: Header=BB6_8318 Depth=3
	v_mov_b32_e32 v2, 0
	s_mov_b32 s73, exec_lo
	v_cmpx_ne_u32_e32 0, v3
	s_cbranch_execz .LBB6_9716
; %bb.9705:                             ;   in Loop: Header=BB6_8318 Depth=3
	v_bfe_u32 v37, v3, 23, 8
	v_or_b32_e32 v3, 0x800000, v0
	s_delay_alu instid0(VALU_DEP_2) | instskip(SKIP_2) | instid1(VALU_DEP_2)
	v_cmp_gt_u32_e64 s13, 0x72, v37
	v_sub_nc_u32_e32 v2, 0x71, v37
	v_cmp_eq_u32_e32 vcc_lo, 0, v37
	v_dual_cndmask_b32 v2, 0, v2, s13 :: v_dual_cndmask_b32 v0, v3, v0, vcc_lo
	s_delay_alu instid0(VALU_DEP_1) | instskip(NEXT) | instid1(VALU_DEP_1)
	v_cndmask_b32_e64 v38, v2, 0x70, vcc_lo
	v_dual_add_nc_u32 v2, 21, v38 :: v_dual_add_nc_u32 v39, 20, v38
	s_delay_alu instid0(VALU_DEP_1) | instskip(NEXT) | instid1(VALU_DEP_2)
	v_lshlrev_b64_e64 v[2:3], v2, -1
	v_lshlrev_b64_e64 v[50:51], v39, 1
	s_delay_alu instid0(VALU_DEP_2) | instskip(SKIP_1) | instid1(VALU_DEP_4)
	v_bfi_b32 v2, v2, 0, v0
	v_lshrrev_b64 v[0:1], v38, v[0:1]
	v_bfi_b32 v3, v3, 0, 0
	s_delay_alu instid0(VALU_DEP_1) | instskip(NEXT) | instid1(VALU_DEP_3)
	v_cmp_eq_u64_e64 s13, v[2:3], v[50:51]
	v_mov_b64_e32 v[2:3], v[0:1]
	s_and_saveexec_b32 s74, s13
; %bb.9706:                             ;   in Loop: Header=BB6_8318 Depth=3
	v_bfe_u32 v2, v0, 21, 1
	v_mov_b32_e32 v3, v21
	s_delay_alu instid0(VALU_DEP_1) | instskip(NEXT) | instid1(VALU_DEP_1)
	v_add_nc_u64_e32 v[2:3], v[0:1], v[2:3]
	v_add_nc_u64_e32 v[2:3], -1, v[2:3]
; %bb.9707:                             ;   in Loop: Header=BB6_8318 Depth=3
	s_or_b32 exec_lo, exec_lo, s74
	v_add_nc_u32_e32 v1, 0xffffff81, v37
	v_lshrrev_b32_e32 v3, 23, v0
	s_mov_b32 s13, exec_lo
	s_delay_alu instid0(VALU_DEP_2) | instskip(NEXT) | instid1(VALU_DEP_1)
	v_cndmask_b32_e64 v1, v1, 0xffffff82, vcc_lo
	v_add3_u32 v37, v38, v1, v3
	v_and_b32_e32 v1, 0x1fffff, v2
                                        ; implicit-def: $vgpr3
	s_delay_alu instid0(VALU_DEP_1) | instskip(SKIP_1) | instid1(VALU_DEP_2)
	v_dual_add_nc_u32 v2, 14, v37 :: v_dual_add_nc_u32 v0, v1, v0
	v_mov_b32_e32 v1, v21
	v_cmpx_ne_u32_e32 0, v2
	s_xor_b32 s13, exec_lo, s13
; %bb.9708:                             ;   in Loop: Header=BB6_8318 Depth=3
	s_delay_alu instid0(VALU_DEP_2) | instskip(SKIP_1) | instid1(VALU_DEP_1)
	v_cmp_lt_u64_e32 vcc_lo, 0xffffff, v[0:1]
	v_add_nc_u32_e32 v3, 15, v37
	v_cndmask_b32_e32 v3, v2, v3, vcc_lo
	v_cndmask_b32_e64 v2, 0, 1, vcc_lo
	s_delay_alu instid0(VALU_DEP_1)
	v_lshrrev_b64 v[0:1], v2, v[0:1]
; %bb.9709:                             ;   in Loop: Header=BB6_8318 Depth=3
	s_and_not1_saveexec_b32 s13, s13
; %bb.9710:                             ;   in Loop: Header=BB6_8318 Depth=3
	s_delay_alu instid0(VALU_DEP_1)
	v_bfe_u32 v3, v0, 23, 1
; %bb.9711:                             ;   in Loop: Header=BB6_8318 Depth=3
	s_or_b32 exec_lo, exec_lo, s13
	s_delay_alu instid0(VALU_DEP_2) | instskip(NEXT) | instid1(VALU_DEP_2)
	v_lshrrev_b64 v[0:1], 21, v[0:1]
	v_cmp_gt_i32_e32 vcc_lo, 32, v3
	v_cmp_ne_u32_e64 s13, 0, v3
                                        ; implicit-def: $vgpr2
	s_delay_alu instid0(VALU_DEP_3) | instskip(NEXT) | instid1(VALU_DEP_1)
	v_dual_cndmask_b32 v1, 0, v1 :: v_dual_cndmask_b32 v0, 3, v0
	v_cmp_ne_u64_e32 vcc_lo, 0, v[0:1]
	s_or_b32 s13, s13, vcc_lo
	s_delay_alu instid0(SALU_CYCLE_1) | instskip(NEXT) | instid1(SALU_CYCLE_1)
	s_and_saveexec_b32 s74, s13
	s_xor_b32 s13, exec_lo, s74
; %bb.9712:                             ;   in Loop: Header=BB6_8318 Depth=3
	v_min_i32_e32 v1, 31, v3
	s_delay_alu instid0(VALU_DEP_1) | instskip(NEXT) | instid1(VALU_DEP_1)
	v_lshl_or_b32 v1, v1, 2, v35
                                        ; implicit-def: $vgpr35
	v_and_or_b32 v2, v0, 3, v1
; %bb.9713:                             ;   in Loop: Header=BB6_8318 Depth=3
	s_and_not1_saveexec_b32 s13, s13
; %bb.9714:                             ;   in Loop: Header=BB6_8318 Depth=3
	v_mov_b32_e32 v2, v35
; %bb.9715:                             ;   in Loop: Header=BB6_8318 Depth=3
	s_or_b32 exec_lo, exec_lo, s13
.LBB6_9716:                             ;   in Loop: Header=BB6_8318 Depth=3
	s_delay_alu instid0(SALU_CYCLE_1)
	s_or_b32 exec_lo, exec_lo, s73
                                        ; implicit-def: $vgpr35
.LBB6_9717:                             ;   in Loop: Header=BB6_8318 Depth=3
	s_and_not1_saveexec_b32 s13, s72
; %bb.9718:                             ;   in Loop: Header=BB6_8318 Depth=3
	v_or_b32_e32 v2, 0x7b, v35
; %bb.9719:                             ;   in Loop: Header=BB6_8318 Depth=3
	s_or_b32 exec_lo, exec_lo, s13
                                        ; implicit-def: $vgpr3
                                        ; implicit-def: $vgpr0_vgpr1
.LBB6_9720:                             ;   in Loop: Header=BB6_8318 Depth=3
	s_and_not1_saveexec_b32 s13, s43
	s_cbranch_execz .LBB6_8317
; %bb.9721:                             ;   in Loop: Header=BB6_8318 Depth=3
	s_mov_b32 s43, exec_lo
                                        ; implicit-def: $vgpr2
	v_cmpx_ne_u64_e32 0, v[0:1]
	s_xor_b32 s43, exec_lo, s43
; %bb.9722:                             ;   in Loop: Header=BB6_8318 Depth=3
	v_lshrrev_b32_e32 v0, 24, v3
                                        ; implicit-def: $vgpr3
	s_delay_alu instid0(VALU_DEP_1)
	v_or_b32_e32 v2, 0x7f, v0
; %bb.9723:                             ;   in Loop: Header=BB6_8318 Depth=3
	s_and_not1_saveexec_b32 s43, s43
	s_cbranch_execz .LBB6_8316
; %bb.9724:                             ;   in Loop: Header=BB6_8318 Depth=3
	v_cmp_lt_i32_e32 vcc_lo, -1, v3
	v_cndmask_b32_e64 v2, -4, 0x7c, vcc_lo
	s_branch .LBB6_8316
.LBB6_9725:                             ;   in Loop: Header=BB6_5083 Depth=2
	s_or_b32 exec_lo, exec_lo, s42
	s_clause 0x6
	scratch_load_b32 v80, off, s33 offset:364
	scratch_load_b32 v81, off, s33 offset:268
	scratch_load_b128 v[82:85], off, s33 offset:368
	scratch_load_b64 v[86:87], off, s33 offset:384
	scratch_load_b64 v[96:97], off, s33 offset:392
	;; [unrolled: 1-line block ×4, first 2 shown]
	s_wait_loadcnt 0x4
	s_clause 0x17
	scratch_load_b64 v[84:85], off, s33 offset:272
	scratch_load_b64 v[102:103], off, s33 offset:280
	;; [unrolled: 1-line block ×10, first 2 shown]
	scratch_load_b32 v41, off, s33 offset:464
	scratch_load_b64 v[74:75], off, s33 offset:468
	scratch_load_b64 v[76:77], off, s33 offset:476
	scratch_load_b64 v[78:79], off, s33 offset:484
	scratch_load_b64 v[94:95], off, s33 offset:288
	scratch_load_b64 v[104:105], off, s33 offset:356
	scratch_load_b32 v88, off, s33 offset:336
	scratch_load_b64 v[90:91], off, s33 offset:320
	scratch_load_b64 v[106:107], off, s33 offset:328
	;; [unrolled: 1-line block ×3, first 2 shown]
	scratch_load_b32 v6, off, s33 offset:512
	scratch_load_b32 v4, off, s33 offset:516
	;; [unrolled: 1-line block ×4, first 2 shown]
	v_mov_b64_e32 v[116:117], 0
	v_dual_mov_b32 v118, 1 :: v_dual_mov_b32 v119, 0x90
	v_mov_b32_e32 v40, 0x88
.LBB6_9726:                             ;   in Loop: Header=BB6_5083 Depth=2
	s_wait_xcnt 0x0
	s_or_b32 exec_lo, exec_lo, s14
	s_wait_loadcnt 0x0
	v_lshlrev_b32_e32 v0, 10, v2
	s_delay_alu instid0(VALU_DEP_1)
	v_cmp_ne_u32_e32 vcc_lo, v20, v0
	s_and_b32 exec_lo, exec_lo, vcc_lo
	s_cbranch_execz .LBB6_9776
; %bb.9727:                             ;   in Loop: Header=BB6_5083 Depth=2
	v_dual_add_nc_u32 v1, v4, v1 :: v_dual_lshlrev_b32 v2, 5, v126
	s_delay_alu instid0(VALU_DEP_1) | instskip(NEXT) | instid1(VALU_DEP_1)
	v_and_b32_e32 v1, 0xffffffe0, v1
	v_sub_nc_u32_e32 v1, v4, v1
	s_delay_alu instid0(VALU_DEP_1) | instskip(NEXT) | instid1(VALU_DEP_1)
	v_sub_nc_u32_e32 v1, v1, v2
	v_add_nc_u32_e32 v0, v0, v1
	s_delay_alu instid0(VALU_DEP_1) | instskip(NEXT) | instid1(VALU_DEP_1)
	v_sub_nc_u32_e32 v12, v20, v0
	v_cmp_lt_i32_e32 vcc_lo, 0, v12
	s_and_b32 exec_lo, exec_lo, vcc_lo
	s_cbranch_execz .LBB6_9776
; %bb.9728:                             ;   in Loop: Header=BB6_5083 Depth=2
	s_trap 2
	ds_load_b128 v[2:5], v0
	v_add_nc_u32_e32 v6, v0, v6
	s_mov_b32 s72, 0
	s_delay_alu instid0(VALU_DEP_1) | instskip(SKIP_1) | instid1(VALU_DEP_1)
	v_ashrrev_i32_e32 v7, 31, v6
	s_wait_dscnt 0x0
	v_add_nc_u64_e32 v[0:1], v[2:3], v[6:7]
	v_add_nc_u64_e32 v[2:3], v[4:5], v[6:7]
	s_delay_alu instid0(VALU_DEP_2) | instskip(NEXT) | instid1(VALU_DEP_2)
	v_mov_b64_e32 v[4:5], v[0:1]
	v_mov_b64_e32 v[6:7], v[2:3]
.LBB6_9729:                             ;   Parent Loop BB6_47 Depth=1
                                        ;     Parent Loop BB6_5083 Depth=2
                                        ; =>    This Loop Header: Depth=3
                                        ;         Child Loop BB6_9774 Depth 4
	flat_load_i8 v10, v[4:5] th:TH_LOAD_NT
	flat_load_i8 v8, v[6:7] th:TH_LOAD_NT
	v_dual_mov_b32 v9, 0 :: v_dual_mov_b32 v11, 0
	s_mov_b32 s13, exec_lo
	s_wait_loadcnt_dscnt 0x101
	s_wait_xcnt 0x0
	v_cmpx_ne_u16_e32 0, v10
	s_cbranch_execz .LBB6_9739
; %bb.9730:                             ;   in Loop: Header=BB6_9729 Depth=3
	v_bfrev_b32_e32 v11, 1
	s_mov_b32 s14, exec_lo
	v_cmpx_ne_u16_e32 0xff80, v10
	s_cbranch_execz .LBB6_9738
; %bb.9731:                             ;   in Loop: Header=BB6_9729 Depth=3
	v_and_b32_e32 v11, 0x7c, v10
	v_and_b32_e32 v13, 3, v10
	s_delay_alu instid0(VALU_DEP_2) | instskip(SKIP_1) | instid1(SALU_CYCLE_1)
	v_cmp_ne_u32_e32 vcc_lo, 0x7c, v11
                                        ; implicit-def: $vgpr11
	s_and_saveexec_b32 s42, vcc_lo
	s_xor_b32 s42, exec_lo, s42
	s_cbranch_execz .LBB6_9735
; %bb.9732:                             ;   in Loop: Header=BB6_9729 Depth=3
	v_and_b32_e32 v11, 0xff, v10
	s_mov_b32 s43, exec_lo
	s_delay_alu instid0(VALU_DEP_1) | instskip(NEXT) | instid1(VALU_DEP_1)
	v_bfe_u32 v11, v11, 2, 5
	v_cmpx_eq_u32_e32 0, v11
; %bb.9733:                             ;   in Loop: Header=BB6_9729 Depth=3
	v_clz_i32_u32_e32 v11, v13
	s_delay_alu instid0(VALU_DEP_1) | instskip(SKIP_1) | instid1(VALU_DEP_2)
	v_min_u32_e32 v13, 32, v11
	v_mov_b32_e32 v11, v21
	v_subrev_nc_u32_e32 v14, 29, v13
	s_delay_alu instid0(VALU_DEP_1) | instskip(NEXT) | instid1(VALU_DEP_1)
	v_lshlrev_b64_e32 v[14:15], v14, v[10:11]
	v_dual_sub_nc_u32 v11, 30, v13 :: v_dual_bitop2_b32 v13, 3, v14 bitop3:0x40
; %bb.9734:                             ;   in Loop: Header=BB6_9729 Depth=3
	s_or_b32 exec_lo, exec_lo, s43
	v_bfe_i32 v10, v10, 0, 16
	s_delay_alu instid0(VALU_DEP_1) | instskip(NEXT) | instid1(VALU_DEP_1)
	v_and_b32_e32 v10, 0x80000000, v10
	v_lshl_add_u32 v10, v11, 23, v10
	s_delay_alu instid0(VALU_DEP_1) | instskip(NEXT) | instid1(VALU_DEP_1)
	v_lshl_or_b32 v10, v13, 21, v10
                                        ; implicit-def: $vgpr13
	v_add_nc_u32_e32 v11, 0x38000000, v10
                                        ; implicit-def: $vgpr10
.LBB6_9735:                             ;   in Loop: Header=BB6_9729 Depth=3
	s_and_not1_saveexec_b32 s42, s42
; %bb.9736:                             ;   in Loop: Header=BB6_9729 Depth=3
	v_cmp_lt_i16_e32 vcc_lo, -1, v10
	v_mov_b32_e32 v10, 0x7f800000
	s_delay_alu instid0(VALU_DEP_1) | instskip(SKIP_1) | instid1(VALU_DEP_2)
	v_cndmask_b32_e32 v10, 0xff800000, v10, vcc_lo
	v_cmp_eq_u32_e32 vcc_lo, 0, v13
	v_cndmask_b32_e32 v11, 0x7f800001, v10, vcc_lo
; %bb.9737:                             ;   in Loop: Header=BB6_9729 Depth=3
	s_or_b32 exec_lo, exec_lo, s42
.LBB6_9738:                             ;   in Loop: Header=BB6_9729 Depth=3
	s_delay_alu instid0(SALU_CYCLE_1)
	s_or_b32 exec_lo, exec_lo, s14
.LBB6_9739:                             ;   in Loop: Header=BB6_9729 Depth=3
	s_delay_alu instid0(SALU_CYCLE_1) | instskip(NEXT) | instid1(SALU_CYCLE_1)
	s_or_b32 exec_lo, exec_lo, s13
	s_mov_b32 s13, exec_lo
	s_wait_loadcnt_dscnt 0x0
	v_cmpx_ne_u16_e32 0, v8
	s_cbranch_execz .LBB6_9749
; %bb.9740:                             ;   in Loop: Header=BB6_9729 Depth=3
	v_bfrev_b32_e32 v9, 1
	s_mov_b32 s14, exec_lo
	v_cmpx_ne_u16_e32 0xff80, v8
	s_cbranch_execz .LBB6_9748
; %bb.9741:                             ;   in Loop: Header=BB6_9729 Depth=3
	v_and_b32_e32 v9, 0x7c, v8
	v_and_b32_e32 v10, 3, v8
	s_delay_alu instid0(VALU_DEP_2) | instskip(SKIP_1) | instid1(SALU_CYCLE_1)
	v_cmp_ne_u32_e32 vcc_lo, 0x7c, v9
                                        ; implicit-def: $vgpr9
	s_and_saveexec_b32 s42, vcc_lo
	s_xor_b32 s42, exec_lo, s42
	s_cbranch_execz .LBB6_9745
; %bb.9742:                             ;   in Loop: Header=BB6_9729 Depth=3
	v_and_b32_e32 v9, 0xff, v8
	s_mov_b32 s43, exec_lo
	s_delay_alu instid0(VALU_DEP_1) | instskip(NEXT) | instid1(VALU_DEP_1)
	v_bfe_u32 v9, v9, 2, 5
	v_cmpx_eq_u32_e32 0, v9
	s_cbranch_execz .LBB6_9744
; %bb.9743:                             ;   in Loop: Header=BB6_9729 Depth=3
	v_clz_i32_u32_e32 v9, v10
	s_delay_alu instid0(VALU_DEP_1) | instskip(SKIP_1) | instid1(VALU_DEP_2)
	v_min_u32_e32 v10, 32, v9
	v_mov_b32_e32 v9, v21
	v_subrev_nc_u32_e32 v13, 29, v10
	s_delay_alu instid0(VALU_DEP_1) | instskip(SKIP_1) | instid1(VALU_DEP_2)
	v_lshlrev_b64_e32 v[14:15], v13, v[8:9]
	v_sub_nc_u32_e32 v9, 30, v10
	v_and_b32_e32 v10, 3, v14
.LBB6_9744:                             ;   in Loop: Header=BB6_9729 Depth=3
	s_or_b32 exec_lo, exec_lo, s43
	v_bfe_i32 v8, v8, 0, 16
	s_delay_alu instid0(VALU_DEP_1) | instskip(NEXT) | instid1(VALU_DEP_1)
	v_and_b32_e32 v8, 0x80000000, v8
	v_lshl_add_u32 v8, v9, 23, v8
	s_delay_alu instid0(VALU_DEP_1) | instskip(NEXT) | instid1(VALU_DEP_1)
	v_lshl_or_b32 v8, v10, 21, v8
                                        ; implicit-def: $vgpr10
	v_add_nc_u32_e32 v9, 0x38000000, v8
                                        ; implicit-def: $vgpr8
.LBB6_9745:                             ;   in Loop: Header=BB6_9729 Depth=3
	s_and_not1_saveexec_b32 s42, s42
; %bb.9746:                             ;   in Loop: Header=BB6_9729 Depth=3
	v_cmp_lt_i16_e32 vcc_lo, -1, v8
	v_mov_b32_e32 v8, 0x7f800000
	s_delay_alu instid0(VALU_DEP_1) | instskip(SKIP_1) | instid1(VALU_DEP_2)
	v_cndmask_b32_e32 v8, 0xff800000, v8, vcc_lo
	v_cmp_eq_u32_e32 vcc_lo, 0, v10
	v_cndmask_b32_e32 v9, 0x7f800001, v8, vcc_lo
; %bb.9747:                             ;   in Loop: Header=BB6_9729 Depth=3
	s_or_b32 exec_lo, exec_lo, s42
.LBB6_9748:                             ;   in Loop: Header=BB6_9729 Depth=3
	s_delay_alu instid0(SALU_CYCLE_1)
	s_or_b32 exec_lo, exec_lo, s14
.LBB6_9749:                             ;   in Loop: Header=BB6_9729 Depth=3
	s_delay_alu instid0(SALU_CYCLE_1) | instskip(NEXT) | instid1(VALU_DEP_1)
	s_or_b32 exec_lo, exec_lo, s13
	v_dual_mul_f32 v11, v11, v9 :: v_dual_mov_b32 v9, v21
                                        ; implicit-def: $vgpr10
	s_delay_alu instid0(VALU_DEP_1) | instskip(NEXT) | instid1(VALU_DEP_1)
	v_and_b32_e32 v8, 0x7f800000, v11
	v_cmp_ne_u64_e32 vcc_lo, 0x7f800000, v[8:9]
	v_and_b32_e32 v8, 0x7fffff, v11
	s_and_saveexec_b32 s13, vcc_lo
	s_delay_alu instid0(SALU_CYCLE_1)
	s_xor_b32 s14, exec_lo, s13
	s_cbranch_execz .LBB6_9767
; %bb.9750:                             ;   in Loop: Header=BB6_9729 Depth=3
	v_dual_mov_b32 v15, v21 :: v_dual_lshrrev_b32 v10, 24, v11
	v_and_b32_e32 v14, 0x7fffffff, v11
	s_mov_b32 s13, exec_lo
	s_delay_alu instid0(VALU_DEP_2) | instskip(NEXT) | instid1(VALU_DEP_2)
	v_and_b32_e32 v13, 0x80, v10
                                        ; implicit-def: $vgpr10
	v_cmpx_gt_u64_e32 0x47600001, v[14:15]
	s_xor_b32 s42, exec_lo, s13
	s_cbranch_execz .LBB6_9764
; %bb.9751:                             ;   in Loop: Header=BB6_9729 Depth=3
	v_mov_b32_e32 v10, 0
	s_mov_b32 s43, exec_lo
	v_cmpx_ne_u32_e32 0, v11
	s_cbranch_execz .LBB6_9763
; %bb.9752:                             ;   in Loop: Header=BB6_9729 Depth=3
	v_bfe_u32 v14, v11, 23, 8
	v_or_b32_e32 v16, 0x800000, v8
	s_delay_alu instid0(VALU_DEP_2) | instskip(SKIP_1) | instid1(VALU_DEP_2)
	v_sub_nc_u32_e32 v10, 0x71, v14
	v_cmp_gt_u32_e32 vcc_lo, 0x72, v14
	v_cndmask_b32_e32 v10, 0, v10, vcc_lo
	v_cmp_eq_u32_e32 vcc_lo, 0, v14
	s_delay_alu instid0(VALU_DEP_2) | instskip(NEXT) | instid1(VALU_DEP_1)
	v_cndmask_b32_e64 v15, v10, 0x70, vcc_lo
	v_dual_cndmask_b32 v8, v16, v8, vcc_lo :: v_dual_add_nc_u32 v10, 21, v15
	v_add_nc_u32_e32 v17, 20, v15
	s_delay_alu instid0(VALU_DEP_2) | instskip(NEXT) | instid1(VALU_DEP_2)
	v_lshlrev_b64_e64 v[10:11], v10, -1
	v_lshlrev_b64_e64 v[16:17], v17, 1
	s_delay_alu instid0(VALU_DEP_2) | instskip(SKIP_1) | instid1(VALU_DEP_4)
	v_bfi_b32 v10, v10, 0, v8
	v_lshrrev_b64 v[8:9], v15, v[8:9]
	v_bfi_b32 v11, v11, 0, 0
	s_delay_alu instid0(VALU_DEP_1) | instskip(NEXT) | instid1(VALU_DEP_3)
	v_cmp_eq_u64_e64 s13, v[10:11], v[16:17]
	v_mov_b64_e32 v[10:11], v[8:9]
	s_and_saveexec_b32 s73, s13
; %bb.9753:                             ;   in Loop: Header=BB6_9729 Depth=3
	v_bfe_u32 v10, v8, 21, 1
	v_mov_b32_e32 v11, v21
	s_delay_alu instid0(VALU_DEP_1) | instskip(NEXT) | instid1(VALU_DEP_1)
	v_add_nc_u64_e32 v[10:11], v[8:9], v[10:11]
	v_add_nc_u64_e32 v[10:11], -1, v[10:11]
; %bb.9754:                             ;   in Loop: Header=BB6_9729 Depth=3
	s_or_b32 exec_lo, exec_lo, s73
	v_add_nc_u32_e32 v9, 0xffffff81, v14
	v_lshrrev_b32_e32 v11, 23, v8
	s_mov_b32 s13, exec_lo
	s_delay_alu instid0(VALU_DEP_2) | instskip(NEXT) | instid1(VALU_DEP_1)
	v_cndmask_b32_e64 v9, v9, 0xffffff82, vcc_lo
	v_add3_u32 v14, v15, v9, v11
	v_and_b32_e32 v9, 0x1fffff, v10
                                        ; implicit-def: $vgpr11
	s_delay_alu instid0(VALU_DEP_1) | instskip(SKIP_1) | instid1(VALU_DEP_2)
	v_dual_add_nc_u32 v10, 14, v14 :: v_dual_add_nc_u32 v8, v9, v8
	v_mov_b32_e32 v9, v21
	v_cmpx_ne_u32_e32 0, v10
	s_xor_b32 s13, exec_lo, s13
; %bb.9755:                             ;   in Loop: Header=BB6_9729 Depth=3
	s_delay_alu instid0(VALU_DEP_2) | instskip(SKIP_1) | instid1(VALU_DEP_1)
	v_cmp_lt_u64_e32 vcc_lo, 0xffffff, v[8:9]
	v_add_nc_u32_e32 v11, 15, v14
	v_cndmask_b32_e32 v11, v10, v11, vcc_lo
	v_cndmask_b32_e64 v10, 0, 1, vcc_lo
	s_delay_alu instid0(VALU_DEP_1)
	v_lshrrev_b64 v[8:9], v10, v[8:9]
; %bb.9756:                             ;   in Loop: Header=BB6_9729 Depth=3
	s_and_not1_saveexec_b32 s13, s13
; %bb.9757:                             ;   in Loop: Header=BB6_9729 Depth=3
	s_delay_alu instid0(VALU_DEP_1)
	v_bfe_u32 v11, v8, 23, 1
; %bb.9758:                             ;   in Loop: Header=BB6_9729 Depth=3
	s_or_b32 exec_lo, exec_lo, s13
	s_delay_alu instid0(VALU_DEP_2) | instskip(NEXT) | instid1(VALU_DEP_2)
	v_lshrrev_b64 v[8:9], 21, v[8:9]
	v_cmp_gt_i32_e32 vcc_lo, 32, v11
	v_cmp_ne_u32_e64 s13, 0, v11
                                        ; implicit-def: $vgpr10
	s_delay_alu instid0(VALU_DEP_3) | instskip(NEXT) | instid1(VALU_DEP_1)
	v_dual_cndmask_b32 v9, 0, v9 :: v_dual_cndmask_b32 v8, 3, v8
	v_cmp_ne_u64_e32 vcc_lo, 0, v[8:9]
	s_or_b32 s13, s13, vcc_lo
	s_delay_alu instid0(SALU_CYCLE_1) | instskip(NEXT) | instid1(SALU_CYCLE_1)
	s_and_saveexec_b32 s73, s13
	s_xor_b32 s13, exec_lo, s73
; %bb.9759:                             ;   in Loop: Header=BB6_9729 Depth=3
	v_min_i32_e32 v9, 31, v11
	s_delay_alu instid0(VALU_DEP_1) | instskip(NEXT) | instid1(VALU_DEP_1)
	v_lshl_or_b32 v9, v9, 2, v13
                                        ; implicit-def: $vgpr13
	v_and_or_b32 v10, v8, 3, v9
; %bb.9760:                             ;   in Loop: Header=BB6_9729 Depth=3
	s_and_not1_saveexec_b32 s13, s13
; %bb.9761:                             ;   in Loop: Header=BB6_9729 Depth=3
	v_mov_b32_e32 v10, v13
; %bb.9762:                             ;   in Loop: Header=BB6_9729 Depth=3
	s_or_b32 exec_lo, exec_lo, s13
.LBB6_9763:                             ;   in Loop: Header=BB6_9729 Depth=3
	s_delay_alu instid0(SALU_CYCLE_1)
	s_or_b32 exec_lo, exec_lo, s43
                                        ; implicit-def: $vgpr13
.LBB6_9764:                             ;   in Loop: Header=BB6_9729 Depth=3
	s_and_not1_saveexec_b32 s13, s42
; %bb.9765:                             ;   in Loop: Header=BB6_9729 Depth=3
	v_or_b32_e32 v10, 0x7b, v13
; %bb.9766:                             ;   in Loop: Header=BB6_9729 Depth=3
	s_or_b32 exec_lo, exec_lo, s13
                                        ; implicit-def: $vgpr11
                                        ; implicit-def: $vgpr8_vgpr9
.LBB6_9767:                             ;   in Loop: Header=BB6_9729 Depth=3
	s_and_not1_saveexec_b32 s13, s14
	s_cbranch_execz .LBB6_9773
; %bb.9768:                             ;   in Loop: Header=BB6_9729 Depth=3
	s_mov_b32 s14, exec_lo
                                        ; implicit-def: $vgpr10
	v_cmpx_ne_u64_e32 0, v[8:9]
	s_xor_b32 s14, exec_lo, s14
; %bb.9769:                             ;   in Loop: Header=BB6_9729 Depth=3
	v_lshrrev_b32_e32 v8, 24, v11
                                        ; implicit-def: $vgpr11
	s_delay_alu instid0(VALU_DEP_1)
	v_or_b32_e32 v10, 0x7f, v8
; %bb.9770:                             ;   in Loop: Header=BB6_9729 Depth=3
	s_and_not1_saveexec_b32 s14, s14
; %bb.9771:                             ;   in Loop: Header=BB6_9729 Depth=3
	v_cmp_lt_i32_e32 vcc_lo, -1, v11
	v_cndmask_b32_e64 v10, -4, 0x7c, vcc_lo
; %bb.9772:                             ;   in Loop: Header=BB6_9729 Depth=3
	s_or_b32 exec_lo, exec_lo, s14
.LBB6_9773:                             ;   in Loop: Header=BB6_9729 Depth=3
	s_delay_alu instid0(SALU_CYCLE_1)
	s_or_b32 exec_lo, exec_lo, s13
	s_mov_b64 s[42:43], 0
	s_mov_b32 s73, -1
.LBB6_9774:                             ;   Parent Loop BB6_47 Depth=1
                                        ;     Parent Loop BB6_5083 Depth=2
                                        ;       Parent Loop BB6_9729 Depth=3
                                        ; =>      This Inner Loop Header: Depth=4
	s_cmp_eq_u32 s42, 1
	s_cselect_b32 vcc_lo, -1, 0
	s_cmp_eq_u32 s42, 0
	s_wait_xcnt 0x0
	v_dual_cndmask_b32 v9, v1, v3 :: v_dual_cndmask_b32 v8, v0, v2
	s_cselect_b32 s13, -1, 0
	s_and_b32 s14, exec_lo, s73
	s_mov_b64 s[42:43], 1
	s_mov_b32 s73, 0
	v_add_nc_u64_e32 v[14:15], 32, v[8:9]
	flat_store_b8 v[8:9], v10 th:TH_STORE_NT
	v_dual_cndmask_b32 v3, v3, v15 :: v_dual_cndmask_b32 v2, v2, v14
	v_dual_cndmask_b32 v1, v1, v15, s13 :: v_dual_cndmask_b32 v0, v0, v14, s13
	s_mov_b32 vcc_lo, s14
	s_cbranch_vccnz .LBB6_9774
; %bb.9775:                             ;   in Loop: Header=BB6_9729 Depth=3
	v_sub_nc_u32_e32 v12, v12, v114
	v_add_nc_u64_e32 v[4:5], v[4:5], v[74:75]
	v_add_nc_u64_e32 v[6:7], v[6:7], v[74:75]
	;; [unrolled: 1-line block ×4, first 2 shown]
	v_cmp_gt_i32_e32 vcc_lo, 1, v12
	s_or_b32 s72, vcc_lo, s72
	s_wait_xcnt 0x0
	s_and_not1_b32 exec_lo, exec_lo, s72
	s_cbranch_execnz .LBB6_9729
.LBB6_9776:                             ;   in Loop: Header=BB6_5083 Depth=2
	s_or_b32 exec_lo, exec_lo, s15
	scratch_load_b64 v[48:49], off, s33 offset:312 ; 8-byte Folded Reload
	s_mov_b32 s13, 0
.LBB6_9777:                             ;   in Loop: Header=BB6_5083 Depth=2
	s_delay_alu instid0(SALU_CYCLE_1)
	s_and_b32 vcc_lo, exec_lo, s13
	s_cbranch_vccnz .LBB6_9778
; %bb.15077:                            ;   in Loop: Header=BB6_5083 Depth=2
	s_add_pc_i64 .LBB6_14394-.Lpost_addpc48
.Lpost_addpc48:
.LBB6_9778:                             ;   in Loop: Header=BB6_5083 Depth=2
	s_mov_b32 s13, -1
	s_wait_xcnt 0x0
	s_and_saveexec_b32 s14, s12
	s_cbranch_execz .LBB6_9780
; %bb.9779:                             ;   in Loop: Header=BB6_5083 Depth=2
	ds_load_b32 v0, v0 offset:720
	s_wait_dscnt 0x0
	v_and_b32_e32 v0, 15, v0
	s_delay_alu instid0(VALU_DEP_1)
	v_cmp_eq_u32_e32 vcc_lo, 0, v0
	s_or_not1_b32 s13, vcc_lo, exec_lo
.LBB6_9780:                             ;   in Loop: Header=BB6_5083 Depth=2
	s_or_b32 exec_lo, exec_lo, s14
	s_and_saveexec_b32 s14, s7
	s_cbranch_execz .LBB6_9782
; %bb.9781:                             ;   in Loop: Header=BB6_5083 Depth=2
	ds_load_b32 v0, v0 offset:784
	s_wait_dscnt 0x0
	v_and_b32_e32 v0, 15, v0
	s_delay_alu instid0(VALU_DEP_1) | instskip(SKIP_3) | instid1(SALU_CYCLE_1)
	v_cmp_eq_u32_e32 vcc_lo, 0, v0
	s_and_b32 s15, s13, vcc_lo
	s_and_not1_b32 s13, s13, exec_lo
	s_and_b32 s15, s15, exec_lo
	s_or_b32 s13, s13, s15
.LBB6_9782:                             ;   in Loop: Header=BB6_5083 Depth=2
	s_or_b32 exec_lo, exec_lo, s14
	scratch_load_b32 v126, off, s33 offset:296 ; 4-byte Folded Reload
	s_xor_b32 s13, s13, -1
	v_dual_mov_b32 v8, 0 :: v_dual_mov_b32 v4, v80
	v_cndmask_b32_e64 v0, 0, 1, s13
	s_mov_b32 s13, -1
	s_delay_alu instid0(VALU_DEP_1)
	v_cmp_ne_u32_e32 vcc_lo, 0, v0
	v_mov_b32_e32 v0, v41
	s_cbranch_vccz .LBB6_9784
; %bb.9783:                             ;   in Loop: Header=BB6_5083 Depth=2
	s_wait_xcnt 0x0
	s_and_saveexec_b32 s14, s13
	s_cbranch_execnz .LBB6_12933
; %bb.15029:                            ;   in Loop: Header=BB6_5083 Depth=2
	s_add_pc_i64 .LBB6_14393-.Lpost_addpc24
.Lpost_addpc24:
.LBB6_9784:                             ;   in Loop: Header=BB6_5083 Depth=2
	scratch_load_b32 v1, off, s33 offset:296 ; 4-byte Folded Reload
	s_mov_b32 s14, exec_lo
	s_wait_loadcnt 0x0
	v_ashrrev_i32_e32 v0, 31, v1
	s_delay_alu instid0(VALU_DEP_1) | instskip(NEXT) | instid1(VALU_DEP_1)
	v_lshrrev_b32_e32 v0, 21, v0
	v_add_nc_u32_e32 v0, v1, v0
	s_delay_alu instid0(VALU_DEP_1) | instskip(NEXT) | instid1(VALU_DEP_1)
	v_ashrrev_i32_e32 v29, 11, v0
	v_sub_nc_u32_e32 v28, v29, v41
	s_wait_xcnt 0x0
	s_delay_alu instid0(VALU_DEP_1)
	v_cmpx_lt_i32_e32 0, v28
	s_cbranch_execz .LBB6_12348
; %bb.9785:                             ;   in Loop: Header=BB6_5083 Depth=2
	s_trap 2
	scratch_load_b64 v[2:3], off, s33 offset:524 ; 8-byte Folded Reload
	ds_load_b64 v[0:1], v0
	v_mov_b64_e32 v[56:57], v[94:95]
	v_mov_b64_e32 v[42:43], v[102:103]
	;; [unrolled: 1-line block ×4, first 2 shown]
	v_mov_b32_e32 v118, v81
	s_mov_b32 s15, 0
	s_wait_loadcnt_dscnt 0x0
	v_add_nc_u64_e32 v[94:95], v[0:1], v[2:3]
	scratch_load_b64 v[0:1], off, s33 offset:304 ; 8-byte Folded Reload
	v_add_nc_u64_e32 v[92:93], v[48:49], v[2:3]
	s_wait_loadcnt 0x0
	v_add_nc_u64_e32 v[104:105], v[0:1], v[2:3]
	s_branch .LBB6_9788
.LBB6_9786:                             ;   in Loop: Header=BB6_9788 Depth=3
	s_or_b32 exec_lo, exec_lo, s42
.LBB6_9787:                             ;   in Loop: Header=BB6_9788 Depth=3
	s_delay_alu instid0(SALU_CYCLE_1)
	s_or_b32 exec_lo, exec_lo, s13
	v_lshl_or_b32 v0, v23, 8, v22
	v_dual_lshlrev_b32 v1, 16, v18 :: v_dual_lshlrev_b32 v3, 24, v19
	v_lshl_or_b32 v5, v34, 8, v27
	v_dual_lshlrev_b32 v10, 16, v35 :: v_dual_lshlrev_b32 v11, 24, v96
	v_dual_lshlrev_b32 v16, 24, v16 :: v_dual_lshlrev_b32 v18, 16, v97
	s_delay_alu instid0(VALU_DEP_4)
	v_or3_b32 v115, v0, v1, v3
	v_lshlrev_b32_e32 v0, 24, v84
	v_lshl_or_b32 v1, v86, 8, v85
	v_lshlrev_b32_e32 v3, 16, v87
	v_lshl_or_b32 v14, v15, 8, v14
	v_lshl_or_b32 v15, v71, 8, v70
	v_dual_lshlrev_b32 v19, 16, v80 :: v_dual_lshlrev_b32 v27, 16, v51
	v_dual_lshlrev_b32 v22, 24, v24 :: v_dual_lshlrev_b32 v34, 24, v69
	v_lshl_or_b32 v24, v50, 8, v39
	v_or3_b32 v114, v5, v10, v0
	v_or3_b32 v116, v1, v3, v11
	v_lshl_or_b32 v0, v32, 8, v25
	v_dual_lshlrev_b32 v1, 16, v33 :: v_dual_lshlrev_b32 v5, 24, v26
	v_dual_lshlrev_b32 v3, 24, v81 :: v_dual_lshlrev_b32 v10, 16, v20
	v_or3_b32 v117, v14, v18, v16
	v_or3_b32 v23, v15, v19, v22
	;; [unrolled: 1-line block ×3, first 2 shown]
	v_lshl_or_b32 v11, v83, 8, v82
	v_lshl_or_b32 v14, v55, 8, v54
	v_dual_lshlrev_b32 v15, 16, v64 :: v_dual_lshlrev_b32 v20, 24, v53
	v_dual_lshlrev_b32 v16, 24, v36 :: v_dual_lshlrev_b32 v27, 16, v49
	v_lshl_or_b32 v18, v31, 8, v30
	v_dual_lshlrev_b32 v19, 16, v52 :: v_dual_lshlrev_b32 v30, 24, v65
	v_lshl_or_b32 v26, v48, 8, v37
	v_or3_b32 v24, v0, v1, v3
	v_dual_lshlrev_b32 v0, 24, v38 :: v_dual_lshlrev_b32 v1, 16, v68
	v_lshl_or_b32 v3, v67, 8, v66
	v_or3_b32 v25, v11, v10, v5
	v_or3_b32 v15, v14, v15, v16
	;; [unrolled: 1-line block ×4, first 2 shown]
	v_lshl_or_b32 v11, v98, 8, v17
	v_or3_b32 v17, v3, v1, v0
	v_lshl_or_b32 v5, v13, 8, v12
	v_dual_lshlrev_b32 v10, 16, v101 :: v_dual_lshlrev_b32 v8, 24, v8
	v_dual_lshlrev_b32 v12, 16, v99 :: v_dual_lshlrev_b32 v13, 24, v100
	v_lshl_or_b32 v9, v102, 8, v9
	v_dual_lshlrev_b32 v18, 16, v103 :: v_dual_lshlrev_b32 v19, 24, v112
	v_dual_lshlrev_b32 v20, 24, v2 :: v_dual_lshlrev_b32 v4, 16, v4
	v_lshl_or_b32 v6, v7, 8, v6
	s_clause 0x1
	global_store_b128 v[104:105], v[14:17], off th:TH_STORE_NT
	global_store_b128 v[104:105], v[22:25], off offset:512 th:TH_STORE_NT
	v_or3_b32 v1, v5, v10, v8
	v_or3_b32 v0, v11, v12, v13
	;; [unrolled: 1-line block ×4, first 2 shown]
	scratch_load_b64 v[26:27], off, s33 offset:188 ; 8-byte Folded Reload
	s_clause 0x1
	global_store_b128 v[104:105], v[114:117], off offset:1024 th:TH_STORE_NT
	global_store_b128 v[104:105], v[0:3], off offset:1536 th:TH_STORE_NT
	scratch_load_b64 v[0:1], off, s33 offset:252 ; 8-byte Folded Reload
	s_wait_loadcnt 0x1
	v_sub_nc_u32_e32 v28, v28, v26
	s_wait_loadcnt 0x0
	v_add_nc_u64_e32 v[92:93], v[92:93], v[0:1]
	v_add_nc_u64_e32 v[94:95], v[94:95], v[0:1]
	s_delay_alu instid0(VALU_DEP_3)
	v_cmp_gt_i32_e32 vcc_lo, 1, v28
	v_add_nc_u64_e32 v[104:105], v[104:105], v[0:1]
	s_or_b32 s15, vcc_lo, s15
	s_wait_xcnt 0x0
	s_and_not1_b32 exec_lo, exec_lo, s15
	s_cbranch_execz .LBB6_12347
.LBB6_9788:                             ;   Parent Loop BB6_47 Depth=1
                                        ;     Parent Loop BB6_5083 Depth=2
                                        ; =>    This Inner Loop Header: Depth=3
	s_clause 0x3
	global_load_b128 v[48:51], v[92:93], off th:TH_LOAD_NT
	global_load_b128 v[32:35], v[92:93], off offset:512 th:TH_LOAD_NT
	global_load_b128 v[14:17], v[92:93], off offset:1024 th:TH_LOAD_NT
	;; [unrolled: 1-line block ×3, first 2 shown]
	s_clause 0x3
	global_load_b128 v[36:39], v[94:95], off th:TH_LOAD_NT
	global_load_b128 v[24:27], v[94:95], off offset:512 th:TH_LOAD_NT
	global_load_b128 v[4:7], v[94:95], off offset:1024 th:TH_LOAD_NT
	;; [unrolled: 1-line block ×3, first 2 shown]
	v_mov_b32_e32 v12, 0
	s_wait_loadcnt 0x7
	v_and_b32_e32 v13, 0xff, v48
	s_delay_alu instid0(VALU_DEP_1)
	v_cmp_ne_u16_e32 vcc_lo, 0, v13
	v_mov_b32_e32 v13, 0
	s_wait_xcnt 0x0
	s_and_saveexec_b32 s13, vcc_lo
	s_cbranch_execz .LBB6_9798
; %bb.9789:                             ;   in Loop: Header=BB6_9788 Depth=3
	v_bfe_i32 v19, v48, 0, 8
	v_bfrev_b32_e32 v13, 1
	s_mov_b32 s42, exec_lo
	s_delay_alu instid0(VALU_DEP_2)
	v_cmpx_ne_u16_e32 0xff80, v19
	s_cbranch_execz .LBB6_9797
; %bb.9790:                             ;   in Loop: Header=BB6_9788 Depth=3
	v_and_b32_e32 v13, 0x7c, v48
	v_and_b32_e32 v18, 3, v48
	s_delay_alu instid0(VALU_DEP_2) | instskip(SKIP_1) | instid1(SALU_CYCLE_1)
	v_cmp_ne_u32_e32 vcc_lo, 0x7c, v13
                                        ; implicit-def: $vgpr13
	s_and_saveexec_b32 s43, vcc_lo
	s_xor_b32 s43, exec_lo, s43
	s_cbranch_execz .LBB6_9794
; %bb.9791:                             ;   in Loop: Header=BB6_9788 Depth=3
	v_bfe_u32 v13, v48, 2, 5
	s_mov_b32 s72, exec_lo
	s_delay_alu instid0(VALU_DEP_1)
	v_cmpx_eq_u32_e32 0, v13
; %bb.9792:                             ;   in Loop: Header=BB6_9788 Depth=3
	v_clz_i32_u32_e32 v13, v18
	s_delay_alu instid0(VALU_DEP_1) | instskip(NEXT) | instid1(VALU_DEP_1)
	v_min_u32_e32 v13, 32, v13
	v_subrev_nc_u32_e32 v18, 29, v13
	s_delay_alu instid0(VALU_DEP_1) | instskip(NEXT) | instid1(VALU_DEP_1)
	v_lshlrev_b64_e32 v[18:19], v18, v[48:49]
	v_dual_sub_nc_u32 v13, 30, v13 :: v_dual_bitop2_b32 v18, 3, v18 bitop3:0x40
; %bb.9793:                             ;   in Loop: Header=BB6_9788 Depth=3
	s_or_b32 exec_lo, exec_lo, s72
	v_lshlrev_b32_e32 v19, 24, v48
	s_delay_alu instid0(VALU_DEP_1) | instskip(NEXT) | instid1(VALU_DEP_1)
	v_and_b32_e32 v19, 0x80000000, v19
	v_lshl_add_u32 v13, v13, 23, v19
                                        ; implicit-def: $vgpr19
	s_delay_alu instid0(VALU_DEP_1) | instskip(NEXT) | instid1(VALU_DEP_1)
	v_lshl_or_b32 v13, v18, 21, v13
                                        ; implicit-def: $vgpr18
	v_add_nc_u32_e32 v13, 0x38000000, v13
.LBB6_9794:                             ;   in Loop: Header=BB6_9788 Depth=3
	s_and_not1_saveexec_b32 s43, s43
; %bb.9795:                             ;   in Loop: Header=BB6_9788 Depth=3
	v_cmp_lt_i16_e32 vcc_lo, -1, v19
	v_mov_b32_e32 v13, 0x7f800000
	s_delay_alu instid0(VALU_DEP_1) | instskip(SKIP_1) | instid1(VALU_DEP_2)
	v_cndmask_b32_e32 v13, 0xff800000, v13, vcc_lo
	v_cmp_eq_u32_e32 vcc_lo, 0, v18
	v_cndmask_b32_e32 v13, 0x7f800001, v13, vcc_lo
; %bb.9796:                             ;   in Loop: Header=BB6_9788 Depth=3
	s_or_b32 exec_lo, exec_lo, s43
.LBB6_9797:                             ;   in Loop: Header=BB6_9788 Depth=3
	s_delay_alu instid0(SALU_CYCLE_1)
	s_or_b32 exec_lo, exec_lo, s42
.LBB6_9798:                             ;   in Loop: Header=BB6_9788 Depth=3
	s_delay_alu instid0(SALU_CYCLE_1) | instskip(SKIP_3) | instid1(VALU_DEP_1)
	s_or_b32 exec_lo, exec_lo, s13
	s_wait_loadcnt 0x3
	v_and_b32_e32 v18, 0xff, v36
	s_mov_b32 s13, exec_lo
	v_cmpx_ne_u16_e32 0, v18
	s_cbranch_execz .LBB6_9808
; %bb.9799:                             ;   in Loop: Header=BB6_9788 Depth=3
	v_bfe_i32 v19, v36, 0, 8
	v_bfrev_b32_e32 v12, 1
	s_mov_b32 s42, exec_lo
	s_delay_alu instid0(VALU_DEP_2)
	v_cmpx_ne_u16_e32 0xff80, v19
	s_cbranch_execz .LBB6_9807
; %bb.9800:                             ;   in Loop: Header=BB6_9788 Depth=3
	v_and_b32_e32 v12, 0x7c, v36
	v_and_b32_e32 v18, 3, v36
	s_delay_alu instid0(VALU_DEP_2) | instskip(SKIP_1) | instid1(SALU_CYCLE_1)
	v_cmp_ne_u32_e32 vcc_lo, 0x7c, v12
                                        ; implicit-def: $vgpr12
	s_and_saveexec_b32 s43, vcc_lo
	s_xor_b32 s43, exec_lo, s43
	s_cbranch_execz .LBB6_9804
; %bb.9801:                             ;   in Loop: Header=BB6_9788 Depth=3
	v_bfe_u32 v12, v36, 2, 5
	s_mov_b32 s72, exec_lo
	s_delay_alu instid0(VALU_DEP_1)
	v_cmpx_eq_u32_e32 0, v12
; %bb.9802:                             ;   in Loop: Header=BB6_9788 Depth=3
	v_clz_i32_u32_e32 v12, v18
	s_delay_alu instid0(VALU_DEP_1) | instskip(NEXT) | instid1(VALU_DEP_1)
	v_min_u32_e32 v12, 32, v12
	v_subrev_nc_u32_e32 v18, 29, v12
	s_delay_alu instid0(VALU_DEP_1) | instskip(NEXT) | instid1(VALU_DEP_1)
	v_lshlrev_b64_e32 v[18:19], v18, v[36:37]
	v_dual_sub_nc_u32 v12, 30, v12 :: v_dual_bitop2_b32 v18, 3, v18 bitop3:0x40
; %bb.9803:                             ;   in Loop: Header=BB6_9788 Depth=3
	s_or_b32 exec_lo, exec_lo, s72
	v_lshlrev_b32_e32 v19, 24, v36
	s_delay_alu instid0(VALU_DEP_1) | instskip(NEXT) | instid1(VALU_DEP_1)
	v_and_b32_e32 v19, 0x80000000, v19
	v_lshl_add_u32 v12, v12, 23, v19
                                        ; implicit-def: $vgpr19
	s_delay_alu instid0(VALU_DEP_1) | instskip(NEXT) | instid1(VALU_DEP_1)
	v_lshl_or_b32 v12, v18, 21, v12
                                        ; implicit-def: $vgpr18
	v_add_nc_u32_e32 v12, 0x38000000, v12
.LBB6_9804:                             ;   in Loop: Header=BB6_9788 Depth=3
	s_and_not1_saveexec_b32 s43, s43
; %bb.9805:                             ;   in Loop: Header=BB6_9788 Depth=3
	v_cmp_lt_i16_e32 vcc_lo, -1, v19
	v_mov_b32_e32 v12, 0x7f800000
	s_delay_alu instid0(VALU_DEP_1) | instskip(SKIP_1) | instid1(VALU_DEP_2)
	v_cndmask_b32_e32 v12, 0xff800000, v12, vcc_lo
	v_cmp_eq_u32_e32 vcc_lo, 0, v18
	v_cndmask_b32_e32 v12, 0x7f800001, v12, vcc_lo
; %bb.9806:                             ;   in Loop: Header=BB6_9788 Depth=3
	s_or_b32 exec_lo, exec_lo, s43
.LBB6_9807:                             ;   in Loop: Header=BB6_9788 Depth=3
	s_delay_alu instid0(SALU_CYCLE_1)
	s_or_b32 exec_lo, exec_lo, s42
.LBB6_9808:                             ;   in Loop: Header=BB6_9788 Depth=3
	s_delay_alu instid0(SALU_CYCLE_1) | instskip(NEXT) | instid1(VALU_DEP_1)
	s_or_b32 exec_lo, exec_lo, s13
	v_mul_f32_e32 v18, v13, v12
	v_dual_mov_b32 v23, v21 :: v_dual_mov_b32 v13, v21
                                        ; implicit-def: $vgpr30
	s_mov_b32 s13, exec_lo
	s_delay_alu instid0(VALU_DEP_2) | instskip(SKIP_2) | instid1(VALU_DEP_3)
	v_and_b32_e32 v22, 0x7f800000, v18
	v_and_b32_e32 v12, 0x7fffff, v18
	v_lshrrev_b32_e32 v19, 24, v18
	v_cmpx_ne_u64_e32 0x7f800000, v[22:23]
	s_xor_b32 s42, exec_lo, s13
	s_cbranch_execz .LBB6_9822
; %bb.9809:                             ;   in Loop: Header=BB6_9788 Depth=3
	v_and_b32_e32 v22, 0x7fffffff, v18
	v_mov_b32_e32 v23, v21
	v_and_b32_e32 v20, 0x80, v19
                                        ; implicit-def: $vgpr30
	s_mov_b32 s13, exec_lo
	s_delay_alu instid0(VALU_DEP_2)
	v_cmpx_gt_u64_e32 0x47600001, v[22:23]
	s_xor_b32 s43, exec_lo, s13
	s_cbranch_execz .LBB6_9819
; %bb.9810:                             ;   in Loop: Header=BB6_9788 Depth=3
	v_mov_b32_e32 v30, 0
	s_mov_b32 s72, exec_lo
	v_cmpx_ne_u32_e32 0, v18
	s_cbranch_execz .LBB6_9818
; %bb.9811:                             ;   in Loop: Header=BB6_9788 Depth=3
	v_bfe_u32 v22, v18, 23, 8
	v_or_b32_e32 v19, 0x800000, v12
	s_delay_alu instid0(VALU_DEP_2) | instskip(SKIP_2) | instid1(VALU_DEP_2)
	v_cmp_gt_u32_e64 s13, 0x72, v22
	v_sub_nc_u32_e32 v18, 0x71, v22
	v_cmp_eq_u32_e32 vcc_lo, 0, v22
	v_dual_cndmask_b32 v18, 0, v18, s13 :: v_dual_cndmask_b32 v12, v19, v12, vcc_lo
	s_delay_alu instid0(VALU_DEP_1) | instskip(NEXT) | instid1(VALU_DEP_1)
	v_cndmask_b32_e64 v23, v18, 0x70, vcc_lo
	v_dual_add_nc_u32 v18, 21, v23 :: v_dual_add_nc_u32 v30, 20, v23
	s_delay_alu instid0(VALU_DEP_1) | instskip(NEXT) | instid1(VALU_DEP_2)
	v_lshlrev_b64_e64 v[18:19], v18, -1
	v_lshlrev_b64_e64 v[30:31], v30, 1
	s_delay_alu instid0(VALU_DEP_2) | instskip(SKIP_1) | instid1(VALU_DEP_4)
	v_bfi_b32 v18, v18, 0, v12
	v_lshrrev_b64 v[12:13], v23, v[12:13]
	v_bfi_b32 v19, v19, 0, 0
	s_delay_alu instid0(VALU_DEP_1) | instskip(NEXT) | instid1(VALU_DEP_3)
	v_cmp_eq_u64_e64 s13, v[18:19], v[30:31]
	v_mov_b64_e32 v[18:19], v[12:13]
	s_and_saveexec_b32 s73, s13
; %bb.9812:                             ;   in Loop: Header=BB6_9788 Depth=3
	v_bfe_u32 v18, v12, 21, 1
	v_mov_b32_e32 v19, v21
	s_delay_alu instid0(VALU_DEP_1) | instskip(NEXT) | instid1(VALU_DEP_1)
	v_add_nc_u64_e32 v[18:19], v[12:13], v[18:19]
	v_add_nc_u64_e32 v[18:19], -1, v[18:19]
; %bb.9813:                             ;   in Loop: Header=BB6_9788 Depth=3
	s_or_b32 exec_lo, exec_lo, s73
	v_add_nc_u32_e32 v13, 0xffffff81, v22
	v_lshrrev_b32_e32 v19, 23, v12
	s_mov_b32 s13, exec_lo
	s_delay_alu instid0(VALU_DEP_2) | instskip(NEXT) | instid1(VALU_DEP_1)
	v_cndmask_b32_e64 v13, v13, 0xffffff82, vcc_lo
	v_add3_u32 v22, v23, v13, v19
	v_and_b32_e32 v13, 0x1fffff, v18
                                        ; implicit-def: $vgpr18
	s_delay_alu instid0(VALU_DEP_1) | instskip(SKIP_1) | instid1(VALU_DEP_2)
	v_dual_add_nc_u32 v19, 14, v22 :: v_dual_add_nc_u32 v12, v13, v12
	v_mov_b32_e32 v13, v21
	v_cmpx_ne_u32_e32 0, v19
	s_xor_b32 s13, exec_lo, s13
; %bb.9814:                             ;   in Loop: Header=BB6_9788 Depth=3
	s_delay_alu instid0(VALU_DEP_2) | instskip(SKIP_1) | instid1(VALU_DEP_1)
	v_cmp_lt_u64_e32 vcc_lo, 0xffffff, v[12:13]
	v_add_nc_u32_e32 v18, 15, v22
	v_cndmask_b32_e32 v18, v19, v18, vcc_lo
	v_cndmask_b32_e64 v19, 0, 1, vcc_lo
	s_delay_alu instid0(VALU_DEP_1)
	v_lshrrev_b64 v[12:13], v19, v[12:13]
; %bb.9815:                             ;   in Loop: Header=BB6_9788 Depth=3
	s_and_not1_saveexec_b32 s13, s13
; %bb.9816:                             ;   in Loop: Header=BB6_9788 Depth=3
	s_delay_alu instid0(VALU_DEP_1)
	v_bfe_u32 v18, v12, 23, 1
; %bb.9817:                             ;   in Loop: Header=BB6_9788 Depth=3
	s_or_b32 exec_lo, exec_lo, s13
	s_delay_alu instid0(VALU_DEP_2) | instskip(NEXT) | instid1(VALU_DEP_2)
	v_lshrrev_b64 v[12:13], 21, v[12:13]
	v_cmp_gt_i32_e32 vcc_lo, 32, v18
	v_min_i32_e32 v19, 31, v18
	v_cmp_eq_u32_e64 s13, 0, v18
	s_delay_alu instid0(VALU_DEP_2) | instskip(SKIP_1) | instid1(VALU_DEP_2)
	v_dual_cndmask_b32 v13, 0, v13, vcc_lo :: v_dual_lshlrev_b32 v19, 2, v19
	v_cndmask_b32_e32 v12, 3, v12, vcc_lo
	v_and_b32_e32 v19, 0xfc, v19
	s_delay_alu instid0(VALU_DEP_2) | instskip(NEXT) | instid1(VALU_DEP_2)
	v_cmp_eq_u64_e32 vcc_lo, 0, v[12:13]
	v_and_or_b32 v12, v12, 3, v19
	s_and_b32 s13, s13, vcc_lo
	s_delay_alu instid0(VALU_DEP_1) | instid1(SALU_CYCLE_1)
	v_cndmask_b32_e64 v12, v12, 0, s13
	s_delay_alu instid0(VALU_DEP_1)
	v_or_b32_e32 v30, v12, v20
.LBB6_9818:                             ;   in Loop: Header=BB6_9788 Depth=3
	s_or_b32 exec_lo, exec_lo, s72
                                        ; implicit-def: $vgpr20
.LBB6_9819:                             ;   in Loop: Header=BB6_9788 Depth=3
	s_and_not1_saveexec_b32 s13, s43
; %bb.9820:                             ;   in Loop: Header=BB6_9788 Depth=3
	v_or_b32_e32 v30, 0x7b, v20
; %bb.9821:                             ;   in Loop: Header=BB6_9788 Depth=3
	s_or_b32 exec_lo, exec_lo, s13
                                        ; implicit-def: $vgpr18
                                        ; implicit-def: $vgpr12_vgpr13
                                        ; implicit-def: $vgpr19
.LBB6_9822:                             ;   in Loop: Header=BB6_9788 Depth=3
	s_and_not1_saveexec_b32 s13, s42
	s_cbranch_execz .LBB6_9828
; %bb.9823:                             ;   in Loop: Header=BB6_9788 Depth=3
	s_mov_b32 s42, exec_lo
                                        ; implicit-def: $vgpr30
	v_cmpx_ne_u64_e32 0, v[12:13]
	s_xor_b32 s42, exec_lo, s42
; %bb.9824:                             ;   in Loop: Header=BB6_9788 Depth=3
	v_or_b32_e32 v30, 0x7f, v19
                                        ; implicit-def: $vgpr18
; %bb.9825:                             ;   in Loop: Header=BB6_9788 Depth=3
	s_and_not1_saveexec_b32 s42, s42
; %bb.9826:                             ;   in Loop: Header=BB6_9788 Depth=3
	v_cmp_lt_i32_e32 vcc_lo, -1, v18
	v_mov_b32_e32 v12, 0x7c
	s_delay_alu instid0(VALU_DEP_1)
	v_cndmask_b32_e32 v30, 0xfc, v12, vcc_lo
; %bb.9827:                             ;   in Loop: Header=BB6_9788 Depth=3
	s_or_b32 exec_lo, exec_lo, s42
.LBB6_9828:                             ;   in Loop: Header=BB6_9788 Depth=3
	s_delay_alu instid0(SALU_CYCLE_1) | instskip(SKIP_3) | instid1(VALU_DEP_2)
	s_or_b32 exec_lo, exec_lo, s13
	v_lshrrev_b16 v12, 8, v48
	v_dual_mov_b32 v18, 0 :: v_dual_mov_b32 v19, 0
	s_mov_b32 s13, exec_lo
	v_cmpx_ne_u16_e32 0, v12
	s_cbranch_execz .LBB6_9838
; %bb.9829:                             ;   in Loop: Header=BB6_9788 Depth=3
	v_bfrev_b32_e32 v19, 1
	s_mov_b32 s42, exec_lo
	v_cmpx_ne_u16_e32 0x80, v12
	s_cbranch_execz .LBB6_9837
; %bb.9830:                             ;   in Loop: Header=BB6_9788 Depth=3
	v_and_b32_e32 v20, 0xffff, v12
	s_delay_alu instid0(VALU_DEP_1) | instskip(SKIP_1) | instid1(VALU_DEP_2)
	v_and_b32_e32 v19, 0x7c, v20
	v_and_b32_e32 v13, 3, v20
	v_cmp_ne_u32_e32 vcc_lo, 0x7c, v19
                                        ; implicit-def: $vgpr19
	s_and_saveexec_b32 s43, vcc_lo
	s_delay_alu instid0(SALU_CYCLE_1)
	s_xor_b32 s43, exec_lo, s43
	s_cbranch_execz .LBB6_9834
; %bb.9831:                             ;   in Loop: Header=BB6_9788 Depth=3
	v_bfe_u32 v19, v20, 2, 5
	s_mov_b32 s72, exec_lo
	s_delay_alu instid0(VALU_DEP_1)
	v_cmpx_eq_u32_e32 0, v19
	s_cbranch_execz .LBB6_9833
; %bb.9832:                             ;   in Loop: Header=BB6_9788 Depth=3
	v_clz_i32_u32_e32 v13, v13
	s_delay_alu instid0(VALU_DEP_1) | instskip(SKIP_1) | instid1(VALU_DEP_2)
	v_min_u32_e32 v19, 32, v13
	v_mov_b32_e32 v13, v21
	v_subrev_nc_u32_e32 v20, 29, v19
	v_sub_nc_u32_e32 v19, 30, v19
	s_delay_alu instid0(VALU_DEP_2) | instskip(NEXT) | instid1(VALU_DEP_1)
	v_lshlrev_b64_e32 v[12:13], v20, v[12:13]
	v_and_b32_e32 v13, 3, v12
.LBB6_9833:                             ;   in Loop: Header=BB6_9788 Depth=3
	s_or_b32 exec_lo, exec_lo, s72
	v_lshlrev_b32_e32 v12, 16, v48
	s_delay_alu instid0(VALU_DEP_1) | instskip(NEXT) | instid1(VALU_DEP_1)
	v_and_b32_e32 v12, 0x80000000, v12
	v_lshl_add_u32 v12, v19, 23, v12
	s_delay_alu instid0(VALU_DEP_1) | instskip(NEXT) | instid1(VALU_DEP_1)
	v_lshl_or_b32 v12, v13, 21, v12
                                        ; implicit-def: $vgpr13
	v_add_nc_u32_e32 v19, 0x38000000, v12
.LBB6_9834:                             ;   in Loop: Header=BB6_9788 Depth=3
	s_and_not1_saveexec_b32 s43, s43
; %bb.9835:                             ;   in Loop: Header=BB6_9788 Depth=3
	v_cmp_lt_i16_e32 vcc_lo, -1, v48
	v_mov_b32_e32 v12, 0x7f800000
	s_delay_alu instid0(VALU_DEP_1) | instskip(SKIP_1) | instid1(VALU_DEP_2)
	v_cndmask_b32_e32 v12, 0xff800000, v12, vcc_lo
	v_cmp_eq_u32_e32 vcc_lo, 0, v13
	v_cndmask_b32_e32 v19, 0x7f800001, v12, vcc_lo
; %bb.9836:                             ;   in Loop: Header=BB6_9788 Depth=3
	s_or_b32 exec_lo, exec_lo, s43
.LBB6_9837:                             ;   in Loop: Header=BB6_9788 Depth=3
	s_delay_alu instid0(SALU_CYCLE_1)
	s_or_b32 exec_lo, exec_lo, s42
.LBB6_9838:                             ;   in Loop: Header=BB6_9788 Depth=3
	s_delay_alu instid0(SALU_CYCLE_1) | instskip(SKIP_2) | instid1(VALU_DEP_1)
	s_or_b32 exec_lo, exec_lo, s13
	v_lshrrev_b16 v12, 8, v36
	s_mov_b32 s13, exec_lo
	v_cmpx_ne_u16_e32 0, v12
	s_cbranch_execz .LBB6_9848
; %bb.9839:                             ;   in Loop: Header=BB6_9788 Depth=3
	v_bfrev_b32_e32 v18, 1
	s_mov_b32 s42, exec_lo
	v_cmpx_ne_u16_e32 0x80, v12
	s_cbranch_execz .LBB6_9847
; %bb.9840:                             ;   in Loop: Header=BB6_9788 Depth=3
	v_and_b32_e32 v20, 0xffff, v12
	s_delay_alu instid0(VALU_DEP_1) | instskip(SKIP_1) | instid1(VALU_DEP_2)
	v_and_b32_e32 v18, 0x7c, v20
	v_and_b32_e32 v13, 3, v20
	v_cmp_ne_u32_e32 vcc_lo, 0x7c, v18
                                        ; implicit-def: $vgpr18
	s_and_saveexec_b32 s43, vcc_lo
	s_delay_alu instid0(SALU_CYCLE_1)
	s_xor_b32 s43, exec_lo, s43
	s_cbranch_execz .LBB6_9844
; %bb.9841:                             ;   in Loop: Header=BB6_9788 Depth=3
	v_bfe_u32 v18, v20, 2, 5
	s_mov_b32 s72, exec_lo
	s_delay_alu instid0(VALU_DEP_1)
	v_cmpx_eq_u32_e32 0, v18
	s_cbranch_execz .LBB6_9843
; %bb.9842:                             ;   in Loop: Header=BB6_9788 Depth=3
	v_clz_i32_u32_e32 v13, v13
	s_delay_alu instid0(VALU_DEP_1) | instskip(SKIP_1) | instid1(VALU_DEP_2)
	v_min_u32_e32 v18, 32, v13
	v_mov_b32_e32 v13, v21
	v_subrev_nc_u32_e32 v20, 29, v18
	v_sub_nc_u32_e32 v18, 30, v18
	s_delay_alu instid0(VALU_DEP_2) | instskip(NEXT) | instid1(VALU_DEP_1)
	v_lshlrev_b64_e32 v[12:13], v20, v[12:13]
	v_and_b32_e32 v13, 3, v12
.LBB6_9843:                             ;   in Loop: Header=BB6_9788 Depth=3
	s_or_b32 exec_lo, exec_lo, s72
	v_lshlrev_b32_e32 v12, 16, v36
	s_delay_alu instid0(VALU_DEP_1) | instskip(NEXT) | instid1(VALU_DEP_1)
	v_and_b32_e32 v12, 0x80000000, v12
	v_lshl_add_u32 v12, v18, 23, v12
	s_delay_alu instid0(VALU_DEP_1) | instskip(NEXT) | instid1(VALU_DEP_1)
	v_lshl_or_b32 v12, v13, 21, v12
                                        ; implicit-def: $vgpr13
	v_add_nc_u32_e32 v18, 0x38000000, v12
.LBB6_9844:                             ;   in Loop: Header=BB6_9788 Depth=3
	s_and_not1_saveexec_b32 s43, s43
; %bb.9845:                             ;   in Loop: Header=BB6_9788 Depth=3
	v_cmp_lt_i16_e32 vcc_lo, -1, v36
	v_mov_b32_e32 v12, 0x7f800000
	s_delay_alu instid0(VALU_DEP_1) | instskip(SKIP_1) | instid1(VALU_DEP_2)
	v_cndmask_b32_e32 v12, 0xff800000, v12, vcc_lo
	v_cmp_eq_u32_e32 vcc_lo, 0, v13
	v_cndmask_b32_e32 v18, 0x7f800001, v12, vcc_lo
; %bb.9846:                             ;   in Loop: Header=BB6_9788 Depth=3
	s_or_b32 exec_lo, exec_lo, s43
.LBB6_9847:                             ;   in Loop: Header=BB6_9788 Depth=3
	s_delay_alu instid0(SALU_CYCLE_1)
	s_or_b32 exec_lo, exec_lo, s42
.LBB6_9848:                             ;   in Loop: Header=BB6_9788 Depth=3
	s_delay_alu instid0(SALU_CYCLE_1) | instskip(NEXT) | instid1(VALU_DEP_1)
	s_or_b32 exec_lo, exec_lo, s13
	v_dual_mul_f32 v18, v19, v18 :: v_dual_mov_b32 v23, v21
	v_mov_b32_e32 v13, v21
                                        ; implicit-def: $vgpr31
	s_mov_b32 s13, exec_lo
	s_delay_alu instid0(VALU_DEP_2) | instskip(SKIP_2) | instid1(VALU_DEP_3)
	v_and_b32_e32 v22, 0x7f800000, v18
	v_and_b32_e32 v12, 0x7fffff, v18
	v_lshrrev_b32_e32 v19, 24, v18
	v_cmpx_ne_u64_e32 0x7f800000, v[22:23]
	s_xor_b32 s42, exec_lo, s13
	s_cbranch_execz .LBB6_9862
; %bb.9849:                             ;   in Loop: Header=BB6_9788 Depth=3
	v_and_b32_e32 v22, 0x7fffffff, v18
	v_mov_b32_e32 v23, v21
	v_and_b32_e32 v20, 0x80, v19
                                        ; implicit-def: $vgpr31
	s_mov_b32 s13, exec_lo
	s_delay_alu instid0(VALU_DEP_2)
	v_cmpx_gt_u64_e32 0x47600001, v[22:23]
	s_xor_b32 s43, exec_lo, s13
	s_cbranch_execz .LBB6_9859
; %bb.9850:                             ;   in Loop: Header=BB6_9788 Depth=3
	v_mov_b32_e32 v31, 0
	s_mov_b32 s72, exec_lo
	v_cmpx_ne_u32_e32 0, v18
	s_cbranch_execz .LBB6_9858
; %bb.9851:                             ;   in Loop: Header=BB6_9788 Depth=3
	v_bfe_u32 v22, v18, 23, 8
	v_or_b32_e32 v19, 0x800000, v12
	s_delay_alu instid0(VALU_DEP_2) | instskip(SKIP_2) | instid1(VALU_DEP_2)
	v_cmp_gt_u32_e64 s13, 0x72, v22
	v_sub_nc_u32_e32 v18, 0x71, v22
	v_cmp_eq_u32_e32 vcc_lo, 0, v22
	v_dual_cndmask_b32 v18, 0, v18, s13 :: v_dual_cndmask_b32 v12, v19, v12, vcc_lo
	s_delay_alu instid0(VALU_DEP_1) | instskip(NEXT) | instid1(VALU_DEP_1)
	v_cndmask_b32_e64 v23, v18, 0x70, vcc_lo
	v_dual_add_nc_u32 v18, 21, v23 :: v_dual_add_nc_u32 v31, 20, v23
	s_delay_alu instid0(VALU_DEP_1) | instskip(NEXT) | instid1(VALU_DEP_2)
	v_lshlrev_b64_e64 v[18:19], v18, -1
	v_lshlrev_b64_e64 v[52:53], v31, 1
	s_delay_alu instid0(VALU_DEP_2) | instskip(SKIP_1) | instid1(VALU_DEP_4)
	v_bfi_b32 v18, v18, 0, v12
	v_lshrrev_b64 v[12:13], v23, v[12:13]
	v_bfi_b32 v19, v19, 0, 0
	s_delay_alu instid0(VALU_DEP_1) | instskip(NEXT) | instid1(VALU_DEP_3)
	v_cmp_eq_u64_e64 s13, v[18:19], v[52:53]
	v_mov_b64_e32 v[18:19], v[12:13]
	s_and_saveexec_b32 s73, s13
; %bb.9852:                             ;   in Loop: Header=BB6_9788 Depth=3
	v_bfe_u32 v18, v12, 21, 1
	v_mov_b32_e32 v19, v21
	s_delay_alu instid0(VALU_DEP_1) | instskip(NEXT) | instid1(VALU_DEP_1)
	v_add_nc_u64_e32 v[18:19], v[12:13], v[18:19]
	v_add_nc_u64_e32 v[18:19], -1, v[18:19]
; %bb.9853:                             ;   in Loop: Header=BB6_9788 Depth=3
	s_or_b32 exec_lo, exec_lo, s73
	v_add_nc_u32_e32 v13, 0xffffff81, v22
	v_lshrrev_b32_e32 v19, 23, v12
	s_mov_b32 s13, exec_lo
	s_delay_alu instid0(VALU_DEP_2) | instskip(NEXT) | instid1(VALU_DEP_1)
	v_cndmask_b32_e64 v13, v13, 0xffffff82, vcc_lo
	v_add3_u32 v22, v23, v13, v19
	v_and_b32_e32 v13, 0x1fffff, v18
                                        ; implicit-def: $vgpr18
	s_delay_alu instid0(VALU_DEP_1) | instskip(SKIP_1) | instid1(VALU_DEP_2)
	v_dual_add_nc_u32 v19, 14, v22 :: v_dual_add_nc_u32 v12, v13, v12
	v_mov_b32_e32 v13, v21
	v_cmpx_ne_u32_e32 0, v19
	s_xor_b32 s13, exec_lo, s13
; %bb.9854:                             ;   in Loop: Header=BB6_9788 Depth=3
	s_delay_alu instid0(VALU_DEP_2) | instskip(SKIP_1) | instid1(VALU_DEP_1)
	v_cmp_lt_u64_e32 vcc_lo, 0xffffff, v[12:13]
	v_add_nc_u32_e32 v18, 15, v22
	v_cndmask_b32_e32 v18, v19, v18, vcc_lo
	v_cndmask_b32_e64 v19, 0, 1, vcc_lo
	s_delay_alu instid0(VALU_DEP_1)
	v_lshrrev_b64 v[12:13], v19, v[12:13]
; %bb.9855:                             ;   in Loop: Header=BB6_9788 Depth=3
	s_and_not1_saveexec_b32 s13, s13
; %bb.9856:                             ;   in Loop: Header=BB6_9788 Depth=3
	s_delay_alu instid0(VALU_DEP_1)
	v_bfe_u32 v18, v12, 23, 1
; %bb.9857:                             ;   in Loop: Header=BB6_9788 Depth=3
	s_or_b32 exec_lo, exec_lo, s13
	s_delay_alu instid0(VALU_DEP_2) | instskip(NEXT) | instid1(VALU_DEP_2)
	v_lshrrev_b64 v[12:13], 21, v[12:13]
	v_cmp_gt_i32_e32 vcc_lo, 32, v18
	v_min_i32_e32 v19, 31, v18
	v_cmp_eq_u32_e64 s13, 0, v18
	s_delay_alu instid0(VALU_DEP_2) | instskip(SKIP_1) | instid1(VALU_DEP_2)
	v_dual_cndmask_b32 v13, 0, v13, vcc_lo :: v_dual_lshlrev_b32 v19, 2, v19
	v_cndmask_b32_e32 v12, 3, v12, vcc_lo
	v_and_b32_e32 v19, 0xfc, v19
	s_delay_alu instid0(VALU_DEP_2) | instskip(NEXT) | instid1(VALU_DEP_2)
	v_cmp_eq_u64_e32 vcc_lo, 0, v[12:13]
	v_and_or_b32 v12, v12, 3, v19
	s_and_b32 s13, s13, vcc_lo
	s_delay_alu instid0(VALU_DEP_1) | instid1(SALU_CYCLE_1)
	v_cndmask_b32_e64 v12, v12, 0, s13
	s_delay_alu instid0(VALU_DEP_1)
	v_or_b32_e32 v31, v12, v20
.LBB6_9858:                             ;   in Loop: Header=BB6_9788 Depth=3
	s_or_b32 exec_lo, exec_lo, s72
                                        ; implicit-def: $vgpr20
.LBB6_9859:                             ;   in Loop: Header=BB6_9788 Depth=3
	s_and_not1_saveexec_b32 s13, s43
; %bb.9860:                             ;   in Loop: Header=BB6_9788 Depth=3
	v_or_b32_e32 v31, 0x7b, v20
; %bb.9861:                             ;   in Loop: Header=BB6_9788 Depth=3
	s_or_b32 exec_lo, exec_lo, s13
                                        ; implicit-def: $vgpr18
                                        ; implicit-def: $vgpr12_vgpr13
                                        ; implicit-def: $vgpr19
.LBB6_9862:                             ;   in Loop: Header=BB6_9788 Depth=3
	s_and_not1_saveexec_b32 s13, s42
	s_cbranch_execz .LBB6_9868
; %bb.9863:                             ;   in Loop: Header=BB6_9788 Depth=3
	s_mov_b32 s42, exec_lo
                                        ; implicit-def: $vgpr31
	v_cmpx_ne_u64_e32 0, v[12:13]
	s_xor_b32 s42, exec_lo, s42
; %bb.9864:                             ;   in Loop: Header=BB6_9788 Depth=3
	v_or_b32_e32 v31, 0x7f, v19
                                        ; implicit-def: $vgpr18
; %bb.9865:                             ;   in Loop: Header=BB6_9788 Depth=3
	s_and_not1_saveexec_b32 s42, s42
; %bb.9866:                             ;   in Loop: Header=BB6_9788 Depth=3
	v_cmp_lt_i32_e32 vcc_lo, -1, v18
	v_mov_b32_e32 v12, 0x7c
	s_delay_alu instid0(VALU_DEP_1)
	v_cndmask_b32_e32 v31, 0xfc, v12, vcc_lo
; %bb.9867:                             ;   in Loop: Header=BB6_9788 Depth=3
	s_or_b32 exec_lo, exec_lo, s42
.LBB6_9868:                             ;   in Loop: Header=BB6_9788 Depth=3
	s_delay_alu instid0(SALU_CYCLE_1) | instskip(SKIP_3) | instid1(VALU_DEP_2)
	s_or_b32 exec_lo, exec_lo, s13
	v_dual_mov_b32 v13, 0 :: v_dual_lshrrev_b32 v12, 16, v48
	v_mov_b32_e32 v18, 0
	s_mov_b32 s42, exec_lo
	v_and_b32_e32 v19, 0xff, v12
	s_delay_alu instid0(VALU_DEP_1)
	v_cmpx_ne_u16_e32 0, v19
	s_cbranch_execz .LBB6_9878
; %bb.9869:                             ;   in Loop: Header=BB6_9788 Depth=3
	v_bfrev_b32_e32 v18, 1
	s_mov_b32 s43, exec_lo
	v_cmpx_ne_u16_e32 0x80, v19
	s_cbranch_execz .LBB6_9877
; %bb.9870:                             ;   in Loop: Header=BB6_9788 Depth=3
	v_and_b32_e32 v18, 0x7c0000, v48
	v_bfe_u32 v19, v48, 16, 2
	s_delay_alu instid0(VALU_DEP_2) | instskip(SKIP_1) | instid1(SALU_CYCLE_1)
	v_cmp_ne_u32_e32 vcc_lo, 0x7c0000, v18
                                        ; implicit-def: $vgpr18
	s_and_saveexec_b32 s13, vcc_lo
	s_xor_b32 s13, exec_lo, s13
	s_cbranch_execz .LBB6_9874
; %bb.9871:                             ;   in Loop: Header=BB6_9788 Depth=3
	v_bfe_u32 v18, v48, 18, 5
	s_mov_b32 s72, exec_lo
	s_delay_alu instid0(VALU_DEP_1)
	v_cmpx_eq_u32_e32 0, v18
; %bb.9872:                             ;   in Loop: Header=BB6_9788 Depth=3
	v_clz_i32_u32_e32 v18, v19
	s_delay_alu instid0(VALU_DEP_1) | instskip(NEXT) | instid1(VALU_DEP_1)
	v_min_u32_e32 v18, 32, v18
	v_subrev_nc_u32_e32 v19, 29, v18
	v_sub_nc_u32_e32 v18, 30, v18
	s_delay_alu instid0(VALU_DEP_2) | instskip(NEXT) | instid1(VALU_DEP_1)
	v_lshlrev_b64_e32 v[22:23], v19, v[12:13]
	v_and_b32_e32 v19, 3, v22
; %bb.9873:                             ;   in Loop: Header=BB6_9788 Depth=3
	s_or_b32 exec_lo, exec_lo, s72
	v_lshlrev_b32_e32 v12, 24, v12
	s_delay_alu instid0(VALU_DEP_1) | instskip(NEXT) | instid1(VALU_DEP_1)
	v_and_b32_e32 v12, 0x80000000, v12
	v_lshl_add_u32 v12, v18, 23, v12
	s_delay_alu instid0(VALU_DEP_1) | instskip(NEXT) | instid1(VALU_DEP_1)
	v_lshl_or_b32 v12, v19, 21, v12
                                        ; implicit-def: $vgpr19
	v_add_nc_u32_e32 v18, 0x38000000, v12
                                        ; implicit-def: $vgpr12
.LBB6_9874:                             ;   in Loop: Header=BB6_9788 Depth=3
	s_and_not1_saveexec_b32 s72, s13
; %bb.9875:                             ;   in Loop: Header=BB6_9788 Depth=3
	v_bfe_i32 v12, v12, 0, 8
	v_cmp_eq_u32_e32 vcc_lo, 0, v19
	s_delay_alu instid0(VALU_DEP_2) | instskip(SKIP_1) | instid1(VALU_DEP_1)
	v_cmp_lt_i16_e64 s13, -1, v12
	v_mov_b32_e32 v12, 0x7f800000
	v_cndmask_b32_e64 v12, 0xff800000, v12, s13
	s_delay_alu instid0(VALU_DEP_1)
	v_cndmask_b32_e32 v18, 0x7f800001, v12, vcc_lo
; %bb.9876:                             ;   in Loop: Header=BB6_9788 Depth=3
	s_or_b32 exec_lo, exec_lo, s72
.LBB6_9877:                             ;   in Loop: Header=BB6_9788 Depth=3
	s_delay_alu instid0(SALU_CYCLE_1)
	s_or_b32 exec_lo, exec_lo, s43
.LBB6_9878:                             ;   in Loop: Header=BB6_9788 Depth=3
	s_delay_alu instid0(SALU_CYCLE_1) | instskip(SKIP_2) | instid1(VALU_DEP_1)
	s_or_b32 exec_lo, exec_lo, s42
	v_lshrrev_b32_e32 v12, 16, v36
	s_mov_b32 s42, exec_lo
	v_and_b32_e32 v19, 0xff, v12
	s_delay_alu instid0(VALU_DEP_1)
	v_cmpx_ne_u16_e32 0, v19
	s_cbranch_execz .LBB6_9888
; %bb.9879:                             ;   in Loop: Header=BB6_9788 Depth=3
	v_bfrev_b32_e32 v13, 1
	s_mov_b32 s43, exec_lo
	v_cmpx_ne_u16_e32 0x80, v19
	s_cbranch_execz .LBB6_9887
; %bb.9880:                             ;   in Loop: Header=BB6_9788 Depth=3
	v_and_b32_e32 v13, 0x7c0000, v36
	v_bfe_u32 v19, v36, 16, 2
	s_delay_alu instid0(VALU_DEP_2) | instskip(SKIP_1) | instid1(SALU_CYCLE_1)
	v_cmp_ne_u32_e32 vcc_lo, 0x7c0000, v13
                                        ; implicit-def: $vgpr13
	s_and_saveexec_b32 s13, vcc_lo
	s_xor_b32 s13, exec_lo, s13
	s_cbranch_execz .LBB6_9884
; %bb.9881:                             ;   in Loop: Header=BB6_9788 Depth=3
	v_bfe_u32 v13, v36, 18, 5
	s_mov_b32 s72, exec_lo
	s_delay_alu instid0(VALU_DEP_1)
	v_cmpx_eq_u32_e32 0, v13
; %bb.9882:                             ;   in Loop: Header=BB6_9788 Depth=3
	v_clz_i32_u32_e32 v13, v19
	s_delay_alu instid0(VALU_DEP_1) | instskip(NEXT) | instid1(VALU_DEP_1)
	v_min_u32_e32 v13, 32, v13
	v_subrev_nc_u32_e32 v19, 29, v13
	s_delay_alu instid0(VALU_DEP_1) | instskip(NEXT) | instid1(VALU_DEP_1)
	v_lshlrev_b64_e32 v[22:23], v19, v[12:13]
	v_dual_sub_nc_u32 v13, 30, v13 :: v_dual_bitop2_b32 v19, 3, v22 bitop3:0x40
; %bb.9883:                             ;   in Loop: Header=BB6_9788 Depth=3
	s_or_b32 exec_lo, exec_lo, s72
	v_lshlrev_b32_e32 v12, 24, v12
	s_delay_alu instid0(VALU_DEP_1) | instskip(NEXT) | instid1(VALU_DEP_1)
	v_and_b32_e32 v12, 0x80000000, v12
	v_lshl_add_u32 v12, v13, 23, v12
	s_delay_alu instid0(VALU_DEP_1) | instskip(NEXT) | instid1(VALU_DEP_1)
	v_lshl_or_b32 v12, v19, 21, v12
                                        ; implicit-def: $vgpr19
	v_add_nc_u32_e32 v13, 0x38000000, v12
                                        ; implicit-def: $vgpr12
.LBB6_9884:                             ;   in Loop: Header=BB6_9788 Depth=3
	s_and_not1_saveexec_b32 s72, s13
; %bb.9885:                             ;   in Loop: Header=BB6_9788 Depth=3
	v_bfe_i32 v12, v12, 0, 8
	v_cmp_eq_u32_e32 vcc_lo, 0, v19
	s_delay_alu instid0(VALU_DEP_2) | instskip(SKIP_1) | instid1(VALU_DEP_1)
	v_cmp_lt_i16_e64 s13, -1, v12
	v_mov_b32_e32 v12, 0x7f800000
	v_cndmask_b32_e64 v12, 0xff800000, v12, s13
	s_delay_alu instid0(VALU_DEP_1)
	v_cndmask_b32_e32 v13, 0x7f800001, v12, vcc_lo
; %bb.9886:                             ;   in Loop: Header=BB6_9788 Depth=3
	s_or_b32 exec_lo, exec_lo, s72
.LBB6_9887:                             ;   in Loop: Header=BB6_9788 Depth=3
	s_delay_alu instid0(SALU_CYCLE_1)
	s_or_b32 exec_lo, exec_lo, s43
.LBB6_9888:                             ;   in Loop: Header=BB6_9788 Depth=3
	s_delay_alu instid0(SALU_CYCLE_1) | instskip(NEXT) | instid1(VALU_DEP_1)
	s_or_b32 exec_lo, exec_lo, s42
	v_dual_mul_f32 v18, v18, v13 :: v_dual_mov_b32 v23, v21
	v_mov_b32_e32 v13, v21
                                        ; implicit-def: $vgpr52
	s_mov_b32 s13, exec_lo
	s_delay_alu instid0(VALU_DEP_2) | instskip(SKIP_2) | instid1(VALU_DEP_3)
	v_and_b32_e32 v22, 0x7f800000, v18
	v_and_b32_e32 v12, 0x7fffff, v18
	v_lshrrev_b32_e32 v19, 24, v18
	v_cmpx_ne_u64_e32 0x7f800000, v[22:23]
	s_xor_b32 s42, exec_lo, s13
	s_cbranch_execz .LBB6_9902
; %bb.9889:                             ;   in Loop: Header=BB6_9788 Depth=3
	v_and_b32_e32 v22, 0x7fffffff, v18
	v_mov_b32_e32 v23, v21
	v_and_b32_e32 v20, 0x80, v19
                                        ; implicit-def: $vgpr52
	s_mov_b32 s13, exec_lo
	s_delay_alu instid0(VALU_DEP_2)
	v_cmpx_gt_u64_e32 0x47600001, v[22:23]
	s_xor_b32 s43, exec_lo, s13
	s_cbranch_execz .LBB6_9899
; %bb.9890:                             ;   in Loop: Header=BB6_9788 Depth=3
	v_mov_b32_e32 v52, 0
	s_mov_b32 s72, exec_lo
	v_cmpx_ne_u32_e32 0, v18
	s_cbranch_execz .LBB6_9898
; %bb.9891:                             ;   in Loop: Header=BB6_9788 Depth=3
	v_bfe_u32 v22, v18, 23, 8
	v_or_b32_e32 v19, 0x800000, v12
	s_delay_alu instid0(VALU_DEP_2) | instskip(SKIP_2) | instid1(VALU_DEP_2)
	v_cmp_gt_u32_e64 s13, 0x72, v22
	v_sub_nc_u32_e32 v18, 0x71, v22
	v_cmp_eq_u32_e32 vcc_lo, 0, v22
	v_dual_cndmask_b32 v18, 0, v18, s13 :: v_dual_cndmask_b32 v12, v19, v12, vcc_lo
	s_delay_alu instid0(VALU_DEP_1) | instskip(NEXT) | instid1(VALU_DEP_1)
	v_cndmask_b32_e64 v23, v18, 0x70, vcc_lo
	v_dual_add_nc_u32 v18, 21, v23 :: v_dual_add_nc_u32 v52, 20, v23
	s_delay_alu instid0(VALU_DEP_1) | instskip(NEXT) | instid1(VALU_DEP_2)
	v_lshlrev_b64_e64 v[18:19], v18, -1
	v_lshlrev_b64_e64 v[52:53], v52, 1
	s_delay_alu instid0(VALU_DEP_2) | instskip(SKIP_1) | instid1(VALU_DEP_4)
	v_bfi_b32 v18, v18, 0, v12
	v_lshrrev_b64 v[12:13], v23, v[12:13]
	v_bfi_b32 v19, v19, 0, 0
	s_delay_alu instid0(VALU_DEP_1) | instskip(NEXT) | instid1(VALU_DEP_3)
	v_cmp_eq_u64_e64 s13, v[18:19], v[52:53]
	v_mov_b64_e32 v[18:19], v[12:13]
	s_and_saveexec_b32 s73, s13
; %bb.9892:                             ;   in Loop: Header=BB6_9788 Depth=3
	v_bfe_u32 v18, v12, 21, 1
	v_mov_b32_e32 v19, v21
	s_delay_alu instid0(VALU_DEP_1) | instskip(NEXT) | instid1(VALU_DEP_1)
	v_add_nc_u64_e32 v[18:19], v[12:13], v[18:19]
	v_add_nc_u64_e32 v[18:19], -1, v[18:19]
; %bb.9893:                             ;   in Loop: Header=BB6_9788 Depth=3
	s_or_b32 exec_lo, exec_lo, s73
	v_add_nc_u32_e32 v13, 0xffffff81, v22
	v_lshrrev_b32_e32 v19, 23, v12
	s_mov_b32 s13, exec_lo
	s_delay_alu instid0(VALU_DEP_2) | instskip(NEXT) | instid1(VALU_DEP_1)
	v_cndmask_b32_e64 v13, v13, 0xffffff82, vcc_lo
	v_add3_u32 v22, v23, v13, v19
	v_and_b32_e32 v13, 0x1fffff, v18
                                        ; implicit-def: $vgpr18
	s_delay_alu instid0(VALU_DEP_1) | instskip(SKIP_1) | instid1(VALU_DEP_2)
	v_dual_add_nc_u32 v19, 14, v22 :: v_dual_add_nc_u32 v12, v13, v12
	v_mov_b32_e32 v13, v21
	v_cmpx_ne_u32_e32 0, v19
	s_xor_b32 s13, exec_lo, s13
; %bb.9894:                             ;   in Loop: Header=BB6_9788 Depth=3
	s_delay_alu instid0(VALU_DEP_2) | instskip(SKIP_1) | instid1(VALU_DEP_1)
	v_cmp_lt_u64_e32 vcc_lo, 0xffffff, v[12:13]
	v_add_nc_u32_e32 v18, 15, v22
	v_cndmask_b32_e32 v18, v19, v18, vcc_lo
	v_cndmask_b32_e64 v19, 0, 1, vcc_lo
	s_delay_alu instid0(VALU_DEP_1)
	v_lshrrev_b64 v[12:13], v19, v[12:13]
; %bb.9895:                             ;   in Loop: Header=BB6_9788 Depth=3
	s_and_not1_saveexec_b32 s13, s13
; %bb.9896:                             ;   in Loop: Header=BB6_9788 Depth=3
	s_delay_alu instid0(VALU_DEP_1)
	v_bfe_u32 v18, v12, 23, 1
; %bb.9897:                             ;   in Loop: Header=BB6_9788 Depth=3
	s_or_b32 exec_lo, exec_lo, s13
	s_delay_alu instid0(VALU_DEP_2) | instskip(NEXT) | instid1(VALU_DEP_2)
	v_lshrrev_b64 v[12:13], 21, v[12:13]
	v_cmp_gt_i32_e32 vcc_lo, 32, v18
	v_min_i32_e32 v19, 31, v18
	v_cmp_eq_u32_e64 s13, 0, v18
	s_delay_alu instid0(VALU_DEP_2) | instskip(SKIP_1) | instid1(VALU_DEP_2)
	v_dual_cndmask_b32 v13, 0, v13, vcc_lo :: v_dual_lshlrev_b32 v19, 2, v19
	v_cndmask_b32_e32 v12, 3, v12, vcc_lo
	v_and_b32_e32 v19, 0xfc, v19
	s_delay_alu instid0(VALU_DEP_2) | instskip(NEXT) | instid1(VALU_DEP_2)
	v_cmp_eq_u64_e32 vcc_lo, 0, v[12:13]
	v_and_or_b32 v12, v12, 3, v19
	s_and_b32 s13, s13, vcc_lo
	s_delay_alu instid0(VALU_DEP_1) | instid1(SALU_CYCLE_1)
	v_cndmask_b32_e64 v12, v12, 0, s13
	s_delay_alu instid0(VALU_DEP_1)
	v_or_b32_e32 v52, v12, v20
.LBB6_9898:                             ;   in Loop: Header=BB6_9788 Depth=3
	s_or_b32 exec_lo, exec_lo, s72
                                        ; implicit-def: $vgpr20
.LBB6_9899:                             ;   in Loop: Header=BB6_9788 Depth=3
	s_and_not1_saveexec_b32 s13, s43
; %bb.9900:                             ;   in Loop: Header=BB6_9788 Depth=3
	v_or_b32_e32 v52, 0x7b, v20
; %bb.9901:                             ;   in Loop: Header=BB6_9788 Depth=3
	s_or_b32 exec_lo, exec_lo, s13
                                        ; implicit-def: $vgpr18
                                        ; implicit-def: $vgpr12_vgpr13
                                        ; implicit-def: $vgpr19
.LBB6_9902:                             ;   in Loop: Header=BB6_9788 Depth=3
	s_and_not1_saveexec_b32 s13, s42
	s_cbranch_execz .LBB6_9908
; %bb.9903:                             ;   in Loop: Header=BB6_9788 Depth=3
	s_mov_b32 s42, exec_lo
                                        ; implicit-def: $vgpr52
	v_cmpx_ne_u64_e32 0, v[12:13]
	s_xor_b32 s42, exec_lo, s42
; %bb.9904:                             ;   in Loop: Header=BB6_9788 Depth=3
	v_or_b32_e32 v52, 0x7f, v19
                                        ; implicit-def: $vgpr18
; %bb.9905:                             ;   in Loop: Header=BB6_9788 Depth=3
	s_and_not1_saveexec_b32 s42, s42
; %bb.9906:                             ;   in Loop: Header=BB6_9788 Depth=3
	v_cmp_lt_i32_e32 vcc_lo, -1, v18
	v_mov_b32_e32 v12, 0x7c
	s_delay_alu instid0(VALU_DEP_1)
	v_cndmask_b32_e32 v52, 0xfc, v12, vcc_lo
; %bb.9907:                             ;   in Loop: Header=BB6_9788 Depth=3
	s_or_b32 exec_lo, exec_lo, s42
.LBB6_9908:                             ;   in Loop: Header=BB6_9788 Depth=3
	s_delay_alu instid0(SALU_CYCLE_1)
	s_or_b32 exec_lo, exec_lo, s13
	v_dual_mov_b32 v13, 0 :: v_dual_mov_b32 v18, 0
	s_mov_b32 s42, exec_lo
	v_cmpx_lt_u32_e32 0xffffff, v48
	s_cbranch_execz .LBB6_9918
; %bb.9909:                             ;   in Loop: Header=BB6_9788 Depth=3
	v_lshrrev_b32_e32 v12, 24, v48
	v_bfrev_b32_e32 v18, 1
	s_mov_b32 s43, exec_lo
	s_delay_alu instid0(VALU_DEP_2)
	v_cmpx_ne_u32_e32 0x80, v12
	s_cbranch_execz .LBB6_9917
; %bb.9910:                             ;   in Loop: Header=BB6_9788 Depth=3
	v_and_b32_e32 v18, 0x7c000000, v48
	v_bfe_u32 v19, v48, 24, 2
	s_delay_alu instid0(VALU_DEP_2) | instskip(SKIP_1) | instid1(SALU_CYCLE_1)
	v_cmp_ne_u32_e32 vcc_lo, 0x7c000000, v18
                                        ; implicit-def: $vgpr18
	s_and_saveexec_b32 s13, vcc_lo
	s_xor_b32 s13, exec_lo, s13
	s_cbranch_execz .LBB6_9914
; %bb.9911:                             ;   in Loop: Header=BB6_9788 Depth=3
	v_bfe_u32 v18, v48, 26, 5
	s_mov_b32 s72, exec_lo
	s_delay_alu instid0(VALU_DEP_1)
	v_cmpx_eq_u32_e32 0, v18
; %bb.9912:                             ;   in Loop: Header=BB6_9788 Depth=3
	v_clz_i32_u32_e32 v18, v19
	s_delay_alu instid0(VALU_DEP_1) | instskip(NEXT) | instid1(VALU_DEP_1)
	v_min_u32_e32 v18, 32, v18
	v_subrev_nc_u32_e32 v19, 29, v18
	v_sub_nc_u32_e32 v18, 30, v18
	s_delay_alu instid0(VALU_DEP_2) | instskip(NEXT) | instid1(VALU_DEP_1)
	v_lshlrev_b64_e32 v[22:23], v19, v[12:13]
	v_and_b32_e32 v19, 3, v22
; %bb.9913:                             ;   in Loop: Header=BB6_9788 Depth=3
	s_or_b32 exec_lo, exec_lo, s72
	v_and_b32_e32 v12, 0x80000000, v48
	s_delay_alu instid0(VALU_DEP_1) | instskip(NEXT) | instid1(VALU_DEP_1)
	v_lshl_add_u32 v12, v18, 23, v12
	v_lshl_or_b32 v12, v19, 21, v12
                                        ; implicit-def: $vgpr19
	s_delay_alu instid0(VALU_DEP_1)
	v_add_nc_u32_e32 v18, 0x38000000, v12
.LBB6_9914:                             ;   in Loop: Header=BB6_9788 Depth=3
	s_and_not1_saveexec_b32 s72, s13
; %bb.9915:                             ;   in Loop: Header=BB6_9788 Depth=3
	v_cmp_lt_i32_e64 s13, -1, v48
	v_mov_b32_e32 v12, 0x7f800000
	v_cmp_eq_u32_e32 vcc_lo, 0, v19
	s_delay_alu instid0(VALU_DEP_2) | instskip(NEXT) | instid1(VALU_DEP_1)
	v_cndmask_b32_e64 v12, 0xff800000, v12, s13
	v_cndmask_b32_e32 v18, 0x7f800001, v12, vcc_lo
; %bb.9916:                             ;   in Loop: Header=BB6_9788 Depth=3
	s_or_b32 exec_lo, exec_lo, s72
.LBB6_9917:                             ;   in Loop: Header=BB6_9788 Depth=3
	s_delay_alu instid0(SALU_CYCLE_1)
	s_or_b32 exec_lo, exec_lo, s43
.LBB6_9918:                             ;   in Loop: Header=BB6_9788 Depth=3
	s_delay_alu instid0(SALU_CYCLE_1) | instskip(NEXT) | instid1(SALU_CYCLE_1)
	s_or_b32 exec_lo, exec_lo, s42
	s_mov_b32 s42, exec_lo
	v_cmpx_lt_u32_e32 0xffffff, v36
	s_cbranch_execz .LBB6_9928
; %bb.9919:                             ;   in Loop: Header=BB6_9788 Depth=3
	v_lshrrev_b32_e32 v12, 24, v36
	v_bfrev_b32_e32 v13, 1
	s_mov_b32 s43, exec_lo
	s_delay_alu instid0(VALU_DEP_2)
	v_cmpx_ne_u32_e32 0x80, v12
	s_cbranch_execz .LBB6_9927
; %bb.9920:                             ;   in Loop: Header=BB6_9788 Depth=3
	v_and_b32_e32 v13, 0x7c000000, v36
	v_bfe_u32 v19, v36, 24, 2
	s_delay_alu instid0(VALU_DEP_2) | instskip(SKIP_1) | instid1(SALU_CYCLE_1)
	v_cmp_ne_u32_e32 vcc_lo, 0x7c000000, v13
                                        ; implicit-def: $vgpr13
	s_and_saveexec_b32 s13, vcc_lo
	s_xor_b32 s13, exec_lo, s13
	s_cbranch_execz .LBB6_9924
; %bb.9921:                             ;   in Loop: Header=BB6_9788 Depth=3
	v_bfe_u32 v13, v36, 26, 5
	s_mov_b32 s72, exec_lo
	s_delay_alu instid0(VALU_DEP_1)
	v_cmpx_eq_u32_e32 0, v13
; %bb.9922:                             ;   in Loop: Header=BB6_9788 Depth=3
	v_clz_i32_u32_e32 v13, v19
	s_delay_alu instid0(VALU_DEP_1) | instskip(NEXT) | instid1(VALU_DEP_1)
	v_min_u32_e32 v19, 32, v13
	v_subrev_nc_u32_e32 v13, 29, v19
	s_delay_alu instid0(VALU_DEP_1) | instskip(NEXT) | instid1(VALU_DEP_1)
	v_lshlrev_b64_e32 v[12:13], v13, v[12:13]
	v_dual_sub_nc_u32 v13, 30, v19 :: v_dual_bitop2_b32 v19, 3, v12 bitop3:0x40
; %bb.9923:                             ;   in Loop: Header=BB6_9788 Depth=3
	s_or_b32 exec_lo, exec_lo, s72
	v_and_b32_e32 v12, 0x80000000, v36
	s_delay_alu instid0(VALU_DEP_1) | instskip(NEXT) | instid1(VALU_DEP_1)
	v_lshl_add_u32 v12, v13, 23, v12
	v_lshl_or_b32 v12, v19, 21, v12
                                        ; implicit-def: $vgpr19
	s_delay_alu instid0(VALU_DEP_1)
	v_add_nc_u32_e32 v13, 0x38000000, v12
.LBB6_9924:                             ;   in Loop: Header=BB6_9788 Depth=3
	s_and_not1_saveexec_b32 s72, s13
; %bb.9925:                             ;   in Loop: Header=BB6_9788 Depth=3
	v_cmp_lt_i32_e64 s13, -1, v36
	v_mov_b32_e32 v12, 0x7f800000
	v_cmp_eq_u32_e32 vcc_lo, 0, v19
	s_delay_alu instid0(VALU_DEP_2) | instskip(NEXT) | instid1(VALU_DEP_1)
	v_cndmask_b32_e64 v12, 0xff800000, v12, s13
	v_cndmask_b32_e32 v13, 0x7f800001, v12, vcc_lo
; %bb.9926:                             ;   in Loop: Header=BB6_9788 Depth=3
	s_or_b32 exec_lo, exec_lo, s72
.LBB6_9927:                             ;   in Loop: Header=BB6_9788 Depth=3
	s_delay_alu instid0(SALU_CYCLE_1)
	s_or_b32 exec_lo, exec_lo, s43
.LBB6_9928:                             ;   in Loop: Header=BB6_9788 Depth=3
	s_delay_alu instid0(SALU_CYCLE_1) | instskip(NEXT) | instid1(VALU_DEP_1)
	s_or_b32 exec_lo, exec_lo, s42
	v_dual_mul_f32 v18, v18, v13 :: v_dual_mov_b32 v23, v21
	v_mov_b32_e32 v13, v21
                                        ; implicit-def: $vgpr53
	s_mov_b32 s13, exec_lo
	s_delay_alu instid0(VALU_DEP_2) | instskip(SKIP_2) | instid1(VALU_DEP_3)
	v_and_b32_e32 v22, 0x7f800000, v18
	v_and_b32_e32 v12, 0x7fffff, v18
	v_lshrrev_b32_e32 v19, 24, v18
	v_cmpx_ne_u64_e32 0x7f800000, v[22:23]
	s_xor_b32 s42, exec_lo, s13
	s_cbranch_execz .LBB6_9942
; %bb.9929:                             ;   in Loop: Header=BB6_9788 Depth=3
	v_and_b32_e32 v22, 0x7fffffff, v18
	v_mov_b32_e32 v23, v21
	v_and_b32_e32 v20, 0x80, v19
                                        ; implicit-def: $vgpr53
	s_mov_b32 s13, exec_lo
	s_delay_alu instid0(VALU_DEP_2)
	v_cmpx_gt_u64_e32 0x47600001, v[22:23]
	s_xor_b32 s43, exec_lo, s13
	s_cbranch_execz .LBB6_9939
; %bb.9930:                             ;   in Loop: Header=BB6_9788 Depth=3
	v_mov_b32_e32 v53, 0
	s_mov_b32 s72, exec_lo
	v_cmpx_ne_u32_e32 0, v18
	s_cbranch_execz .LBB6_9938
; %bb.9931:                             ;   in Loop: Header=BB6_9788 Depth=3
	v_bfe_u32 v22, v18, 23, 8
	v_or_b32_e32 v19, 0x800000, v12
	s_delay_alu instid0(VALU_DEP_2) | instskip(SKIP_2) | instid1(VALU_DEP_2)
	v_cmp_gt_u32_e64 s13, 0x72, v22
	v_sub_nc_u32_e32 v18, 0x71, v22
	v_cmp_eq_u32_e32 vcc_lo, 0, v22
	v_dual_cndmask_b32 v18, 0, v18, s13 :: v_dual_cndmask_b32 v12, v19, v12, vcc_lo
	s_delay_alu instid0(VALU_DEP_1) | instskip(NEXT) | instid1(VALU_DEP_1)
	v_cndmask_b32_e64 v23, v18, 0x70, vcc_lo
	v_dual_add_nc_u32 v18, 21, v23 :: v_dual_add_nc_u32 v53, 20, v23
	s_delay_alu instid0(VALU_DEP_1) | instskip(NEXT) | instid1(VALU_DEP_2)
	v_lshlrev_b64_e64 v[18:19], v18, -1
	v_lshlrev_b64_e64 v[54:55], v53, 1
	s_delay_alu instid0(VALU_DEP_2) | instskip(SKIP_1) | instid1(VALU_DEP_4)
	v_bfi_b32 v18, v18, 0, v12
	v_lshrrev_b64 v[12:13], v23, v[12:13]
	v_bfi_b32 v19, v19, 0, 0
	s_delay_alu instid0(VALU_DEP_1) | instskip(NEXT) | instid1(VALU_DEP_3)
	v_cmp_eq_u64_e64 s13, v[18:19], v[54:55]
	v_mov_b64_e32 v[18:19], v[12:13]
	s_and_saveexec_b32 s73, s13
; %bb.9932:                             ;   in Loop: Header=BB6_9788 Depth=3
	v_bfe_u32 v18, v12, 21, 1
	v_mov_b32_e32 v19, v21
	s_delay_alu instid0(VALU_DEP_1) | instskip(NEXT) | instid1(VALU_DEP_1)
	v_add_nc_u64_e32 v[18:19], v[12:13], v[18:19]
	v_add_nc_u64_e32 v[18:19], -1, v[18:19]
; %bb.9933:                             ;   in Loop: Header=BB6_9788 Depth=3
	s_or_b32 exec_lo, exec_lo, s73
	v_add_nc_u32_e32 v13, 0xffffff81, v22
	v_lshrrev_b32_e32 v19, 23, v12
	s_mov_b32 s13, exec_lo
	s_delay_alu instid0(VALU_DEP_2) | instskip(NEXT) | instid1(VALU_DEP_1)
	v_cndmask_b32_e64 v13, v13, 0xffffff82, vcc_lo
	v_add3_u32 v22, v23, v13, v19
	v_and_b32_e32 v13, 0x1fffff, v18
                                        ; implicit-def: $vgpr18
	s_delay_alu instid0(VALU_DEP_1) | instskip(SKIP_1) | instid1(VALU_DEP_2)
	v_dual_add_nc_u32 v19, 14, v22 :: v_dual_add_nc_u32 v12, v13, v12
	v_mov_b32_e32 v13, v21
	v_cmpx_ne_u32_e32 0, v19
	s_xor_b32 s13, exec_lo, s13
; %bb.9934:                             ;   in Loop: Header=BB6_9788 Depth=3
	s_delay_alu instid0(VALU_DEP_2) | instskip(SKIP_1) | instid1(VALU_DEP_1)
	v_cmp_lt_u64_e32 vcc_lo, 0xffffff, v[12:13]
	v_add_nc_u32_e32 v18, 15, v22
	v_cndmask_b32_e32 v18, v19, v18, vcc_lo
	v_cndmask_b32_e64 v19, 0, 1, vcc_lo
	s_delay_alu instid0(VALU_DEP_1)
	v_lshrrev_b64 v[12:13], v19, v[12:13]
; %bb.9935:                             ;   in Loop: Header=BB6_9788 Depth=3
	s_and_not1_saveexec_b32 s13, s13
; %bb.9936:                             ;   in Loop: Header=BB6_9788 Depth=3
	s_delay_alu instid0(VALU_DEP_1)
	v_bfe_u32 v18, v12, 23, 1
; %bb.9937:                             ;   in Loop: Header=BB6_9788 Depth=3
	s_or_b32 exec_lo, exec_lo, s13
	s_delay_alu instid0(VALU_DEP_2) | instskip(NEXT) | instid1(VALU_DEP_2)
	v_lshrrev_b64 v[12:13], 21, v[12:13]
	v_cmp_gt_i32_e32 vcc_lo, 32, v18
	v_min_i32_e32 v19, 31, v18
	v_cmp_eq_u32_e64 s13, 0, v18
	s_delay_alu instid0(VALU_DEP_2) | instskip(SKIP_1) | instid1(VALU_DEP_2)
	v_dual_cndmask_b32 v13, 0, v13, vcc_lo :: v_dual_lshlrev_b32 v19, 2, v19
	v_cndmask_b32_e32 v12, 3, v12, vcc_lo
	v_and_b32_e32 v19, 0xfc, v19
	s_delay_alu instid0(VALU_DEP_2) | instskip(NEXT) | instid1(VALU_DEP_2)
	v_cmp_eq_u64_e32 vcc_lo, 0, v[12:13]
	v_and_or_b32 v12, v12, 3, v19
	s_and_b32 s13, s13, vcc_lo
	s_delay_alu instid0(VALU_DEP_1) | instid1(SALU_CYCLE_1)
	v_cndmask_b32_e64 v12, v12, 0, s13
	s_delay_alu instid0(VALU_DEP_1)
	v_or_b32_e32 v53, v12, v20
.LBB6_9938:                             ;   in Loop: Header=BB6_9788 Depth=3
	s_or_b32 exec_lo, exec_lo, s72
                                        ; implicit-def: $vgpr20
.LBB6_9939:                             ;   in Loop: Header=BB6_9788 Depth=3
	s_and_not1_saveexec_b32 s13, s43
; %bb.9940:                             ;   in Loop: Header=BB6_9788 Depth=3
	v_or_b32_e32 v53, 0x7b, v20
; %bb.9941:                             ;   in Loop: Header=BB6_9788 Depth=3
	s_or_b32 exec_lo, exec_lo, s13
                                        ; implicit-def: $vgpr18
                                        ; implicit-def: $vgpr12_vgpr13
                                        ; implicit-def: $vgpr19
.LBB6_9942:                             ;   in Loop: Header=BB6_9788 Depth=3
	s_and_not1_saveexec_b32 s13, s42
	s_cbranch_execz .LBB6_9948
; %bb.9943:                             ;   in Loop: Header=BB6_9788 Depth=3
	s_mov_b32 s42, exec_lo
                                        ; implicit-def: $vgpr53
	v_cmpx_ne_u64_e32 0, v[12:13]
	s_xor_b32 s42, exec_lo, s42
; %bb.9944:                             ;   in Loop: Header=BB6_9788 Depth=3
	v_or_b32_e32 v53, 0x7f, v19
                                        ; implicit-def: $vgpr18
; %bb.9945:                             ;   in Loop: Header=BB6_9788 Depth=3
	s_and_not1_saveexec_b32 s42, s42
; %bb.9946:                             ;   in Loop: Header=BB6_9788 Depth=3
	v_cmp_lt_i32_e32 vcc_lo, -1, v18
	v_mov_b32_e32 v12, 0x7c
	s_delay_alu instid0(VALU_DEP_1)
	v_cndmask_b32_e32 v53, 0xfc, v12, vcc_lo
; %bb.9947:                             ;   in Loop: Header=BB6_9788 Depth=3
	s_or_b32 exec_lo, exec_lo, s42
.LBB6_9948:                             ;   in Loop: Header=BB6_9788 Depth=3
	s_delay_alu instid0(SALU_CYCLE_1) | instskip(SKIP_4) | instid1(VALU_DEP_3)
	s_or_b32 exec_lo, exec_lo, s13
	v_and_b32_e32 v20, 0xff, v49
	v_dual_mov_b32 v12, v49 :: v_dual_mov_b32 v13, v21
	v_dual_mov_b32 v19, 0 :: v_dual_mov_b32 v18, 0
	s_mov_b32 s42, exec_lo
	v_cmpx_ne_u16_e32 0, v20
	s_cbranch_execz .LBB6_9958
; %bb.9949:                             ;   in Loop: Header=BB6_9788 Depth=3
	v_bfrev_b32_e32 v18, 1
	s_mov_b32 s43, exec_lo
	v_cmpx_ne_u16_e32 0x80, v20
	s_cbranch_execz .LBB6_9957
; %bb.9950:                             ;   in Loop: Header=BB6_9788 Depth=3
	v_and_b32_e32 v18, 0x7c, v49
	v_and_b32_e32 v20, 3, v49
	s_delay_alu instid0(VALU_DEP_2) | instskip(SKIP_1) | instid1(SALU_CYCLE_1)
	v_cmp_ne_u32_e32 vcc_lo, 0x7c, v18
                                        ; implicit-def: $vgpr18
	s_and_saveexec_b32 s13, vcc_lo
	s_xor_b32 s13, exec_lo, s13
	s_cbranch_execz .LBB6_9954
; %bb.9951:                             ;   in Loop: Header=BB6_9788 Depth=3
	v_bfe_u32 v18, v49, 2, 5
	s_mov_b32 s72, exec_lo
	s_delay_alu instid0(VALU_DEP_1)
	v_cmpx_eq_u32_e32 0, v18
; %bb.9952:                             ;   in Loop: Header=BB6_9788 Depth=3
	v_clz_i32_u32_e32 v18, v20
	s_delay_alu instid0(VALU_DEP_1) | instskip(NEXT) | instid1(VALU_DEP_1)
	v_min_u32_e32 v18, 32, v18
	v_subrev_nc_u32_e32 v20, 29, v18
	v_sub_nc_u32_e32 v18, 30, v18
	s_delay_alu instid0(VALU_DEP_2) | instskip(NEXT) | instid1(VALU_DEP_1)
	v_lshlrev_b64_e32 v[22:23], v20, v[12:13]
	v_and_b32_e32 v20, 3, v22
; %bb.9953:                             ;   in Loop: Header=BB6_9788 Depth=3
	s_or_b32 exec_lo, exec_lo, s72
	v_lshlrev_b32_e32 v13, 24, v49
	s_delay_alu instid0(VALU_DEP_1) | instskip(NEXT) | instid1(VALU_DEP_1)
	v_and_b32_e32 v13, 0x80000000, v13
	v_lshl_add_u32 v13, v18, 23, v13
	s_delay_alu instid0(VALU_DEP_1) | instskip(NEXT) | instid1(VALU_DEP_1)
	v_lshl_or_b32 v13, v20, 21, v13
                                        ; implicit-def: $vgpr20
	v_add_nc_u32_e32 v18, 0x38000000, v13
.LBB6_9954:                             ;   in Loop: Header=BB6_9788 Depth=3
	s_and_not1_saveexec_b32 s72, s13
; %bb.9955:                             ;   in Loop: Header=BB6_9788 Depth=3
	v_bfe_i32 v13, v49, 0, 8
	v_cmp_eq_u32_e32 vcc_lo, 0, v20
	s_delay_alu instid0(VALU_DEP_2) | instskip(SKIP_1) | instid1(VALU_DEP_1)
	v_cmp_lt_i16_e64 s13, -1, v13
	v_mov_b32_e32 v13, 0x7f800000
	v_cndmask_b32_e64 v13, 0xff800000, v13, s13
	s_delay_alu instid0(VALU_DEP_1)
	v_cndmask_b32_e32 v18, 0x7f800001, v13, vcc_lo
; %bb.9956:                             ;   in Loop: Header=BB6_9788 Depth=3
	s_or_b32 exec_lo, exec_lo, s72
.LBB6_9957:                             ;   in Loop: Header=BB6_9788 Depth=3
	s_delay_alu instid0(SALU_CYCLE_1)
	s_or_b32 exec_lo, exec_lo, s43
.LBB6_9958:                             ;   in Loop: Header=BB6_9788 Depth=3
	s_delay_alu instid0(SALU_CYCLE_1) | instskip(SKIP_2) | instid1(VALU_DEP_1)
	s_or_b32 exec_lo, exec_lo, s42
	v_and_b32_e32 v13, 0xff, v37
	s_mov_b32 s42, exec_lo
	v_cmpx_ne_u16_e32 0, v13
	s_cbranch_execz .LBB6_9968
; %bb.9959:                             ;   in Loop: Header=BB6_9788 Depth=3
	v_bfrev_b32_e32 v19, 1
	s_mov_b32 s43, exec_lo
	v_cmpx_ne_u16_e32 0x80, v13
	s_cbranch_execz .LBB6_9967
; %bb.9960:                             ;   in Loop: Header=BB6_9788 Depth=3
	v_and_b32_e32 v19, 0x7c, v37
	v_and_b32_e32 v13, 3, v37
	s_delay_alu instid0(VALU_DEP_2) | instskip(SKIP_1) | instid1(SALU_CYCLE_1)
	v_cmp_ne_u32_e32 vcc_lo, 0x7c, v19
                                        ; implicit-def: $vgpr19
	s_and_saveexec_b32 s13, vcc_lo
	s_xor_b32 s13, exec_lo, s13
	s_cbranch_execz .LBB6_9964
; %bb.9961:                             ;   in Loop: Header=BB6_9788 Depth=3
	v_bfe_u32 v19, v37, 2, 5
	s_mov_b32 s72, exec_lo
	s_delay_alu instid0(VALU_DEP_1)
	v_cmpx_eq_u32_e32 0, v19
; %bb.9962:                             ;   in Loop: Header=BB6_9788 Depth=3
	v_clz_i32_u32_e32 v13, v13
	v_dual_mov_b32 v22, v37 :: v_dual_mov_b32 v23, v21
	s_delay_alu instid0(VALU_DEP_2) | instskip(NEXT) | instid1(VALU_DEP_1)
	v_min_u32_e32 v13, 32, v13
	v_subrev_nc_u32_e32 v19, 29, v13
	s_delay_alu instid0(VALU_DEP_1) | instskip(NEXT) | instid1(VALU_DEP_1)
	v_lshlrev_b64_e32 v[22:23], v19, v[22:23]
	v_dual_sub_nc_u32 v19, 30, v13 :: v_dual_bitop2_b32 v13, 3, v22 bitop3:0x40
; %bb.9963:                             ;   in Loop: Header=BB6_9788 Depth=3
	s_or_b32 exec_lo, exec_lo, s72
	v_lshlrev_b32_e32 v20, 24, v37
	s_delay_alu instid0(VALU_DEP_1) | instskip(NEXT) | instid1(VALU_DEP_1)
	v_and_b32_e32 v20, 0x80000000, v20
	v_lshl_add_u32 v19, v19, 23, v20
	s_delay_alu instid0(VALU_DEP_1) | instskip(NEXT) | instid1(VALU_DEP_1)
	v_lshl_or_b32 v13, v13, 21, v19
	v_add_nc_u32_e32 v19, 0x38000000, v13
                                        ; implicit-def: $vgpr13
.LBB6_9964:                             ;   in Loop: Header=BB6_9788 Depth=3
	s_and_not1_saveexec_b32 s72, s13
; %bb.9965:                             ;   in Loop: Header=BB6_9788 Depth=3
	v_bfe_i32 v19, v37, 0, 8
	v_cmp_eq_u32_e32 vcc_lo, 0, v13
	v_mov_b32_e32 v13, 0x7f800000
	s_delay_alu instid0(VALU_DEP_3) | instskip(NEXT) | instid1(VALU_DEP_1)
	v_cmp_lt_i16_e64 s13, -1, v19
	v_cndmask_b32_e64 v13, 0xff800000, v13, s13
	s_delay_alu instid0(VALU_DEP_1)
	v_cndmask_b32_e32 v19, 0x7f800001, v13, vcc_lo
; %bb.9966:                             ;   in Loop: Header=BB6_9788 Depth=3
	s_or_b32 exec_lo, exec_lo, s72
.LBB6_9967:                             ;   in Loop: Header=BB6_9788 Depth=3
	s_delay_alu instid0(SALU_CYCLE_1)
	s_or_b32 exec_lo, exec_lo, s43
.LBB6_9968:                             ;   in Loop: Header=BB6_9788 Depth=3
	s_delay_alu instid0(SALU_CYCLE_1) | instskip(NEXT) | instid1(VALU_DEP_1)
	s_or_b32 exec_lo, exec_lo, s42
	v_dual_mul_f32 v20, v18, v19 :: v_dual_mov_b32 v23, v21
	v_mov_b32_e32 v19, v21
                                        ; implicit-def: $vgpr54
	s_mov_b32 s13, exec_lo
	s_delay_alu instid0(VALU_DEP_2) | instskip(SKIP_2) | instid1(VALU_DEP_3)
	v_and_b32_e32 v22, 0x7f800000, v20
	v_and_b32_e32 v18, 0x7fffff, v20
	v_lshrrev_b32_e32 v13, 24, v20
	v_cmpx_ne_u64_e32 0x7f800000, v[22:23]
	s_xor_b32 s42, exec_lo, s13
	s_cbranch_execz .LBB6_9982
; %bb.9969:                             ;   in Loop: Header=BB6_9788 Depth=3
	v_and_b32_e32 v22, 0x7fffffff, v20
	v_mov_b32_e32 v23, v21
	v_and_b32_e32 v13, 0x80, v13
                                        ; implicit-def: $vgpr54
	s_mov_b32 s13, exec_lo
	s_delay_alu instid0(VALU_DEP_2)
	v_cmpx_gt_u64_e32 0x47600001, v[22:23]
	s_xor_b32 s43, exec_lo, s13
	s_cbranch_execz .LBB6_9979
; %bb.9970:                             ;   in Loop: Header=BB6_9788 Depth=3
	v_mov_b32_e32 v54, 0
	s_mov_b32 s72, exec_lo
	v_cmpx_ne_u32_e32 0, v20
	s_cbranch_execz .LBB6_9978
; %bb.9971:                             ;   in Loop: Header=BB6_9788 Depth=3
	v_bfe_u32 v20, v20, 23, 8
	v_or_b32_e32 v23, 0x800000, v18
	s_delay_alu instid0(VALU_DEP_2) | instskip(SKIP_2) | instid1(VALU_DEP_2)
	v_cmp_gt_u32_e64 s13, 0x72, v20
	v_sub_nc_u32_e32 v22, 0x71, v20
	v_cmp_eq_u32_e32 vcc_lo, 0, v20
	v_cndmask_b32_e64 v22, 0, v22, s13
	v_cndmask_b32_e32 v18, v23, v18, vcc_lo
	s_delay_alu instid0(VALU_DEP_2) | instskip(NEXT) | instid1(VALU_DEP_1)
	v_cndmask_b32_e64 v54, v22, 0x70, vcc_lo
	v_dual_add_nc_u32 v22, 21, v54 :: v_dual_add_nc_u32 v55, 20, v54
	s_delay_alu instid0(VALU_DEP_1) | instskip(NEXT) | instid1(VALU_DEP_2)
	v_lshlrev_b64_e64 v[22:23], v22, -1
	v_lshlrev_b64_e64 v[64:65], v55, 1
	s_delay_alu instid0(VALU_DEP_2) | instskip(SKIP_1) | instid1(VALU_DEP_4)
	v_bfi_b32 v22, v22, 0, v18
	v_lshrrev_b64 v[18:19], v54, v[18:19]
	v_bfi_b32 v23, v23, 0, 0
	s_delay_alu instid0(VALU_DEP_1) | instskip(NEXT) | instid1(VALU_DEP_3)
	v_cmp_eq_u64_e64 s13, v[22:23], v[64:65]
	v_mov_b64_e32 v[22:23], v[18:19]
	s_and_saveexec_b32 s73, s13
; %bb.9972:                             ;   in Loop: Header=BB6_9788 Depth=3
	v_bfe_u32 v22, v18, 21, 1
	v_mov_b32_e32 v23, v21
	s_delay_alu instid0(VALU_DEP_1) | instskip(NEXT) | instid1(VALU_DEP_1)
	v_add_nc_u64_e32 v[22:23], v[18:19], v[22:23]
	v_add_nc_u64_e32 v[22:23], -1, v[22:23]
; %bb.9973:                             ;   in Loop: Header=BB6_9788 Depth=3
	s_or_b32 exec_lo, exec_lo, s73
	v_add_nc_u32_e32 v19, 0xffffff81, v20
	v_lshrrev_b32_e32 v20, 23, v18
	s_mov_b32 s13, exec_lo
	s_delay_alu instid0(VALU_DEP_2) | instskip(NEXT) | instid1(VALU_DEP_1)
	v_cndmask_b32_e64 v19, v19, 0xffffff82, vcc_lo
	v_add3_u32 v23, v54, v19, v20
	v_and_b32_e32 v19, 0x1fffff, v22
                                        ; implicit-def: $vgpr20
	s_delay_alu instid0(VALU_DEP_1) | instskip(SKIP_1) | instid1(VALU_DEP_2)
	v_dual_add_nc_u32 v22, 14, v23 :: v_dual_add_nc_u32 v18, v19, v18
	v_mov_b32_e32 v19, v21
	v_cmpx_ne_u32_e32 0, v22
	s_xor_b32 s13, exec_lo, s13
; %bb.9974:                             ;   in Loop: Header=BB6_9788 Depth=3
	s_delay_alu instid0(VALU_DEP_2) | instskip(SKIP_1) | instid1(VALU_DEP_1)
	v_cmp_lt_u64_e32 vcc_lo, 0xffffff, v[18:19]
	v_add_nc_u32_e32 v20, 15, v23
	v_cndmask_b32_e32 v20, v22, v20, vcc_lo
	v_cndmask_b32_e64 v22, 0, 1, vcc_lo
	s_delay_alu instid0(VALU_DEP_1)
	v_lshrrev_b64 v[18:19], v22, v[18:19]
; %bb.9975:                             ;   in Loop: Header=BB6_9788 Depth=3
	s_and_not1_saveexec_b32 s13, s13
; %bb.9976:                             ;   in Loop: Header=BB6_9788 Depth=3
	s_delay_alu instid0(VALU_DEP_1)
	v_bfe_u32 v20, v18, 23, 1
; %bb.9977:                             ;   in Loop: Header=BB6_9788 Depth=3
	s_or_b32 exec_lo, exec_lo, s13
	s_delay_alu instid0(VALU_DEP_2) | instskip(NEXT) | instid1(VALU_DEP_2)
	v_lshrrev_b64 v[18:19], 21, v[18:19]
	v_cmp_gt_i32_e32 vcc_lo, 32, v20
	v_min_i32_e32 v22, 31, v20
	v_cmp_eq_u32_e64 s13, 0, v20
	s_delay_alu instid0(VALU_DEP_2) | instskip(SKIP_1) | instid1(VALU_DEP_2)
	v_dual_cndmask_b32 v19, 0, v19 :: v_dual_lshlrev_b32 v22, 2, v22
	v_cndmask_b32_e32 v18, 3, v18, vcc_lo
	v_and_b32_e32 v22, 0xfc, v22
	s_delay_alu instid0(VALU_DEP_2) | instskip(NEXT) | instid1(VALU_DEP_2)
	v_cmp_eq_u64_e32 vcc_lo, 0, v[18:19]
	v_and_or_b32 v18, v18, 3, v22
	s_and_b32 s13, s13, vcc_lo
	s_delay_alu instid0(VALU_DEP_1) | instid1(SALU_CYCLE_1)
	v_cndmask_b32_e64 v18, v18, 0, s13
	s_delay_alu instid0(VALU_DEP_1)
	v_or_b32_e32 v54, v18, v13
.LBB6_9978:                             ;   in Loop: Header=BB6_9788 Depth=3
	s_or_b32 exec_lo, exec_lo, s72
                                        ; implicit-def: $vgpr13
.LBB6_9979:                             ;   in Loop: Header=BB6_9788 Depth=3
	s_and_not1_saveexec_b32 s13, s43
; %bb.9980:                             ;   in Loop: Header=BB6_9788 Depth=3
	v_or_b32_e32 v54, 0x7b, v13
; %bb.9981:                             ;   in Loop: Header=BB6_9788 Depth=3
	s_or_b32 exec_lo, exec_lo, s13
                                        ; implicit-def: $vgpr20
                                        ; implicit-def: $vgpr18_vgpr19
                                        ; implicit-def: $vgpr13
.LBB6_9982:                             ;   in Loop: Header=BB6_9788 Depth=3
	s_and_not1_saveexec_b32 s13, s42
	s_cbranch_execz .LBB6_9988
; %bb.9983:                             ;   in Loop: Header=BB6_9788 Depth=3
	s_mov_b32 s42, exec_lo
                                        ; implicit-def: $vgpr54
	v_cmpx_ne_u64_e32 0, v[18:19]
	s_xor_b32 s42, exec_lo, s42
; %bb.9984:                             ;   in Loop: Header=BB6_9788 Depth=3
	v_or_b32_e32 v54, 0x7f, v13
                                        ; implicit-def: $vgpr20
; %bb.9985:                             ;   in Loop: Header=BB6_9788 Depth=3
	s_and_not1_saveexec_b32 s42, s42
; %bb.9986:                             ;   in Loop: Header=BB6_9788 Depth=3
	v_cmp_lt_i32_e32 vcc_lo, -1, v20
	v_mov_b32_e32 v13, 0x7c
	s_delay_alu instid0(VALU_DEP_1)
	v_cndmask_b32_e32 v54, 0xfc, v13, vcc_lo
; %bb.9987:                             ;   in Loop: Header=BB6_9788 Depth=3
	s_or_b32 exec_lo, exec_lo, s42
.LBB6_9988:                             ;   in Loop: Header=BB6_9788 Depth=3
	s_delay_alu instid0(SALU_CYCLE_1) | instskip(SKIP_3) | instid1(VALU_DEP_2)
	s_or_b32 exec_lo, exec_lo, s13
	v_lshrrev_b16 v18, 8, v12
	v_dual_mov_b32 v20, 0 :: v_dual_mov_b32 v19, 0
	s_mov_b32 s42, exec_lo
	v_cmpx_ne_u16_e32 0, v18
	s_cbranch_execz .LBB6_9998
; %bb.9989:                             ;   in Loop: Header=BB6_9788 Depth=3
	v_bfrev_b32_e32 v19, 1
	s_mov_b32 s43, exec_lo
	v_cmpx_ne_u16_e32 0x80, v18
	s_cbranch_execz .LBB6_9997
; %bb.9990:                             ;   in Loop: Header=BB6_9788 Depth=3
	v_and_b32_e32 v13, 0xffff, v18
	s_delay_alu instid0(VALU_DEP_1) | instskip(SKIP_1) | instid1(VALU_DEP_2)
	v_and_b32_e32 v19, 0x7c, v13
	v_and_b32_e32 v22, 3, v13
	v_cmp_ne_u32_e32 vcc_lo, 0x7c, v19
                                        ; implicit-def: $vgpr19
	s_and_saveexec_b32 s13, vcc_lo
	s_delay_alu instid0(SALU_CYCLE_1)
	s_xor_b32 s13, exec_lo, s13
	s_cbranch_execz .LBB6_9994
; %bb.9991:                             ;   in Loop: Header=BB6_9788 Depth=3
	v_bfe_u32 v13, v13, 2, 5
	s_mov_b32 s72, exec_lo
	s_delay_alu instid0(VALU_DEP_1)
	v_cmpx_eq_u32_e32 0, v13
	s_cbranch_execz .LBB6_9993
; %bb.9992:                             ;   in Loop: Header=BB6_9788 Depth=3
	v_clz_i32_u32_e32 v13, v22
	s_delay_alu instid0(VALU_DEP_1) | instskip(SKIP_1) | instid1(VALU_DEP_2)
	v_min_u32_e32 v13, 32, v13
	v_mov_b32_e32 v19, v21
	v_subrev_nc_u32_e32 v22, 29, v13
	v_sub_nc_u32_e32 v13, 30, v13
	s_delay_alu instid0(VALU_DEP_2) | instskip(NEXT) | instid1(VALU_DEP_1)
	v_lshlrev_b64_e32 v[18:19], v22, v[18:19]
	v_and_b32_e32 v22, 3, v18
.LBB6_9993:                             ;   in Loop: Header=BB6_9788 Depth=3
	s_or_b32 exec_lo, exec_lo, s72
	v_lshlrev_b32_e32 v12, 16, v12
	s_delay_alu instid0(VALU_DEP_1) | instskip(NEXT) | instid1(VALU_DEP_1)
	v_and_b32_e32 v12, 0x80000000, v12
	v_lshl_add_u32 v12, v13, 23, v12
	s_delay_alu instid0(VALU_DEP_1) | instskip(NEXT) | instid1(VALU_DEP_1)
	v_lshl_or_b32 v12, v22, 21, v12
                                        ; implicit-def: $vgpr22
	v_add_nc_u32_e32 v19, 0x38000000, v12
                                        ; implicit-def: $vgpr12_vgpr13
.LBB6_9994:                             ;   in Loop: Header=BB6_9788 Depth=3
	s_and_not1_saveexec_b32 s72, s13
; %bb.9995:                             ;   in Loop: Header=BB6_9788 Depth=3
	v_cmp_lt_i16_e64 s13, -1, v12
	v_mov_b32_e32 v12, 0x7f800000
	v_cmp_eq_u32_e32 vcc_lo, 0, v22
	s_delay_alu instid0(VALU_DEP_2) | instskip(NEXT) | instid1(VALU_DEP_1)
	v_cndmask_b32_e64 v12, 0xff800000, v12, s13
	v_cndmask_b32_e32 v19, 0x7f800001, v12, vcc_lo
; %bb.9996:                             ;   in Loop: Header=BB6_9788 Depth=3
	s_or_b32 exec_lo, exec_lo, s72
.LBB6_9997:                             ;   in Loop: Header=BB6_9788 Depth=3
	s_delay_alu instid0(SALU_CYCLE_1)
	s_or_b32 exec_lo, exec_lo, s43
.LBB6_9998:                             ;   in Loop: Header=BB6_9788 Depth=3
	s_delay_alu instid0(SALU_CYCLE_1) | instskip(SKIP_2) | instid1(VALU_DEP_1)
	s_or_b32 exec_lo, exec_lo, s42
	v_lshrrev_b16 v12, 8, v37
	s_mov_b32 s42, exec_lo
	v_cmpx_ne_u16_e32 0, v12
	s_cbranch_execz .LBB6_10008
; %bb.9999:                             ;   in Loop: Header=BB6_9788 Depth=3
	v_bfrev_b32_e32 v20, 1
	s_mov_b32 s43, exec_lo
	v_cmpx_ne_u16_e32 0x80, v12
	s_cbranch_execz .LBB6_10007
; %bb.10000:                            ;   in Loop: Header=BB6_9788 Depth=3
	v_and_b32_e32 v18, 0xffff, v12
	s_delay_alu instid0(VALU_DEP_1) | instskip(SKIP_1) | instid1(VALU_DEP_2)
	v_and_b32_e32 v20, 0x7c, v18
	v_and_b32_e32 v13, 3, v18
	v_cmp_ne_u32_e32 vcc_lo, 0x7c, v20
                                        ; implicit-def: $vgpr20
	s_and_saveexec_b32 s13, vcc_lo
	s_delay_alu instid0(SALU_CYCLE_1)
	s_xor_b32 s13, exec_lo, s13
	s_cbranch_execz .LBB6_10004
; %bb.10001:                            ;   in Loop: Header=BB6_9788 Depth=3
	v_bfe_u32 v18, v18, 2, 5
	s_mov_b32 s72, exec_lo
	s_delay_alu instid0(VALU_DEP_1)
	v_cmpx_eq_u32_e32 0, v18
	s_cbranch_execz .LBB6_10003
; %bb.10002:                            ;   in Loop: Header=BB6_9788 Depth=3
	v_clz_i32_u32_e32 v13, v13
	s_delay_alu instid0(VALU_DEP_1) | instskip(SKIP_1) | instid1(VALU_DEP_2)
	v_min_u32_e32 v18, 32, v13
	v_mov_b32_e32 v13, v21
	v_subrev_nc_u32_e32 v20, 29, v18
	v_sub_nc_u32_e32 v18, 30, v18
	s_delay_alu instid0(VALU_DEP_2) | instskip(NEXT) | instid1(VALU_DEP_1)
	v_lshlrev_b64_e32 v[12:13], v20, v[12:13]
	v_and_b32_e32 v13, 3, v12
.LBB6_10003:                            ;   in Loop: Header=BB6_9788 Depth=3
	s_or_b32 exec_lo, exec_lo, s72
	v_lshlrev_b32_e32 v12, 16, v37
	s_delay_alu instid0(VALU_DEP_1) | instskip(NEXT) | instid1(VALU_DEP_1)
	v_and_b32_e32 v12, 0x80000000, v12
	v_lshl_add_u32 v12, v18, 23, v12
	s_delay_alu instid0(VALU_DEP_1) | instskip(NEXT) | instid1(VALU_DEP_1)
	v_lshl_or_b32 v12, v13, 21, v12
                                        ; implicit-def: $vgpr13
	v_add_nc_u32_e32 v20, 0x38000000, v12
.LBB6_10004:                            ;   in Loop: Header=BB6_9788 Depth=3
	s_and_not1_saveexec_b32 s72, s13
; %bb.10005:                            ;   in Loop: Header=BB6_9788 Depth=3
	v_cmp_lt_i16_e64 s13, -1, v37
	v_mov_b32_e32 v12, 0x7f800000
	v_cmp_eq_u32_e32 vcc_lo, 0, v13
	s_delay_alu instid0(VALU_DEP_2) | instskip(NEXT) | instid1(VALU_DEP_1)
	v_cndmask_b32_e64 v12, 0xff800000, v12, s13
	v_cndmask_b32_e32 v20, 0x7f800001, v12, vcc_lo
; %bb.10006:                            ;   in Loop: Header=BB6_9788 Depth=3
	s_or_b32 exec_lo, exec_lo, s72
.LBB6_10007:                            ;   in Loop: Header=BB6_9788 Depth=3
	s_delay_alu instid0(SALU_CYCLE_1)
	s_or_b32 exec_lo, exec_lo, s43
.LBB6_10008:                            ;   in Loop: Header=BB6_9788 Depth=3
	s_delay_alu instid0(SALU_CYCLE_1) | instskip(NEXT) | instid1(VALU_DEP_1)
	s_or_b32 exec_lo, exec_lo, s42
	v_dual_mul_f32 v18, v19, v20 :: v_dual_mov_b32 v23, v21
	v_mov_b32_e32 v13, v21
                                        ; implicit-def: $vgpr55
	s_mov_b32 s13, exec_lo
	s_delay_alu instid0(VALU_DEP_2) | instskip(SKIP_2) | instid1(VALU_DEP_3)
	v_and_b32_e32 v22, 0x7f800000, v18
	v_and_b32_e32 v12, 0x7fffff, v18
	v_lshrrev_b32_e32 v19, 24, v18
	v_cmpx_ne_u64_e32 0x7f800000, v[22:23]
	s_xor_b32 s42, exec_lo, s13
	s_cbranch_execz .LBB6_10022
; %bb.10009:                            ;   in Loop: Header=BB6_9788 Depth=3
	v_and_b32_e32 v22, 0x7fffffff, v18
	v_mov_b32_e32 v23, v21
	v_and_b32_e32 v20, 0x80, v19
                                        ; implicit-def: $vgpr55
	s_mov_b32 s13, exec_lo
	s_delay_alu instid0(VALU_DEP_2)
	v_cmpx_gt_u64_e32 0x47600001, v[22:23]
	s_xor_b32 s43, exec_lo, s13
	s_cbranch_execz .LBB6_10019
; %bb.10010:                            ;   in Loop: Header=BB6_9788 Depth=3
	v_mov_b32_e32 v55, 0
	s_mov_b32 s72, exec_lo
	v_cmpx_ne_u32_e32 0, v18
	s_cbranch_execz .LBB6_10018
; %bb.10011:                            ;   in Loop: Header=BB6_9788 Depth=3
	v_bfe_u32 v22, v18, 23, 8
	v_or_b32_e32 v19, 0x800000, v12
	s_delay_alu instid0(VALU_DEP_2) | instskip(SKIP_2) | instid1(VALU_DEP_2)
	v_cmp_gt_u32_e64 s13, 0x72, v22
	v_sub_nc_u32_e32 v18, 0x71, v22
	v_cmp_eq_u32_e32 vcc_lo, 0, v22
	v_dual_cndmask_b32 v18, 0, v18, s13 :: v_dual_cndmask_b32 v12, v19, v12, vcc_lo
	s_delay_alu instid0(VALU_DEP_1) | instskip(NEXT) | instid1(VALU_DEP_1)
	v_cndmask_b32_e64 v23, v18, 0x70, vcc_lo
	v_dual_add_nc_u32 v18, 21, v23 :: v_dual_add_nc_u32 v55, 20, v23
	s_delay_alu instid0(VALU_DEP_1) | instskip(NEXT) | instid1(VALU_DEP_2)
	v_lshlrev_b64_e64 v[18:19], v18, -1
	v_lshlrev_b64_e64 v[64:65], v55, 1
	s_delay_alu instid0(VALU_DEP_2) | instskip(SKIP_1) | instid1(VALU_DEP_4)
	v_bfi_b32 v18, v18, 0, v12
	v_lshrrev_b64 v[12:13], v23, v[12:13]
	v_bfi_b32 v19, v19, 0, 0
	s_delay_alu instid0(VALU_DEP_1) | instskip(NEXT) | instid1(VALU_DEP_3)
	v_cmp_eq_u64_e64 s13, v[18:19], v[64:65]
	v_mov_b64_e32 v[18:19], v[12:13]
	s_and_saveexec_b32 s73, s13
; %bb.10012:                            ;   in Loop: Header=BB6_9788 Depth=3
	v_bfe_u32 v18, v12, 21, 1
	v_mov_b32_e32 v19, v21
	s_delay_alu instid0(VALU_DEP_1) | instskip(NEXT) | instid1(VALU_DEP_1)
	v_add_nc_u64_e32 v[18:19], v[12:13], v[18:19]
	v_add_nc_u64_e32 v[18:19], -1, v[18:19]
; %bb.10013:                            ;   in Loop: Header=BB6_9788 Depth=3
	s_or_b32 exec_lo, exec_lo, s73
	v_add_nc_u32_e32 v13, 0xffffff81, v22
	v_lshrrev_b32_e32 v19, 23, v12
	s_mov_b32 s13, exec_lo
	s_delay_alu instid0(VALU_DEP_2) | instskip(NEXT) | instid1(VALU_DEP_1)
	v_cndmask_b32_e64 v13, v13, 0xffffff82, vcc_lo
	v_add3_u32 v22, v23, v13, v19
	v_and_b32_e32 v13, 0x1fffff, v18
                                        ; implicit-def: $vgpr18
	s_delay_alu instid0(VALU_DEP_1) | instskip(SKIP_1) | instid1(VALU_DEP_2)
	v_dual_add_nc_u32 v19, 14, v22 :: v_dual_add_nc_u32 v12, v13, v12
	v_mov_b32_e32 v13, v21
	v_cmpx_ne_u32_e32 0, v19
	s_xor_b32 s13, exec_lo, s13
; %bb.10014:                            ;   in Loop: Header=BB6_9788 Depth=3
	s_delay_alu instid0(VALU_DEP_2) | instskip(SKIP_1) | instid1(VALU_DEP_1)
	v_cmp_lt_u64_e32 vcc_lo, 0xffffff, v[12:13]
	v_add_nc_u32_e32 v18, 15, v22
	v_cndmask_b32_e32 v18, v19, v18, vcc_lo
	v_cndmask_b32_e64 v19, 0, 1, vcc_lo
	s_delay_alu instid0(VALU_DEP_1)
	v_lshrrev_b64 v[12:13], v19, v[12:13]
; %bb.10015:                            ;   in Loop: Header=BB6_9788 Depth=3
	s_and_not1_saveexec_b32 s13, s13
; %bb.10016:                            ;   in Loop: Header=BB6_9788 Depth=3
	s_delay_alu instid0(VALU_DEP_1)
	v_bfe_u32 v18, v12, 23, 1
; %bb.10017:                            ;   in Loop: Header=BB6_9788 Depth=3
	s_or_b32 exec_lo, exec_lo, s13
	s_delay_alu instid0(VALU_DEP_2) | instskip(NEXT) | instid1(VALU_DEP_2)
	v_lshrrev_b64 v[12:13], 21, v[12:13]
	v_cmp_gt_i32_e32 vcc_lo, 32, v18
	v_min_i32_e32 v19, 31, v18
	v_cmp_eq_u32_e64 s13, 0, v18
	s_delay_alu instid0(VALU_DEP_2) | instskip(SKIP_1) | instid1(VALU_DEP_2)
	v_dual_cndmask_b32 v13, 0, v13, vcc_lo :: v_dual_lshlrev_b32 v19, 2, v19
	v_cndmask_b32_e32 v12, 3, v12, vcc_lo
	v_and_b32_e32 v19, 0xfc, v19
	s_delay_alu instid0(VALU_DEP_2) | instskip(NEXT) | instid1(VALU_DEP_2)
	v_cmp_eq_u64_e32 vcc_lo, 0, v[12:13]
	v_and_or_b32 v12, v12, 3, v19
	s_and_b32 s13, s13, vcc_lo
	s_delay_alu instid0(VALU_DEP_1) | instid1(SALU_CYCLE_1)
	v_cndmask_b32_e64 v12, v12, 0, s13
	s_delay_alu instid0(VALU_DEP_1)
	v_or_b32_e32 v55, v12, v20
.LBB6_10018:                            ;   in Loop: Header=BB6_9788 Depth=3
	s_or_b32 exec_lo, exec_lo, s72
                                        ; implicit-def: $vgpr20
.LBB6_10019:                            ;   in Loop: Header=BB6_9788 Depth=3
	s_and_not1_saveexec_b32 s13, s43
; %bb.10020:                            ;   in Loop: Header=BB6_9788 Depth=3
	v_or_b32_e32 v55, 0x7b, v20
; %bb.10021:                            ;   in Loop: Header=BB6_9788 Depth=3
	s_or_b32 exec_lo, exec_lo, s13
                                        ; implicit-def: $vgpr18
                                        ; implicit-def: $vgpr12_vgpr13
                                        ; implicit-def: $vgpr19
.LBB6_10022:                            ;   in Loop: Header=BB6_9788 Depth=3
	s_and_not1_saveexec_b32 s13, s42
	s_cbranch_execz .LBB6_10028
; %bb.10023:                            ;   in Loop: Header=BB6_9788 Depth=3
	s_mov_b32 s42, exec_lo
                                        ; implicit-def: $vgpr55
	v_cmpx_ne_u64_e32 0, v[12:13]
	s_xor_b32 s42, exec_lo, s42
; %bb.10024:                            ;   in Loop: Header=BB6_9788 Depth=3
	v_or_b32_e32 v55, 0x7f, v19
                                        ; implicit-def: $vgpr18
; %bb.10025:                            ;   in Loop: Header=BB6_9788 Depth=3
	s_and_not1_saveexec_b32 s42, s42
; %bb.10026:                            ;   in Loop: Header=BB6_9788 Depth=3
	v_cmp_lt_i32_e32 vcc_lo, -1, v18
	v_mov_b32_e32 v12, 0x7c
	s_delay_alu instid0(VALU_DEP_1)
	v_cndmask_b32_e32 v55, 0xfc, v12, vcc_lo
; %bb.10027:                            ;   in Loop: Header=BB6_9788 Depth=3
	s_or_b32 exec_lo, exec_lo, s42
.LBB6_10028:                            ;   in Loop: Header=BB6_9788 Depth=3
	s_delay_alu instid0(SALU_CYCLE_1) | instskip(SKIP_3) | instid1(VALU_DEP_2)
	s_or_b32 exec_lo, exec_lo, s13
	v_dual_mov_b32 v13, 0 :: v_dual_lshrrev_b32 v12, 16, v49
	v_mov_b32_e32 v18, 0
	s_mov_b32 s42, exec_lo
	v_and_b32_e32 v19, 0xff, v12
	s_delay_alu instid0(VALU_DEP_1)
	v_cmpx_ne_u16_e32 0, v19
	s_cbranch_execz .LBB6_10038
; %bb.10029:                            ;   in Loop: Header=BB6_9788 Depth=3
	v_bfrev_b32_e32 v18, 1
	s_mov_b32 s43, exec_lo
	v_cmpx_ne_u16_e32 0x80, v19
	s_cbranch_execz .LBB6_10037
; %bb.10030:                            ;   in Loop: Header=BB6_9788 Depth=3
	v_and_b32_e32 v18, 0x7c0000, v49
	v_bfe_u32 v19, v49, 16, 2
	s_delay_alu instid0(VALU_DEP_2) | instskip(SKIP_1) | instid1(SALU_CYCLE_1)
	v_cmp_ne_u32_e32 vcc_lo, 0x7c0000, v18
                                        ; implicit-def: $vgpr18
	s_and_saveexec_b32 s13, vcc_lo
	s_xor_b32 s13, exec_lo, s13
	s_cbranch_execz .LBB6_10034
; %bb.10031:                            ;   in Loop: Header=BB6_9788 Depth=3
	v_bfe_u32 v18, v49, 18, 5
	s_mov_b32 s72, exec_lo
	s_delay_alu instid0(VALU_DEP_1)
	v_cmpx_eq_u32_e32 0, v18
; %bb.10032:                            ;   in Loop: Header=BB6_9788 Depth=3
	v_clz_i32_u32_e32 v18, v19
	s_delay_alu instid0(VALU_DEP_1) | instskip(NEXT) | instid1(VALU_DEP_1)
	v_min_u32_e32 v18, 32, v18
	v_subrev_nc_u32_e32 v19, 29, v18
	v_sub_nc_u32_e32 v18, 30, v18
	s_delay_alu instid0(VALU_DEP_2) | instskip(NEXT) | instid1(VALU_DEP_1)
	v_lshlrev_b64_e32 v[22:23], v19, v[12:13]
	v_and_b32_e32 v19, 3, v22
; %bb.10033:                            ;   in Loop: Header=BB6_9788 Depth=3
	s_or_b32 exec_lo, exec_lo, s72
	v_lshlrev_b32_e32 v12, 24, v12
	s_delay_alu instid0(VALU_DEP_1) | instskip(NEXT) | instid1(VALU_DEP_1)
	v_and_b32_e32 v12, 0x80000000, v12
	v_lshl_add_u32 v12, v18, 23, v12
	s_delay_alu instid0(VALU_DEP_1) | instskip(NEXT) | instid1(VALU_DEP_1)
	v_lshl_or_b32 v12, v19, 21, v12
                                        ; implicit-def: $vgpr19
	v_add_nc_u32_e32 v18, 0x38000000, v12
                                        ; implicit-def: $vgpr12
.LBB6_10034:                            ;   in Loop: Header=BB6_9788 Depth=3
	s_and_not1_saveexec_b32 s72, s13
; %bb.10035:                            ;   in Loop: Header=BB6_9788 Depth=3
	v_bfe_i32 v12, v12, 0, 8
	v_cmp_eq_u32_e32 vcc_lo, 0, v19
	s_delay_alu instid0(VALU_DEP_2) | instskip(SKIP_1) | instid1(VALU_DEP_1)
	v_cmp_lt_i16_e64 s13, -1, v12
	v_mov_b32_e32 v12, 0x7f800000
	v_cndmask_b32_e64 v12, 0xff800000, v12, s13
	s_delay_alu instid0(VALU_DEP_1)
	v_cndmask_b32_e32 v18, 0x7f800001, v12, vcc_lo
; %bb.10036:                            ;   in Loop: Header=BB6_9788 Depth=3
	s_or_b32 exec_lo, exec_lo, s72
.LBB6_10037:                            ;   in Loop: Header=BB6_9788 Depth=3
	s_delay_alu instid0(SALU_CYCLE_1)
	s_or_b32 exec_lo, exec_lo, s43
.LBB6_10038:                            ;   in Loop: Header=BB6_9788 Depth=3
	s_delay_alu instid0(SALU_CYCLE_1) | instskip(SKIP_2) | instid1(VALU_DEP_1)
	s_or_b32 exec_lo, exec_lo, s42
	v_lshrrev_b32_e32 v12, 16, v37
	s_mov_b32 s42, exec_lo
	v_and_b32_e32 v19, 0xff, v12
	s_delay_alu instid0(VALU_DEP_1)
	v_cmpx_ne_u16_e32 0, v19
	s_cbranch_execz .LBB6_10048
; %bb.10039:                            ;   in Loop: Header=BB6_9788 Depth=3
	v_bfrev_b32_e32 v13, 1
	s_mov_b32 s43, exec_lo
	v_cmpx_ne_u16_e32 0x80, v19
	s_cbranch_execz .LBB6_10047
; %bb.10040:                            ;   in Loop: Header=BB6_9788 Depth=3
	v_and_b32_e32 v13, 0x7c0000, v37
	v_bfe_u32 v19, v37, 16, 2
	s_delay_alu instid0(VALU_DEP_2) | instskip(SKIP_1) | instid1(SALU_CYCLE_1)
	v_cmp_ne_u32_e32 vcc_lo, 0x7c0000, v13
                                        ; implicit-def: $vgpr13
	s_and_saveexec_b32 s13, vcc_lo
	s_xor_b32 s13, exec_lo, s13
	s_cbranch_execz .LBB6_10044
; %bb.10041:                            ;   in Loop: Header=BB6_9788 Depth=3
	v_bfe_u32 v13, v37, 18, 5
	s_mov_b32 s72, exec_lo
	s_delay_alu instid0(VALU_DEP_1)
	v_cmpx_eq_u32_e32 0, v13
; %bb.10042:                            ;   in Loop: Header=BB6_9788 Depth=3
	v_clz_i32_u32_e32 v13, v19
	s_delay_alu instid0(VALU_DEP_1) | instskip(NEXT) | instid1(VALU_DEP_1)
	v_min_u32_e32 v13, 32, v13
	v_subrev_nc_u32_e32 v19, 29, v13
	s_delay_alu instid0(VALU_DEP_1) | instskip(NEXT) | instid1(VALU_DEP_1)
	v_lshlrev_b64_e32 v[22:23], v19, v[12:13]
	v_dual_sub_nc_u32 v13, 30, v13 :: v_dual_bitop2_b32 v19, 3, v22 bitop3:0x40
; %bb.10043:                            ;   in Loop: Header=BB6_9788 Depth=3
	s_or_b32 exec_lo, exec_lo, s72
	v_lshlrev_b32_e32 v12, 24, v12
	s_delay_alu instid0(VALU_DEP_1) | instskip(NEXT) | instid1(VALU_DEP_1)
	v_and_b32_e32 v12, 0x80000000, v12
	v_lshl_add_u32 v12, v13, 23, v12
	s_delay_alu instid0(VALU_DEP_1) | instskip(NEXT) | instid1(VALU_DEP_1)
	v_lshl_or_b32 v12, v19, 21, v12
                                        ; implicit-def: $vgpr19
	v_add_nc_u32_e32 v13, 0x38000000, v12
                                        ; implicit-def: $vgpr12
.LBB6_10044:                            ;   in Loop: Header=BB6_9788 Depth=3
	s_and_not1_saveexec_b32 s72, s13
; %bb.10045:                            ;   in Loop: Header=BB6_9788 Depth=3
	v_bfe_i32 v12, v12, 0, 8
	v_cmp_eq_u32_e32 vcc_lo, 0, v19
	s_delay_alu instid0(VALU_DEP_2) | instskip(SKIP_1) | instid1(VALU_DEP_1)
	v_cmp_lt_i16_e64 s13, -1, v12
	v_mov_b32_e32 v12, 0x7f800000
	v_cndmask_b32_e64 v12, 0xff800000, v12, s13
	s_delay_alu instid0(VALU_DEP_1)
	v_cndmask_b32_e32 v13, 0x7f800001, v12, vcc_lo
; %bb.10046:                            ;   in Loop: Header=BB6_9788 Depth=3
	s_or_b32 exec_lo, exec_lo, s72
.LBB6_10047:                            ;   in Loop: Header=BB6_9788 Depth=3
	s_delay_alu instid0(SALU_CYCLE_1)
	s_or_b32 exec_lo, exec_lo, s43
.LBB6_10048:                            ;   in Loop: Header=BB6_9788 Depth=3
	s_delay_alu instid0(SALU_CYCLE_1) | instskip(NEXT) | instid1(VALU_DEP_1)
	s_or_b32 exec_lo, exec_lo, s42
	v_dual_mul_f32 v18, v18, v13 :: v_dual_mov_b32 v23, v21
	v_mov_b32_e32 v13, v21
                                        ; implicit-def: $vgpr64
	s_mov_b32 s13, exec_lo
	s_delay_alu instid0(VALU_DEP_2) | instskip(SKIP_2) | instid1(VALU_DEP_3)
	v_and_b32_e32 v22, 0x7f800000, v18
	v_and_b32_e32 v12, 0x7fffff, v18
	v_lshrrev_b32_e32 v19, 24, v18
	v_cmpx_ne_u64_e32 0x7f800000, v[22:23]
	s_xor_b32 s42, exec_lo, s13
	s_cbranch_execz .LBB6_10062
; %bb.10049:                            ;   in Loop: Header=BB6_9788 Depth=3
	v_and_b32_e32 v22, 0x7fffffff, v18
	v_mov_b32_e32 v23, v21
	v_and_b32_e32 v20, 0x80, v19
                                        ; implicit-def: $vgpr64
	s_mov_b32 s13, exec_lo
	s_delay_alu instid0(VALU_DEP_2)
	v_cmpx_gt_u64_e32 0x47600001, v[22:23]
	s_xor_b32 s43, exec_lo, s13
	s_cbranch_execz .LBB6_10059
; %bb.10050:                            ;   in Loop: Header=BB6_9788 Depth=3
	v_mov_b32_e32 v64, 0
	s_mov_b32 s72, exec_lo
	v_cmpx_ne_u32_e32 0, v18
	s_cbranch_execz .LBB6_10058
; %bb.10051:                            ;   in Loop: Header=BB6_9788 Depth=3
	v_bfe_u32 v22, v18, 23, 8
	v_or_b32_e32 v19, 0x800000, v12
	s_delay_alu instid0(VALU_DEP_2) | instskip(SKIP_2) | instid1(VALU_DEP_2)
	v_cmp_gt_u32_e64 s13, 0x72, v22
	v_sub_nc_u32_e32 v18, 0x71, v22
	v_cmp_eq_u32_e32 vcc_lo, 0, v22
	v_dual_cndmask_b32 v18, 0, v18, s13 :: v_dual_cndmask_b32 v12, v19, v12, vcc_lo
	s_delay_alu instid0(VALU_DEP_1) | instskip(NEXT) | instid1(VALU_DEP_1)
	v_cndmask_b32_e64 v23, v18, 0x70, vcc_lo
	v_dual_add_nc_u32 v18, 21, v23 :: v_dual_add_nc_u32 v64, 20, v23
	s_delay_alu instid0(VALU_DEP_1) | instskip(NEXT) | instid1(VALU_DEP_2)
	v_lshlrev_b64_e64 v[18:19], v18, -1
	v_lshlrev_b64_e64 v[64:65], v64, 1
	s_delay_alu instid0(VALU_DEP_2) | instskip(SKIP_1) | instid1(VALU_DEP_4)
	v_bfi_b32 v18, v18, 0, v12
	v_lshrrev_b64 v[12:13], v23, v[12:13]
	v_bfi_b32 v19, v19, 0, 0
	s_delay_alu instid0(VALU_DEP_1) | instskip(NEXT) | instid1(VALU_DEP_3)
	v_cmp_eq_u64_e64 s13, v[18:19], v[64:65]
	v_mov_b64_e32 v[18:19], v[12:13]
	s_and_saveexec_b32 s73, s13
; %bb.10052:                            ;   in Loop: Header=BB6_9788 Depth=3
	v_bfe_u32 v18, v12, 21, 1
	v_mov_b32_e32 v19, v21
	s_delay_alu instid0(VALU_DEP_1) | instskip(NEXT) | instid1(VALU_DEP_1)
	v_add_nc_u64_e32 v[18:19], v[12:13], v[18:19]
	v_add_nc_u64_e32 v[18:19], -1, v[18:19]
; %bb.10053:                            ;   in Loop: Header=BB6_9788 Depth=3
	s_or_b32 exec_lo, exec_lo, s73
	v_add_nc_u32_e32 v13, 0xffffff81, v22
	v_lshrrev_b32_e32 v19, 23, v12
	s_mov_b32 s13, exec_lo
	s_delay_alu instid0(VALU_DEP_2) | instskip(NEXT) | instid1(VALU_DEP_1)
	v_cndmask_b32_e64 v13, v13, 0xffffff82, vcc_lo
	v_add3_u32 v22, v23, v13, v19
	v_and_b32_e32 v13, 0x1fffff, v18
                                        ; implicit-def: $vgpr18
	s_delay_alu instid0(VALU_DEP_1) | instskip(SKIP_1) | instid1(VALU_DEP_2)
	v_dual_add_nc_u32 v19, 14, v22 :: v_dual_add_nc_u32 v12, v13, v12
	v_mov_b32_e32 v13, v21
	v_cmpx_ne_u32_e32 0, v19
	s_xor_b32 s13, exec_lo, s13
; %bb.10054:                            ;   in Loop: Header=BB6_9788 Depth=3
	s_delay_alu instid0(VALU_DEP_2) | instskip(SKIP_1) | instid1(VALU_DEP_1)
	v_cmp_lt_u64_e32 vcc_lo, 0xffffff, v[12:13]
	v_add_nc_u32_e32 v18, 15, v22
	v_cndmask_b32_e32 v18, v19, v18, vcc_lo
	v_cndmask_b32_e64 v19, 0, 1, vcc_lo
	s_delay_alu instid0(VALU_DEP_1)
	v_lshrrev_b64 v[12:13], v19, v[12:13]
; %bb.10055:                            ;   in Loop: Header=BB6_9788 Depth=3
	s_and_not1_saveexec_b32 s13, s13
; %bb.10056:                            ;   in Loop: Header=BB6_9788 Depth=3
	s_delay_alu instid0(VALU_DEP_1)
	v_bfe_u32 v18, v12, 23, 1
; %bb.10057:                            ;   in Loop: Header=BB6_9788 Depth=3
	s_or_b32 exec_lo, exec_lo, s13
	s_delay_alu instid0(VALU_DEP_2) | instskip(NEXT) | instid1(VALU_DEP_2)
	v_lshrrev_b64 v[12:13], 21, v[12:13]
	v_cmp_gt_i32_e32 vcc_lo, 32, v18
	v_min_i32_e32 v19, 31, v18
	v_cmp_eq_u32_e64 s13, 0, v18
	s_delay_alu instid0(VALU_DEP_2) | instskip(SKIP_1) | instid1(VALU_DEP_2)
	v_dual_cndmask_b32 v13, 0, v13, vcc_lo :: v_dual_lshlrev_b32 v19, 2, v19
	v_cndmask_b32_e32 v12, 3, v12, vcc_lo
	v_and_b32_e32 v19, 0xfc, v19
	s_delay_alu instid0(VALU_DEP_2) | instskip(NEXT) | instid1(VALU_DEP_2)
	v_cmp_eq_u64_e32 vcc_lo, 0, v[12:13]
	v_and_or_b32 v12, v12, 3, v19
	s_and_b32 s13, s13, vcc_lo
	s_delay_alu instid0(VALU_DEP_1) | instid1(SALU_CYCLE_1)
	v_cndmask_b32_e64 v12, v12, 0, s13
	s_delay_alu instid0(VALU_DEP_1)
	v_or_b32_e32 v64, v12, v20
.LBB6_10058:                            ;   in Loop: Header=BB6_9788 Depth=3
	s_or_b32 exec_lo, exec_lo, s72
                                        ; implicit-def: $vgpr20
.LBB6_10059:                            ;   in Loop: Header=BB6_9788 Depth=3
	s_and_not1_saveexec_b32 s13, s43
; %bb.10060:                            ;   in Loop: Header=BB6_9788 Depth=3
	v_or_b32_e32 v64, 0x7b, v20
; %bb.10061:                            ;   in Loop: Header=BB6_9788 Depth=3
	s_or_b32 exec_lo, exec_lo, s13
                                        ; implicit-def: $vgpr18
                                        ; implicit-def: $vgpr12_vgpr13
                                        ; implicit-def: $vgpr19
.LBB6_10062:                            ;   in Loop: Header=BB6_9788 Depth=3
	s_and_not1_saveexec_b32 s13, s42
	s_cbranch_execz .LBB6_10068
; %bb.10063:                            ;   in Loop: Header=BB6_9788 Depth=3
	s_mov_b32 s42, exec_lo
                                        ; implicit-def: $vgpr64
	v_cmpx_ne_u64_e32 0, v[12:13]
	s_xor_b32 s42, exec_lo, s42
; %bb.10064:                            ;   in Loop: Header=BB6_9788 Depth=3
	v_or_b32_e32 v64, 0x7f, v19
                                        ; implicit-def: $vgpr18
; %bb.10065:                            ;   in Loop: Header=BB6_9788 Depth=3
	s_and_not1_saveexec_b32 s42, s42
; %bb.10066:                            ;   in Loop: Header=BB6_9788 Depth=3
	v_cmp_lt_i32_e32 vcc_lo, -1, v18
	v_mov_b32_e32 v12, 0x7c
	s_delay_alu instid0(VALU_DEP_1)
	v_cndmask_b32_e32 v64, 0xfc, v12, vcc_lo
; %bb.10067:                            ;   in Loop: Header=BB6_9788 Depth=3
	s_or_b32 exec_lo, exec_lo, s42
.LBB6_10068:                            ;   in Loop: Header=BB6_9788 Depth=3
	s_delay_alu instid0(SALU_CYCLE_1)
	s_or_b32 exec_lo, exec_lo, s13
	v_dual_mov_b32 v13, 0 :: v_dual_mov_b32 v18, 0
	s_mov_b32 s42, exec_lo
	v_cmpx_lt_u64_e64 s[22:23], v[48:49]
	s_cbranch_execz .LBB6_10078
; %bb.10069:                            ;   in Loop: Header=BB6_9788 Depth=3
	v_lshrrev_b32_e32 v12, 24, v49
	v_bfrev_b32_e32 v18, 1
	s_mov_b32 s43, exec_lo
	s_delay_alu instid0(VALU_DEP_2)
	v_cmpx_ne_u32_e32 0x80, v12
	s_cbranch_execz .LBB6_10077
; %bb.10070:                            ;   in Loop: Header=BB6_9788 Depth=3
	v_and_b32_e32 v18, 0x7c000000, v49
	v_bfe_u32 v19, v49, 24, 2
	s_delay_alu instid0(VALU_DEP_2) | instskip(SKIP_1) | instid1(SALU_CYCLE_1)
	v_cmp_ne_u32_e32 vcc_lo, 0x7c000000, v18
                                        ; implicit-def: $vgpr18
	s_and_saveexec_b32 s13, vcc_lo
	s_xor_b32 s13, exec_lo, s13
	s_cbranch_execz .LBB6_10074
; %bb.10071:                            ;   in Loop: Header=BB6_9788 Depth=3
	v_bfe_u32 v18, v49, 26, 5
	s_mov_b32 s72, exec_lo
	s_delay_alu instid0(VALU_DEP_1)
	v_cmpx_eq_u32_e32 0, v18
; %bb.10072:                            ;   in Loop: Header=BB6_9788 Depth=3
	v_clz_i32_u32_e32 v18, v19
	s_delay_alu instid0(VALU_DEP_1) | instskip(NEXT) | instid1(VALU_DEP_1)
	v_min_u32_e32 v18, 32, v18
	v_subrev_nc_u32_e32 v19, 29, v18
	v_sub_nc_u32_e32 v18, 30, v18
	s_delay_alu instid0(VALU_DEP_2) | instskip(NEXT) | instid1(VALU_DEP_1)
	v_lshlrev_b64_e32 v[22:23], v19, v[12:13]
	v_and_b32_e32 v19, 3, v22
; %bb.10073:                            ;   in Loop: Header=BB6_9788 Depth=3
	s_or_b32 exec_lo, exec_lo, s72
	v_and_b32_e32 v12, 0x80000000, v49
	s_delay_alu instid0(VALU_DEP_1) | instskip(NEXT) | instid1(VALU_DEP_1)
	v_lshl_add_u32 v12, v18, 23, v12
	v_lshl_or_b32 v12, v19, 21, v12
                                        ; implicit-def: $vgpr19
	s_delay_alu instid0(VALU_DEP_1)
	v_add_nc_u32_e32 v18, 0x38000000, v12
.LBB6_10074:                            ;   in Loop: Header=BB6_9788 Depth=3
	s_and_not1_saveexec_b32 s72, s13
; %bb.10075:                            ;   in Loop: Header=BB6_9788 Depth=3
	v_cmp_lt_i64_e64 s13, -1, v[48:49]
	v_mov_b32_e32 v12, 0x7f800000
	v_cmp_eq_u32_e32 vcc_lo, 0, v19
	s_delay_alu instid0(VALU_DEP_2) | instskip(NEXT) | instid1(VALU_DEP_1)
	v_cndmask_b32_e64 v12, 0xff800000, v12, s13
	v_cndmask_b32_e32 v18, 0x7f800001, v12, vcc_lo
; %bb.10076:                            ;   in Loop: Header=BB6_9788 Depth=3
	s_or_b32 exec_lo, exec_lo, s72
.LBB6_10077:                            ;   in Loop: Header=BB6_9788 Depth=3
	s_delay_alu instid0(SALU_CYCLE_1)
	s_or_b32 exec_lo, exec_lo, s43
.LBB6_10078:                            ;   in Loop: Header=BB6_9788 Depth=3
	s_delay_alu instid0(SALU_CYCLE_1) | instskip(NEXT) | instid1(SALU_CYCLE_1)
	s_or_b32 exec_lo, exec_lo, s42
	s_mov_b32 s42, exec_lo
	v_cmpx_lt_u64_e64 s[22:23], v[36:37]
	s_cbranch_execz .LBB6_10088
; %bb.10079:                            ;   in Loop: Header=BB6_9788 Depth=3
	v_lshrrev_b32_e32 v12, 24, v37
	v_bfrev_b32_e32 v13, 1
	s_mov_b32 s43, exec_lo
	s_delay_alu instid0(VALU_DEP_2)
	v_cmpx_ne_u32_e32 0x80, v12
	s_cbranch_execz .LBB6_10087
; %bb.10080:                            ;   in Loop: Header=BB6_9788 Depth=3
	v_and_b32_e32 v13, 0x7c000000, v37
	v_bfe_u32 v19, v37, 24, 2
	s_delay_alu instid0(VALU_DEP_2) | instskip(SKIP_1) | instid1(SALU_CYCLE_1)
	v_cmp_ne_u32_e32 vcc_lo, 0x7c000000, v13
                                        ; implicit-def: $vgpr13
	s_and_saveexec_b32 s13, vcc_lo
	s_xor_b32 s13, exec_lo, s13
	s_cbranch_execz .LBB6_10084
; %bb.10081:                            ;   in Loop: Header=BB6_9788 Depth=3
	v_bfe_u32 v13, v37, 26, 5
	s_mov_b32 s72, exec_lo
	s_delay_alu instid0(VALU_DEP_1)
	v_cmpx_eq_u32_e32 0, v13
; %bb.10082:                            ;   in Loop: Header=BB6_9788 Depth=3
	v_clz_i32_u32_e32 v13, v19
	s_delay_alu instid0(VALU_DEP_1) | instskip(NEXT) | instid1(VALU_DEP_1)
	v_min_u32_e32 v19, 32, v13
	v_subrev_nc_u32_e32 v13, 29, v19
	s_delay_alu instid0(VALU_DEP_1) | instskip(NEXT) | instid1(VALU_DEP_1)
	v_lshlrev_b64_e32 v[12:13], v13, v[12:13]
	v_dual_sub_nc_u32 v13, 30, v19 :: v_dual_bitop2_b32 v19, 3, v12 bitop3:0x40
; %bb.10083:                            ;   in Loop: Header=BB6_9788 Depth=3
	s_or_b32 exec_lo, exec_lo, s72
	v_and_b32_e32 v12, 0x80000000, v37
	s_delay_alu instid0(VALU_DEP_1) | instskip(NEXT) | instid1(VALU_DEP_1)
	v_lshl_add_u32 v12, v13, 23, v12
	v_lshl_or_b32 v12, v19, 21, v12
                                        ; implicit-def: $vgpr19
	s_delay_alu instid0(VALU_DEP_1)
	v_add_nc_u32_e32 v13, 0x38000000, v12
.LBB6_10084:                            ;   in Loop: Header=BB6_9788 Depth=3
	s_and_not1_saveexec_b32 s72, s13
; %bb.10085:                            ;   in Loop: Header=BB6_9788 Depth=3
	v_cmp_lt_i64_e64 s13, -1, v[36:37]
	v_mov_b32_e32 v12, 0x7f800000
	v_cmp_eq_u32_e32 vcc_lo, 0, v19
	s_delay_alu instid0(VALU_DEP_2) | instskip(NEXT) | instid1(VALU_DEP_1)
	v_cndmask_b32_e64 v12, 0xff800000, v12, s13
	v_cndmask_b32_e32 v13, 0x7f800001, v12, vcc_lo
; %bb.10086:                            ;   in Loop: Header=BB6_9788 Depth=3
	s_or_b32 exec_lo, exec_lo, s72
.LBB6_10087:                            ;   in Loop: Header=BB6_9788 Depth=3
	s_delay_alu instid0(SALU_CYCLE_1)
	s_or_b32 exec_lo, exec_lo, s43
.LBB6_10088:                            ;   in Loop: Header=BB6_9788 Depth=3
	s_delay_alu instid0(SALU_CYCLE_1) | instskip(NEXT) | instid1(VALU_DEP_1)
	s_or_b32 exec_lo, exec_lo, s42
	v_dual_mul_f32 v18, v18, v13 :: v_dual_mov_b32 v23, v21
	v_mov_b32_e32 v13, v21
                                        ; implicit-def: $vgpr36
	s_mov_b32 s13, exec_lo
	s_delay_alu instid0(VALU_DEP_2) | instskip(SKIP_2) | instid1(VALU_DEP_3)
	v_and_b32_e32 v22, 0x7f800000, v18
	v_and_b32_e32 v12, 0x7fffff, v18
	v_lshrrev_b32_e32 v19, 24, v18
	v_cmpx_ne_u64_e32 0x7f800000, v[22:23]
	s_xor_b32 s42, exec_lo, s13
	s_cbranch_execz .LBB6_10102
; %bb.10089:                            ;   in Loop: Header=BB6_9788 Depth=3
	v_and_b32_e32 v22, 0x7fffffff, v18
	v_mov_b32_e32 v23, v21
	v_and_b32_e32 v20, 0x80, v19
                                        ; implicit-def: $vgpr36
	s_mov_b32 s13, exec_lo
	s_delay_alu instid0(VALU_DEP_2)
	v_cmpx_gt_u64_e32 0x47600001, v[22:23]
	s_xor_b32 s43, exec_lo, s13
	s_cbranch_execz .LBB6_10099
; %bb.10090:                            ;   in Loop: Header=BB6_9788 Depth=3
	v_mov_b32_e32 v36, 0
	s_mov_b32 s72, exec_lo
	v_cmpx_ne_u32_e32 0, v18
	s_cbranch_execz .LBB6_10098
; %bb.10091:                            ;   in Loop: Header=BB6_9788 Depth=3
	v_bfe_u32 v22, v18, 23, 8
	v_or_b32_e32 v19, 0x800000, v12
	s_delay_alu instid0(VALU_DEP_2) | instskip(SKIP_2) | instid1(VALU_DEP_2)
	v_cmp_gt_u32_e64 s13, 0x72, v22
	v_sub_nc_u32_e32 v18, 0x71, v22
	v_cmp_eq_u32_e32 vcc_lo, 0, v22
	v_dual_cndmask_b32 v18, 0, v18, s13 :: v_dual_cndmask_b32 v12, v19, v12, vcc_lo
	s_delay_alu instid0(VALU_DEP_1) | instskip(NEXT) | instid1(VALU_DEP_1)
	v_cndmask_b32_e64 v23, v18, 0x70, vcc_lo
	v_dual_add_nc_u32 v18, 21, v23 :: v_dual_add_nc_u32 v36, 20, v23
	s_delay_alu instid0(VALU_DEP_1) | instskip(NEXT) | instid1(VALU_DEP_2)
	v_lshlrev_b64_e64 v[18:19], v18, -1
	v_lshlrev_b64_e64 v[36:37], v36, 1
	s_delay_alu instid0(VALU_DEP_2) | instskip(SKIP_1) | instid1(VALU_DEP_4)
	v_bfi_b32 v18, v18, 0, v12
	v_lshrrev_b64 v[12:13], v23, v[12:13]
	v_bfi_b32 v19, v19, 0, 0
	s_delay_alu instid0(VALU_DEP_1) | instskip(NEXT) | instid1(VALU_DEP_3)
	v_cmp_eq_u64_e64 s13, v[18:19], v[36:37]
	v_mov_b64_e32 v[18:19], v[12:13]
	s_and_saveexec_b32 s73, s13
; %bb.10092:                            ;   in Loop: Header=BB6_9788 Depth=3
	v_bfe_u32 v18, v12, 21, 1
	v_mov_b32_e32 v19, v21
	s_delay_alu instid0(VALU_DEP_1) | instskip(NEXT) | instid1(VALU_DEP_1)
	v_add_nc_u64_e32 v[18:19], v[12:13], v[18:19]
	v_add_nc_u64_e32 v[18:19], -1, v[18:19]
; %bb.10093:                            ;   in Loop: Header=BB6_9788 Depth=3
	s_or_b32 exec_lo, exec_lo, s73
	v_add_nc_u32_e32 v13, 0xffffff81, v22
	v_lshrrev_b32_e32 v19, 23, v12
	s_mov_b32 s13, exec_lo
	s_delay_alu instid0(VALU_DEP_2) | instskip(NEXT) | instid1(VALU_DEP_1)
	v_cndmask_b32_e64 v13, v13, 0xffffff82, vcc_lo
	v_add3_u32 v22, v23, v13, v19
	v_and_b32_e32 v13, 0x1fffff, v18
                                        ; implicit-def: $vgpr18
	s_delay_alu instid0(VALU_DEP_1) | instskip(SKIP_1) | instid1(VALU_DEP_2)
	v_dual_add_nc_u32 v19, 14, v22 :: v_dual_add_nc_u32 v12, v13, v12
	v_mov_b32_e32 v13, v21
	v_cmpx_ne_u32_e32 0, v19
	s_xor_b32 s13, exec_lo, s13
; %bb.10094:                            ;   in Loop: Header=BB6_9788 Depth=3
	s_delay_alu instid0(VALU_DEP_2) | instskip(SKIP_1) | instid1(VALU_DEP_1)
	v_cmp_lt_u64_e32 vcc_lo, 0xffffff, v[12:13]
	v_add_nc_u32_e32 v18, 15, v22
	v_cndmask_b32_e32 v18, v19, v18, vcc_lo
	v_cndmask_b32_e64 v19, 0, 1, vcc_lo
	s_delay_alu instid0(VALU_DEP_1)
	v_lshrrev_b64 v[12:13], v19, v[12:13]
; %bb.10095:                            ;   in Loop: Header=BB6_9788 Depth=3
	s_and_not1_saveexec_b32 s13, s13
; %bb.10096:                            ;   in Loop: Header=BB6_9788 Depth=3
	s_delay_alu instid0(VALU_DEP_1)
	v_bfe_u32 v18, v12, 23, 1
; %bb.10097:                            ;   in Loop: Header=BB6_9788 Depth=3
	s_or_b32 exec_lo, exec_lo, s13
	s_delay_alu instid0(VALU_DEP_2) | instskip(NEXT) | instid1(VALU_DEP_2)
	v_lshrrev_b64 v[12:13], 21, v[12:13]
	v_cmp_gt_i32_e32 vcc_lo, 32, v18
	v_min_i32_e32 v19, 31, v18
	v_cmp_eq_u32_e64 s13, 0, v18
	s_delay_alu instid0(VALU_DEP_2) | instskip(SKIP_1) | instid1(VALU_DEP_2)
	v_dual_cndmask_b32 v13, 0, v13, vcc_lo :: v_dual_lshlrev_b32 v19, 2, v19
	v_cndmask_b32_e32 v12, 3, v12, vcc_lo
	v_and_b32_e32 v19, 0xfc, v19
	s_delay_alu instid0(VALU_DEP_2) | instskip(NEXT) | instid1(VALU_DEP_2)
	v_cmp_eq_u64_e32 vcc_lo, 0, v[12:13]
	v_and_or_b32 v12, v12, 3, v19
	s_and_b32 s13, s13, vcc_lo
	s_delay_alu instid0(VALU_DEP_1) | instid1(SALU_CYCLE_1)
	v_cndmask_b32_e64 v12, v12, 0, s13
	s_delay_alu instid0(VALU_DEP_1)
	v_or_b32_e32 v36, v12, v20
.LBB6_10098:                            ;   in Loop: Header=BB6_9788 Depth=3
	s_or_b32 exec_lo, exec_lo, s72
                                        ; implicit-def: $vgpr20
.LBB6_10099:                            ;   in Loop: Header=BB6_9788 Depth=3
	s_and_not1_saveexec_b32 s13, s43
; %bb.10100:                            ;   in Loop: Header=BB6_9788 Depth=3
	v_or_b32_e32 v36, 0x7b, v20
; %bb.10101:                            ;   in Loop: Header=BB6_9788 Depth=3
	s_or_b32 exec_lo, exec_lo, s13
                                        ; implicit-def: $vgpr18
                                        ; implicit-def: $vgpr12_vgpr13
                                        ; implicit-def: $vgpr19
.LBB6_10102:                            ;   in Loop: Header=BB6_9788 Depth=3
	s_and_not1_saveexec_b32 s13, s42
	s_cbranch_execz .LBB6_10108
; %bb.10103:                            ;   in Loop: Header=BB6_9788 Depth=3
	s_mov_b32 s42, exec_lo
                                        ; implicit-def: $vgpr36
	v_cmpx_ne_u64_e32 0, v[12:13]
	s_xor_b32 s42, exec_lo, s42
; %bb.10104:                            ;   in Loop: Header=BB6_9788 Depth=3
	v_or_b32_e32 v36, 0x7f, v19
                                        ; implicit-def: $vgpr18
; %bb.10105:                            ;   in Loop: Header=BB6_9788 Depth=3
	s_and_not1_saveexec_b32 s42, s42
; %bb.10106:                            ;   in Loop: Header=BB6_9788 Depth=3
	v_cmp_lt_i32_e32 vcc_lo, -1, v18
	v_mov_b32_e32 v12, 0x7c
	s_delay_alu instid0(VALU_DEP_1)
	v_cndmask_b32_e32 v36, 0xfc, v12, vcc_lo
; %bb.10107:                            ;   in Loop: Header=BB6_9788 Depth=3
	s_or_b32 exec_lo, exec_lo, s42
.LBB6_10108:                            ;   in Loop: Header=BB6_9788 Depth=3
	s_delay_alu instid0(SALU_CYCLE_1) | instskip(SKIP_2) | instid1(VALU_DEP_2)
	s_or_b32 exec_lo, exec_lo, s13
	v_and_b32_e32 v13, 0xff, v50
	v_mov_b32_e32 v12, 0
	v_cmp_ne_u16_e32 vcc_lo, 0, v13
	v_mov_b32_e32 v13, 0
	s_and_saveexec_b32 s42, vcc_lo
	s_cbranch_execz .LBB6_10118
; %bb.10109:                            ;   in Loop: Header=BB6_9788 Depth=3
	v_bfe_i32 v19, v50, 0, 8
	v_bfrev_b32_e32 v13, 1
	s_mov_b32 s43, exec_lo
	s_delay_alu instid0(VALU_DEP_2)
	v_cmpx_ne_u16_e32 0xff80, v19
	s_cbranch_execz .LBB6_10117
; %bb.10110:                            ;   in Loop: Header=BB6_9788 Depth=3
	v_and_b32_e32 v13, 0x7c, v50
	v_and_b32_e32 v18, 3, v50
	s_delay_alu instid0(VALU_DEP_2) | instskip(SKIP_1) | instid1(SALU_CYCLE_1)
	v_cmp_ne_u32_e32 vcc_lo, 0x7c, v13
                                        ; implicit-def: $vgpr13
	s_and_saveexec_b32 s13, vcc_lo
	s_xor_b32 s13, exec_lo, s13
	s_cbranch_execz .LBB6_10114
; %bb.10111:                            ;   in Loop: Header=BB6_9788 Depth=3
	v_bfe_u32 v13, v50, 2, 5
	s_mov_b32 s72, exec_lo
	s_delay_alu instid0(VALU_DEP_1)
	v_cmpx_eq_u32_e32 0, v13
; %bb.10112:                            ;   in Loop: Header=BB6_9788 Depth=3
	v_clz_i32_u32_e32 v13, v18
	s_delay_alu instid0(VALU_DEP_1) | instskip(NEXT) | instid1(VALU_DEP_1)
	v_min_u32_e32 v13, 32, v13
	v_subrev_nc_u32_e32 v18, 29, v13
	s_delay_alu instid0(VALU_DEP_1) | instskip(NEXT) | instid1(VALU_DEP_1)
	v_lshlrev_b64_e32 v[18:19], v18, v[50:51]
	v_dual_sub_nc_u32 v13, 30, v13 :: v_dual_bitop2_b32 v18, 3, v18 bitop3:0x40
; %bb.10113:                            ;   in Loop: Header=BB6_9788 Depth=3
	s_or_b32 exec_lo, exec_lo, s72
	v_lshlrev_b32_e32 v19, 24, v50
	s_delay_alu instid0(VALU_DEP_1) | instskip(NEXT) | instid1(VALU_DEP_1)
	v_and_b32_e32 v19, 0x80000000, v19
	v_lshl_add_u32 v13, v13, 23, v19
                                        ; implicit-def: $vgpr19
	s_delay_alu instid0(VALU_DEP_1) | instskip(NEXT) | instid1(VALU_DEP_1)
	v_lshl_or_b32 v13, v18, 21, v13
                                        ; implicit-def: $vgpr18
	v_add_nc_u32_e32 v13, 0x38000000, v13
.LBB6_10114:                            ;   in Loop: Header=BB6_9788 Depth=3
	s_and_not1_saveexec_b32 s72, s13
; %bb.10115:                            ;   in Loop: Header=BB6_9788 Depth=3
	v_cmp_lt_i16_e64 s13, -1, v19
	v_mov_b32_e32 v13, 0x7f800000
	v_cmp_eq_u32_e32 vcc_lo, 0, v18
	s_delay_alu instid0(VALU_DEP_2) | instskip(NEXT) | instid1(VALU_DEP_1)
	v_cndmask_b32_e64 v13, 0xff800000, v13, s13
	v_cndmask_b32_e32 v13, 0x7f800001, v13, vcc_lo
; %bb.10116:                            ;   in Loop: Header=BB6_9788 Depth=3
	s_or_b32 exec_lo, exec_lo, s72
.LBB6_10117:                            ;   in Loop: Header=BB6_9788 Depth=3
	s_delay_alu instid0(SALU_CYCLE_1)
	s_or_b32 exec_lo, exec_lo, s43
.LBB6_10118:                            ;   in Loop: Header=BB6_9788 Depth=3
	s_delay_alu instid0(SALU_CYCLE_1) | instskip(SKIP_2) | instid1(VALU_DEP_1)
	s_or_b32 exec_lo, exec_lo, s42
	v_and_b32_e32 v18, 0xff, v38
	s_mov_b32 s42, exec_lo
	v_cmpx_ne_u16_e32 0, v18
	s_cbranch_execz .LBB6_10128
; %bb.10119:                            ;   in Loop: Header=BB6_9788 Depth=3
	v_bfe_i32 v19, v38, 0, 8
	v_bfrev_b32_e32 v12, 1
	s_mov_b32 s43, exec_lo
	s_delay_alu instid0(VALU_DEP_2)
	v_cmpx_ne_u16_e32 0xff80, v19
	s_cbranch_execz .LBB6_10127
; %bb.10120:                            ;   in Loop: Header=BB6_9788 Depth=3
	v_and_b32_e32 v12, 0x7c, v38
	v_and_b32_e32 v18, 3, v38
	s_delay_alu instid0(VALU_DEP_2) | instskip(SKIP_1) | instid1(SALU_CYCLE_1)
	v_cmp_ne_u32_e32 vcc_lo, 0x7c, v12
                                        ; implicit-def: $vgpr12
	s_and_saveexec_b32 s13, vcc_lo
	s_xor_b32 s13, exec_lo, s13
	s_cbranch_execz .LBB6_10124
; %bb.10121:                            ;   in Loop: Header=BB6_9788 Depth=3
	v_bfe_u32 v12, v38, 2, 5
	s_mov_b32 s72, exec_lo
	s_delay_alu instid0(VALU_DEP_1)
	v_cmpx_eq_u32_e32 0, v12
; %bb.10122:                            ;   in Loop: Header=BB6_9788 Depth=3
	v_clz_i32_u32_e32 v12, v18
	s_delay_alu instid0(VALU_DEP_1) | instskip(NEXT) | instid1(VALU_DEP_1)
	v_min_u32_e32 v12, 32, v12
	v_subrev_nc_u32_e32 v18, 29, v12
	s_delay_alu instid0(VALU_DEP_1) | instskip(NEXT) | instid1(VALU_DEP_1)
	v_lshlrev_b64_e32 v[18:19], v18, v[38:39]
	v_dual_sub_nc_u32 v12, 30, v12 :: v_dual_bitop2_b32 v18, 3, v18 bitop3:0x40
; %bb.10123:                            ;   in Loop: Header=BB6_9788 Depth=3
	s_or_b32 exec_lo, exec_lo, s72
	v_lshlrev_b32_e32 v19, 24, v38
	s_delay_alu instid0(VALU_DEP_1) | instskip(NEXT) | instid1(VALU_DEP_1)
	v_and_b32_e32 v19, 0x80000000, v19
	v_lshl_add_u32 v12, v12, 23, v19
                                        ; implicit-def: $vgpr19
	s_delay_alu instid0(VALU_DEP_1) | instskip(NEXT) | instid1(VALU_DEP_1)
	v_lshl_or_b32 v12, v18, 21, v12
                                        ; implicit-def: $vgpr18
	v_add_nc_u32_e32 v12, 0x38000000, v12
.LBB6_10124:                            ;   in Loop: Header=BB6_9788 Depth=3
	s_and_not1_saveexec_b32 s72, s13
; %bb.10125:                            ;   in Loop: Header=BB6_9788 Depth=3
	v_cmp_lt_i16_e64 s13, -1, v19
	v_mov_b32_e32 v12, 0x7f800000
	v_cmp_eq_u32_e32 vcc_lo, 0, v18
	s_delay_alu instid0(VALU_DEP_2) | instskip(NEXT) | instid1(VALU_DEP_1)
	v_cndmask_b32_e64 v12, 0xff800000, v12, s13
	v_cndmask_b32_e32 v12, 0x7f800001, v12, vcc_lo
; %bb.10126:                            ;   in Loop: Header=BB6_9788 Depth=3
	s_or_b32 exec_lo, exec_lo, s72
.LBB6_10127:                            ;   in Loop: Header=BB6_9788 Depth=3
	s_delay_alu instid0(SALU_CYCLE_1)
	s_or_b32 exec_lo, exec_lo, s43
.LBB6_10128:                            ;   in Loop: Header=BB6_9788 Depth=3
	s_delay_alu instid0(SALU_CYCLE_1) | instskip(NEXT) | instid1(VALU_DEP_1)
	s_or_b32 exec_lo, exec_lo, s42
	v_mul_f32_e32 v18, v13, v12
	v_dual_mov_b32 v23, v21 :: v_dual_mov_b32 v13, v21
                                        ; implicit-def: $vgpr37
	s_mov_b32 s13, exec_lo
	s_delay_alu instid0(VALU_DEP_2) | instskip(SKIP_2) | instid1(VALU_DEP_3)
	v_and_b32_e32 v22, 0x7f800000, v18
	v_and_b32_e32 v12, 0x7fffff, v18
	v_lshrrev_b32_e32 v19, 24, v18
	v_cmpx_ne_u64_e32 0x7f800000, v[22:23]
	s_xor_b32 s42, exec_lo, s13
	s_cbranch_execz .LBB6_10142
; %bb.10129:                            ;   in Loop: Header=BB6_9788 Depth=3
	v_and_b32_e32 v22, 0x7fffffff, v18
	v_mov_b32_e32 v23, v21
	v_and_b32_e32 v20, 0x80, v19
                                        ; implicit-def: $vgpr37
	s_mov_b32 s13, exec_lo
	s_delay_alu instid0(VALU_DEP_2)
	v_cmpx_gt_u64_e32 0x47600001, v[22:23]
	s_xor_b32 s43, exec_lo, s13
	s_cbranch_execz .LBB6_10139
; %bb.10130:                            ;   in Loop: Header=BB6_9788 Depth=3
	v_mov_b32_e32 v37, 0
	s_mov_b32 s72, exec_lo
	v_cmpx_ne_u32_e32 0, v18
	s_cbranch_execz .LBB6_10138
; %bb.10131:                            ;   in Loop: Header=BB6_9788 Depth=3
	v_bfe_u32 v22, v18, 23, 8
	v_or_b32_e32 v19, 0x800000, v12
	s_delay_alu instid0(VALU_DEP_2) | instskip(SKIP_2) | instid1(VALU_DEP_2)
	v_cmp_gt_u32_e64 s13, 0x72, v22
	v_sub_nc_u32_e32 v18, 0x71, v22
	v_cmp_eq_u32_e32 vcc_lo, 0, v22
	v_dual_cndmask_b32 v18, 0, v18, s13 :: v_dual_cndmask_b32 v12, v19, v12, vcc_lo
	s_delay_alu instid0(VALU_DEP_1) | instskip(NEXT) | instid1(VALU_DEP_1)
	v_cndmask_b32_e64 v23, v18, 0x70, vcc_lo
	v_dual_add_nc_u32 v18, 21, v23 :: v_dual_add_nc_u32 v37, 20, v23
	s_delay_alu instid0(VALU_DEP_1) | instskip(NEXT) | instid1(VALU_DEP_2)
	v_lshlrev_b64_e64 v[18:19], v18, -1
	v_lshlrev_b64_e64 v[48:49], v37, 1
	s_delay_alu instid0(VALU_DEP_2) | instskip(SKIP_1) | instid1(VALU_DEP_4)
	v_bfi_b32 v18, v18, 0, v12
	v_lshrrev_b64 v[12:13], v23, v[12:13]
	v_bfi_b32 v19, v19, 0, 0
	s_delay_alu instid0(VALU_DEP_1) | instskip(NEXT) | instid1(VALU_DEP_3)
	v_cmp_eq_u64_e64 s13, v[18:19], v[48:49]
	v_mov_b64_e32 v[18:19], v[12:13]
	s_and_saveexec_b32 s73, s13
; %bb.10132:                            ;   in Loop: Header=BB6_9788 Depth=3
	v_bfe_u32 v18, v12, 21, 1
	v_mov_b32_e32 v19, v21
	s_delay_alu instid0(VALU_DEP_1) | instskip(NEXT) | instid1(VALU_DEP_1)
	v_add_nc_u64_e32 v[18:19], v[12:13], v[18:19]
	v_add_nc_u64_e32 v[18:19], -1, v[18:19]
; %bb.10133:                            ;   in Loop: Header=BB6_9788 Depth=3
	s_or_b32 exec_lo, exec_lo, s73
	v_add_nc_u32_e32 v13, 0xffffff81, v22
	v_lshrrev_b32_e32 v19, 23, v12
	s_mov_b32 s13, exec_lo
	s_delay_alu instid0(VALU_DEP_2) | instskip(NEXT) | instid1(VALU_DEP_1)
	v_cndmask_b32_e64 v13, v13, 0xffffff82, vcc_lo
	v_add3_u32 v22, v23, v13, v19
	v_and_b32_e32 v13, 0x1fffff, v18
                                        ; implicit-def: $vgpr18
	s_delay_alu instid0(VALU_DEP_1) | instskip(SKIP_1) | instid1(VALU_DEP_2)
	v_dual_add_nc_u32 v19, 14, v22 :: v_dual_add_nc_u32 v12, v13, v12
	v_mov_b32_e32 v13, v21
	v_cmpx_ne_u32_e32 0, v19
	s_xor_b32 s13, exec_lo, s13
; %bb.10134:                            ;   in Loop: Header=BB6_9788 Depth=3
	s_delay_alu instid0(VALU_DEP_2) | instskip(SKIP_1) | instid1(VALU_DEP_1)
	v_cmp_lt_u64_e32 vcc_lo, 0xffffff, v[12:13]
	v_add_nc_u32_e32 v18, 15, v22
	v_cndmask_b32_e32 v18, v19, v18, vcc_lo
	v_cndmask_b32_e64 v19, 0, 1, vcc_lo
	s_delay_alu instid0(VALU_DEP_1)
	v_lshrrev_b64 v[12:13], v19, v[12:13]
; %bb.10135:                            ;   in Loop: Header=BB6_9788 Depth=3
	s_and_not1_saveexec_b32 s13, s13
; %bb.10136:                            ;   in Loop: Header=BB6_9788 Depth=3
	s_delay_alu instid0(VALU_DEP_1)
	v_bfe_u32 v18, v12, 23, 1
; %bb.10137:                            ;   in Loop: Header=BB6_9788 Depth=3
	s_or_b32 exec_lo, exec_lo, s13
	s_delay_alu instid0(VALU_DEP_2) | instskip(NEXT) | instid1(VALU_DEP_2)
	v_lshrrev_b64 v[12:13], 21, v[12:13]
	v_cmp_gt_i32_e32 vcc_lo, 32, v18
	v_min_i32_e32 v19, 31, v18
	v_cmp_eq_u32_e64 s13, 0, v18
	s_delay_alu instid0(VALU_DEP_2) | instskip(SKIP_1) | instid1(VALU_DEP_2)
	v_dual_cndmask_b32 v13, 0, v13, vcc_lo :: v_dual_lshlrev_b32 v19, 2, v19
	v_cndmask_b32_e32 v12, 3, v12, vcc_lo
	v_and_b32_e32 v19, 0xfc, v19
	s_delay_alu instid0(VALU_DEP_2) | instskip(NEXT) | instid1(VALU_DEP_2)
	v_cmp_eq_u64_e32 vcc_lo, 0, v[12:13]
	v_and_or_b32 v12, v12, 3, v19
	s_and_b32 s13, s13, vcc_lo
	s_delay_alu instid0(VALU_DEP_1) | instid1(SALU_CYCLE_1)
	v_cndmask_b32_e64 v12, v12, 0, s13
	s_delay_alu instid0(VALU_DEP_1)
	v_or_b32_e32 v37, v12, v20
.LBB6_10138:                            ;   in Loop: Header=BB6_9788 Depth=3
	s_or_b32 exec_lo, exec_lo, s72
                                        ; implicit-def: $vgpr20
.LBB6_10139:                            ;   in Loop: Header=BB6_9788 Depth=3
	s_and_not1_saveexec_b32 s13, s43
; %bb.10140:                            ;   in Loop: Header=BB6_9788 Depth=3
	v_or_b32_e32 v37, 0x7b, v20
; %bb.10141:                            ;   in Loop: Header=BB6_9788 Depth=3
	s_or_b32 exec_lo, exec_lo, s13
                                        ; implicit-def: $vgpr18
                                        ; implicit-def: $vgpr12_vgpr13
                                        ; implicit-def: $vgpr19
.LBB6_10142:                            ;   in Loop: Header=BB6_9788 Depth=3
	s_and_not1_saveexec_b32 s13, s42
	s_cbranch_execz .LBB6_10148
; %bb.10143:                            ;   in Loop: Header=BB6_9788 Depth=3
	s_mov_b32 s42, exec_lo
                                        ; implicit-def: $vgpr37
	v_cmpx_ne_u64_e32 0, v[12:13]
	s_xor_b32 s42, exec_lo, s42
; %bb.10144:                            ;   in Loop: Header=BB6_9788 Depth=3
	v_or_b32_e32 v37, 0x7f, v19
                                        ; implicit-def: $vgpr18
; %bb.10145:                            ;   in Loop: Header=BB6_9788 Depth=3
	s_and_not1_saveexec_b32 s42, s42
; %bb.10146:                            ;   in Loop: Header=BB6_9788 Depth=3
	v_cmp_lt_i32_e32 vcc_lo, -1, v18
	v_mov_b32_e32 v12, 0x7c
	s_delay_alu instid0(VALU_DEP_1)
	v_cndmask_b32_e32 v37, 0xfc, v12, vcc_lo
; %bb.10147:                            ;   in Loop: Header=BB6_9788 Depth=3
	s_or_b32 exec_lo, exec_lo, s42
.LBB6_10148:                            ;   in Loop: Header=BB6_9788 Depth=3
	s_delay_alu instid0(SALU_CYCLE_1) | instskip(SKIP_3) | instid1(VALU_DEP_2)
	s_or_b32 exec_lo, exec_lo, s13
	v_lshrrev_b16 v12, 8, v50
	v_dual_mov_b32 v18, 0 :: v_dual_mov_b32 v19, 0
	s_mov_b32 s42, exec_lo
	v_cmpx_ne_u16_e32 0, v12
	s_cbranch_execz .LBB6_10158
; %bb.10149:                            ;   in Loop: Header=BB6_9788 Depth=3
	v_bfrev_b32_e32 v19, 1
	s_mov_b32 s43, exec_lo
	v_cmpx_ne_u16_e32 0x80, v12
	s_cbranch_execz .LBB6_10157
; %bb.10150:                            ;   in Loop: Header=BB6_9788 Depth=3
	v_and_b32_e32 v20, 0xffff, v12
	s_delay_alu instid0(VALU_DEP_1) | instskip(SKIP_1) | instid1(VALU_DEP_2)
	v_and_b32_e32 v19, 0x7c, v20
	v_and_b32_e32 v13, 3, v20
	v_cmp_ne_u32_e32 vcc_lo, 0x7c, v19
                                        ; implicit-def: $vgpr19
	s_and_saveexec_b32 s13, vcc_lo
	s_delay_alu instid0(SALU_CYCLE_1)
	s_xor_b32 s13, exec_lo, s13
	s_cbranch_execz .LBB6_10154
; %bb.10151:                            ;   in Loop: Header=BB6_9788 Depth=3
	v_bfe_u32 v19, v20, 2, 5
	s_mov_b32 s72, exec_lo
	s_delay_alu instid0(VALU_DEP_1)
	v_cmpx_eq_u32_e32 0, v19
	s_cbranch_execz .LBB6_10153
; %bb.10152:                            ;   in Loop: Header=BB6_9788 Depth=3
	v_clz_i32_u32_e32 v13, v13
	s_delay_alu instid0(VALU_DEP_1) | instskip(SKIP_1) | instid1(VALU_DEP_2)
	v_min_u32_e32 v19, 32, v13
	v_mov_b32_e32 v13, v21
	v_subrev_nc_u32_e32 v20, 29, v19
	v_sub_nc_u32_e32 v19, 30, v19
	s_delay_alu instid0(VALU_DEP_2) | instskip(NEXT) | instid1(VALU_DEP_1)
	v_lshlrev_b64_e32 v[12:13], v20, v[12:13]
	v_and_b32_e32 v13, 3, v12
.LBB6_10153:                            ;   in Loop: Header=BB6_9788 Depth=3
	s_or_b32 exec_lo, exec_lo, s72
	v_lshlrev_b32_e32 v12, 16, v50
	s_delay_alu instid0(VALU_DEP_1) | instskip(NEXT) | instid1(VALU_DEP_1)
	v_and_b32_e32 v12, 0x80000000, v12
	v_lshl_add_u32 v12, v19, 23, v12
	s_delay_alu instid0(VALU_DEP_1) | instskip(NEXT) | instid1(VALU_DEP_1)
	v_lshl_or_b32 v12, v13, 21, v12
                                        ; implicit-def: $vgpr13
	v_add_nc_u32_e32 v19, 0x38000000, v12
.LBB6_10154:                            ;   in Loop: Header=BB6_9788 Depth=3
	s_and_not1_saveexec_b32 s72, s13
; %bb.10155:                            ;   in Loop: Header=BB6_9788 Depth=3
	v_cmp_lt_i16_e64 s13, -1, v50
	v_mov_b32_e32 v12, 0x7f800000
	v_cmp_eq_u32_e32 vcc_lo, 0, v13
	s_delay_alu instid0(VALU_DEP_2) | instskip(NEXT) | instid1(VALU_DEP_1)
	v_cndmask_b32_e64 v12, 0xff800000, v12, s13
	v_cndmask_b32_e32 v19, 0x7f800001, v12, vcc_lo
; %bb.10156:                            ;   in Loop: Header=BB6_9788 Depth=3
	s_or_b32 exec_lo, exec_lo, s72
.LBB6_10157:                            ;   in Loop: Header=BB6_9788 Depth=3
	s_delay_alu instid0(SALU_CYCLE_1)
	s_or_b32 exec_lo, exec_lo, s43
.LBB6_10158:                            ;   in Loop: Header=BB6_9788 Depth=3
	s_delay_alu instid0(SALU_CYCLE_1) | instskip(SKIP_2) | instid1(VALU_DEP_1)
	s_or_b32 exec_lo, exec_lo, s42
	v_lshrrev_b16 v12, 8, v38
	s_mov_b32 s42, exec_lo
	v_cmpx_ne_u16_e32 0, v12
	s_cbranch_execz .LBB6_10168
; %bb.10159:                            ;   in Loop: Header=BB6_9788 Depth=3
	v_bfrev_b32_e32 v18, 1
	s_mov_b32 s43, exec_lo
	v_cmpx_ne_u16_e32 0x80, v12
	s_cbranch_execz .LBB6_10167
; %bb.10160:                            ;   in Loop: Header=BB6_9788 Depth=3
	v_and_b32_e32 v20, 0xffff, v12
	s_delay_alu instid0(VALU_DEP_1) | instskip(SKIP_1) | instid1(VALU_DEP_2)
	v_and_b32_e32 v18, 0x7c, v20
	v_and_b32_e32 v13, 3, v20
	v_cmp_ne_u32_e32 vcc_lo, 0x7c, v18
                                        ; implicit-def: $vgpr18
	s_and_saveexec_b32 s13, vcc_lo
	s_delay_alu instid0(SALU_CYCLE_1)
	s_xor_b32 s13, exec_lo, s13
	s_cbranch_execz .LBB6_10164
; %bb.10161:                            ;   in Loop: Header=BB6_9788 Depth=3
	v_bfe_u32 v18, v20, 2, 5
	s_mov_b32 s72, exec_lo
	s_delay_alu instid0(VALU_DEP_1)
	v_cmpx_eq_u32_e32 0, v18
	s_cbranch_execz .LBB6_10163
; %bb.10162:                            ;   in Loop: Header=BB6_9788 Depth=3
	v_clz_i32_u32_e32 v13, v13
	s_delay_alu instid0(VALU_DEP_1) | instskip(SKIP_1) | instid1(VALU_DEP_2)
	v_min_u32_e32 v18, 32, v13
	v_mov_b32_e32 v13, v21
	v_subrev_nc_u32_e32 v20, 29, v18
	v_sub_nc_u32_e32 v18, 30, v18
	s_delay_alu instid0(VALU_DEP_2) | instskip(NEXT) | instid1(VALU_DEP_1)
	v_lshlrev_b64_e32 v[12:13], v20, v[12:13]
	v_and_b32_e32 v13, 3, v12
.LBB6_10163:                            ;   in Loop: Header=BB6_9788 Depth=3
	s_or_b32 exec_lo, exec_lo, s72
	v_lshlrev_b32_e32 v12, 16, v38
	s_delay_alu instid0(VALU_DEP_1) | instskip(NEXT) | instid1(VALU_DEP_1)
	v_and_b32_e32 v12, 0x80000000, v12
	v_lshl_add_u32 v12, v18, 23, v12
	s_delay_alu instid0(VALU_DEP_1) | instskip(NEXT) | instid1(VALU_DEP_1)
	v_lshl_or_b32 v12, v13, 21, v12
                                        ; implicit-def: $vgpr13
	v_add_nc_u32_e32 v18, 0x38000000, v12
.LBB6_10164:                            ;   in Loop: Header=BB6_9788 Depth=3
	s_and_not1_saveexec_b32 s72, s13
; %bb.10165:                            ;   in Loop: Header=BB6_9788 Depth=3
	v_cmp_lt_i16_e64 s13, -1, v38
	v_mov_b32_e32 v12, 0x7f800000
	v_cmp_eq_u32_e32 vcc_lo, 0, v13
	s_delay_alu instid0(VALU_DEP_2) | instskip(NEXT) | instid1(VALU_DEP_1)
	v_cndmask_b32_e64 v12, 0xff800000, v12, s13
	v_cndmask_b32_e32 v18, 0x7f800001, v12, vcc_lo
; %bb.10166:                            ;   in Loop: Header=BB6_9788 Depth=3
	s_or_b32 exec_lo, exec_lo, s72
.LBB6_10167:                            ;   in Loop: Header=BB6_9788 Depth=3
	s_delay_alu instid0(SALU_CYCLE_1)
	s_or_b32 exec_lo, exec_lo, s43
.LBB6_10168:                            ;   in Loop: Header=BB6_9788 Depth=3
	s_delay_alu instid0(SALU_CYCLE_1) | instskip(NEXT) | instid1(VALU_DEP_1)
	s_or_b32 exec_lo, exec_lo, s42
	v_dual_mul_f32 v18, v19, v18 :: v_dual_mov_b32 v23, v21
	v_mov_b32_e32 v13, v21
                                        ; implicit-def: $vgpr48
	s_mov_b32 s13, exec_lo
	s_delay_alu instid0(VALU_DEP_2) | instskip(SKIP_2) | instid1(VALU_DEP_3)
	v_and_b32_e32 v22, 0x7f800000, v18
	v_and_b32_e32 v12, 0x7fffff, v18
	v_lshrrev_b32_e32 v19, 24, v18
	v_cmpx_ne_u64_e32 0x7f800000, v[22:23]
	s_xor_b32 s42, exec_lo, s13
	s_cbranch_execz .LBB6_10182
; %bb.10169:                            ;   in Loop: Header=BB6_9788 Depth=3
	v_and_b32_e32 v22, 0x7fffffff, v18
	v_mov_b32_e32 v23, v21
	v_and_b32_e32 v20, 0x80, v19
                                        ; implicit-def: $vgpr48
	s_mov_b32 s13, exec_lo
	s_delay_alu instid0(VALU_DEP_2)
	v_cmpx_gt_u64_e32 0x47600001, v[22:23]
	s_xor_b32 s43, exec_lo, s13
	s_cbranch_execz .LBB6_10179
; %bb.10170:                            ;   in Loop: Header=BB6_9788 Depth=3
	v_mov_b32_e32 v48, 0
	s_mov_b32 s72, exec_lo
	v_cmpx_ne_u32_e32 0, v18
	s_cbranch_execz .LBB6_10178
; %bb.10171:                            ;   in Loop: Header=BB6_9788 Depth=3
	v_bfe_u32 v22, v18, 23, 8
	v_or_b32_e32 v19, 0x800000, v12
	s_delay_alu instid0(VALU_DEP_2) | instskip(SKIP_2) | instid1(VALU_DEP_2)
	v_cmp_gt_u32_e64 s13, 0x72, v22
	v_sub_nc_u32_e32 v18, 0x71, v22
	v_cmp_eq_u32_e32 vcc_lo, 0, v22
	v_dual_cndmask_b32 v18, 0, v18, s13 :: v_dual_cndmask_b32 v12, v19, v12, vcc_lo
	s_delay_alu instid0(VALU_DEP_1) | instskip(NEXT) | instid1(VALU_DEP_1)
	v_cndmask_b32_e64 v23, v18, 0x70, vcc_lo
	v_dual_add_nc_u32 v18, 21, v23 :: v_dual_add_nc_u32 v48, 20, v23
	s_delay_alu instid0(VALU_DEP_1) | instskip(NEXT) | instid1(VALU_DEP_2)
	v_lshlrev_b64_e64 v[18:19], v18, -1
	v_lshlrev_b64_e64 v[48:49], v48, 1
	s_delay_alu instid0(VALU_DEP_2) | instskip(SKIP_1) | instid1(VALU_DEP_4)
	v_bfi_b32 v18, v18, 0, v12
	v_lshrrev_b64 v[12:13], v23, v[12:13]
	v_bfi_b32 v19, v19, 0, 0
	s_delay_alu instid0(VALU_DEP_1) | instskip(NEXT) | instid1(VALU_DEP_3)
	v_cmp_eq_u64_e64 s13, v[18:19], v[48:49]
	v_mov_b64_e32 v[18:19], v[12:13]
	s_and_saveexec_b32 s73, s13
; %bb.10172:                            ;   in Loop: Header=BB6_9788 Depth=3
	v_bfe_u32 v18, v12, 21, 1
	v_mov_b32_e32 v19, v21
	s_delay_alu instid0(VALU_DEP_1) | instskip(NEXT) | instid1(VALU_DEP_1)
	v_add_nc_u64_e32 v[18:19], v[12:13], v[18:19]
	v_add_nc_u64_e32 v[18:19], -1, v[18:19]
; %bb.10173:                            ;   in Loop: Header=BB6_9788 Depth=3
	s_or_b32 exec_lo, exec_lo, s73
	v_add_nc_u32_e32 v13, 0xffffff81, v22
	v_lshrrev_b32_e32 v19, 23, v12
	s_mov_b32 s13, exec_lo
	s_delay_alu instid0(VALU_DEP_2) | instskip(NEXT) | instid1(VALU_DEP_1)
	v_cndmask_b32_e64 v13, v13, 0xffffff82, vcc_lo
	v_add3_u32 v22, v23, v13, v19
	v_and_b32_e32 v13, 0x1fffff, v18
                                        ; implicit-def: $vgpr18
	s_delay_alu instid0(VALU_DEP_1) | instskip(SKIP_1) | instid1(VALU_DEP_2)
	v_dual_add_nc_u32 v19, 14, v22 :: v_dual_add_nc_u32 v12, v13, v12
	v_mov_b32_e32 v13, v21
	v_cmpx_ne_u32_e32 0, v19
	s_xor_b32 s13, exec_lo, s13
; %bb.10174:                            ;   in Loop: Header=BB6_9788 Depth=3
	s_delay_alu instid0(VALU_DEP_2) | instskip(SKIP_1) | instid1(VALU_DEP_1)
	v_cmp_lt_u64_e32 vcc_lo, 0xffffff, v[12:13]
	v_add_nc_u32_e32 v18, 15, v22
	v_cndmask_b32_e32 v18, v19, v18, vcc_lo
	v_cndmask_b32_e64 v19, 0, 1, vcc_lo
	s_delay_alu instid0(VALU_DEP_1)
	v_lshrrev_b64 v[12:13], v19, v[12:13]
; %bb.10175:                            ;   in Loop: Header=BB6_9788 Depth=3
	s_and_not1_saveexec_b32 s13, s13
; %bb.10176:                            ;   in Loop: Header=BB6_9788 Depth=3
	s_delay_alu instid0(VALU_DEP_1)
	v_bfe_u32 v18, v12, 23, 1
; %bb.10177:                            ;   in Loop: Header=BB6_9788 Depth=3
	s_or_b32 exec_lo, exec_lo, s13
	s_delay_alu instid0(VALU_DEP_2) | instskip(NEXT) | instid1(VALU_DEP_2)
	v_lshrrev_b64 v[12:13], 21, v[12:13]
	v_cmp_gt_i32_e32 vcc_lo, 32, v18
	v_min_i32_e32 v19, 31, v18
	v_cmp_eq_u32_e64 s13, 0, v18
	s_delay_alu instid0(VALU_DEP_2) | instskip(SKIP_1) | instid1(VALU_DEP_2)
	v_dual_cndmask_b32 v13, 0, v13, vcc_lo :: v_dual_lshlrev_b32 v19, 2, v19
	v_cndmask_b32_e32 v12, 3, v12, vcc_lo
	v_and_b32_e32 v19, 0xfc, v19
	s_delay_alu instid0(VALU_DEP_2) | instskip(NEXT) | instid1(VALU_DEP_2)
	v_cmp_eq_u64_e32 vcc_lo, 0, v[12:13]
	v_and_or_b32 v12, v12, 3, v19
	s_and_b32 s13, s13, vcc_lo
	s_delay_alu instid0(VALU_DEP_1) | instid1(SALU_CYCLE_1)
	v_cndmask_b32_e64 v12, v12, 0, s13
	s_delay_alu instid0(VALU_DEP_1)
	v_or_b32_e32 v48, v12, v20
.LBB6_10178:                            ;   in Loop: Header=BB6_9788 Depth=3
	s_or_b32 exec_lo, exec_lo, s72
                                        ; implicit-def: $vgpr20
.LBB6_10179:                            ;   in Loop: Header=BB6_9788 Depth=3
	s_and_not1_saveexec_b32 s13, s43
; %bb.10180:                            ;   in Loop: Header=BB6_9788 Depth=3
	v_or_b32_e32 v48, 0x7b, v20
; %bb.10181:                            ;   in Loop: Header=BB6_9788 Depth=3
	s_or_b32 exec_lo, exec_lo, s13
                                        ; implicit-def: $vgpr18
                                        ; implicit-def: $vgpr12_vgpr13
                                        ; implicit-def: $vgpr19
.LBB6_10182:                            ;   in Loop: Header=BB6_9788 Depth=3
	s_and_not1_saveexec_b32 s13, s42
	s_cbranch_execz .LBB6_10188
; %bb.10183:                            ;   in Loop: Header=BB6_9788 Depth=3
	s_mov_b32 s42, exec_lo
                                        ; implicit-def: $vgpr48
	v_cmpx_ne_u64_e32 0, v[12:13]
	s_xor_b32 s42, exec_lo, s42
; %bb.10184:                            ;   in Loop: Header=BB6_9788 Depth=3
	v_or_b32_e32 v48, 0x7f, v19
                                        ; implicit-def: $vgpr18
; %bb.10185:                            ;   in Loop: Header=BB6_9788 Depth=3
	s_and_not1_saveexec_b32 s42, s42
; %bb.10186:                            ;   in Loop: Header=BB6_9788 Depth=3
	v_cmp_lt_i32_e32 vcc_lo, -1, v18
	v_mov_b32_e32 v12, 0x7c
	s_delay_alu instid0(VALU_DEP_1)
	v_cndmask_b32_e32 v48, 0xfc, v12, vcc_lo
; %bb.10187:                            ;   in Loop: Header=BB6_9788 Depth=3
	s_or_b32 exec_lo, exec_lo, s42
.LBB6_10188:                            ;   in Loop: Header=BB6_9788 Depth=3
	s_delay_alu instid0(SALU_CYCLE_1) | instskip(SKIP_3) | instid1(VALU_DEP_2)
	s_or_b32 exec_lo, exec_lo, s13
	v_dual_mov_b32 v13, 0 :: v_dual_lshrrev_b32 v12, 16, v50
	v_mov_b32_e32 v18, 0
	s_mov_b32 s42, exec_lo
	v_and_b32_e32 v19, 0xff, v12
	s_delay_alu instid0(VALU_DEP_1)
	v_cmpx_ne_u16_e32 0, v19
	s_cbranch_execz .LBB6_10198
; %bb.10189:                            ;   in Loop: Header=BB6_9788 Depth=3
	v_bfrev_b32_e32 v18, 1
	s_mov_b32 s43, exec_lo
	v_cmpx_ne_u16_e32 0x80, v19
	s_cbranch_execz .LBB6_10197
; %bb.10190:                            ;   in Loop: Header=BB6_9788 Depth=3
	v_and_b32_e32 v18, 0x7c0000, v50
	v_bfe_u32 v19, v50, 16, 2
	s_delay_alu instid0(VALU_DEP_2) | instskip(SKIP_1) | instid1(SALU_CYCLE_1)
	v_cmp_ne_u32_e32 vcc_lo, 0x7c0000, v18
                                        ; implicit-def: $vgpr18
	s_and_saveexec_b32 s13, vcc_lo
	s_xor_b32 s13, exec_lo, s13
	s_cbranch_execz .LBB6_10194
; %bb.10191:                            ;   in Loop: Header=BB6_9788 Depth=3
	v_bfe_u32 v18, v50, 18, 5
	s_mov_b32 s72, exec_lo
	s_delay_alu instid0(VALU_DEP_1)
	v_cmpx_eq_u32_e32 0, v18
; %bb.10192:                            ;   in Loop: Header=BB6_9788 Depth=3
	v_clz_i32_u32_e32 v18, v19
	s_delay_alu instid0(VALU_DEP_1) | instskip(NEXT) | instid1(VALU_DEP_1)
	v_min_u32_e32 v18, 32, v18
	v_subrev_nc_u32_e32 v19, 29, v18
	v_sub_nc_u32_e32 v18, 30, v18
	s_delay_alu instid0(VALU_DEP_2) | instskip(NEXT) | instid1(VALU_DEP_1)
	v_lshlrev_b64_e32 v[22:23], v19, v[12:13]
	v_and_b32_e32 v19, 3, v22
; %bb.10193:                            ;   in Loop: Header=BB6_9788 Depth=3
	s_or_b32 exec_lo, exec_lo, s72
	v_lshlrev_b32_e32 v12, 24, v12
	s_delay_alu instid0(VALU_DEP_1) | instskip(NEXT) | instid1(VALU_DEP_1)
	v_and_b32_e32 v12, 0x80000000, v12
	v_lshl_add_u32 v12, v18, 23, v12
	s_delay_alu instid0(VALU_DEP_1) | instskip(NEXT) | instid1(VALU_DEP_1)
	v_lshl_or_b32 v12, v19, 21, v12
                                        ; implicit-def: $vgpr19
	v_add_nc_u32_e32 v18, 0x38000000, v12
                                        ; implicit-def: $vgpr12
.LBB6_10194:                            ;   in Loop: Header=BB6_9788 Depth=3
	s_and_not1_saveexec_b32 s72, s13
; %bb.10195:                            ;   in Loop: Header=BB6_9788 Depth=3
	v_bfe_i32 v12, v12, 0, 8
	v_cmp_eq_u32_e32 vcc_lo, 0, v19
	s_delay_alu instid0(VALU_DEP_2) | instskip(SKIP_1) | instid1(VALU_DEP_1)
	v_cmp_lt_i16_e64 s13, -1, v12
	v_mov_b32_e32 v12, 0x7f800000
	v_cndmask_b32_e64 v12, 0xff800000, v12, s13
	s_delay_alu instid0(VALU_DEP_1)
	v_cndmask_b32_e32 v18, 0x7f800001, v12, vcc_lo
; %bb.10196:                            ;   in Loop: Header=BB6_9788 Depth=3
	s_or_b32 exec_lo, exec_lo, s72
.LBB6_10197:                            ;   in Loop: Header=BB6_9788 Depth=3
	s_delay_alu instid0(SALU_CYCLE_1)
	s_or_b32 exec_lo, exec_lo, s43
.LBB6_10198:                            ;   in Loop: Header=BB6_9788 Depth=3
	s_delay_alu instid0(SALU_CYCLE_1) | instskip(SKIP_2) | instid1(VALU_DEP_1)
	s_or_b32 exec_lo, exec_lo, s42
	v_lshrrev_b32_e32 v12, 16, v38
	s_mov_b32 s42, exec_lo
	v_and_b32_e32 v19, 0xff, v12
	s_delay_alu instid0(VALU_DEP_1)
	v_cmpx_ne_u16_e32 0, v19
	s_cbranch_execz .LBB6_10208
; %bb.10199:                            ;   in Loop: Header=BB6_9788 Depth=3
	v_bfrev_b32_e32 v13, 1
	s_mov_b32 s43, exec_lo
	v_cmpx_ne_u16_e32 0x80, v19
	s_cbranch_execz .LBB6_10207
; %bb.10200:                            ;   in Loop: Header=BB6_9788 Depth=3
	v_and_b32_e32 v13, 0x7c0000, v38
	v_bfe_u32 v19, v38, 16, 2
	s_delay_alu instid0(VALU_DEP_2) | instskip(SKIP_1) | instid1(SALU_CYCLE_1)
	v_cmp_ne_u32_e32 vcc_lo, 0x7c0000, v13
                                        ; implicit-def: $vgpr13
	s_and_saveexec_b32 s13, vcc_lo
	s_xor_b32 s13, exec_lo, s13
	s_cbranch_execz .LBB6_10204
; %bb.10201:                            ;   in Loop: Header=BB6_9788 Depth=3
	v_bfe_u32 v13, v38, 18, 5
	s_mov_b32 s72, exec_lo
	s_delay_alu instid0(VALU_DEP_1)
	v_cmpx_eq_u32_e32 0, v13
; %bb.10202:                            ;   in Loop: Header=BB6_9788 Depth=3
	v_clz_i32_u32_e32 v13, v19
	s_delay_alu instid0(VALU_DEP_1) | instskip(NEXT) | instid1(VALU_DEP_1)
	v_min_u32_e32 v13, 32, v13
	v_subrev_nc_u32_e32 v19, 29, v13
	s_delay_alu instid0(VALU_DEP_1) | instskip(NEXT) | instid1(VALU_DEP_1)
	v_lshlrev_b64_e32 v[22:23], v19, v[12:13]
	v_dual_sub_nc_u32 v13, 30, v13 :: v_dual_bitop2_b32 v19, 3, v22 bitop3:0x40
; %bb.10203:                            ;   in Loop: Header=BB6_9788 Depth=3
	s_or_b32 exec_lo, exec_lo, s72
	v_lshlrev_b32_e32 v12, 24, v12
	s_delay_alu instid0(VALU_DEP_1) | instskip(NEXT) | instid1(VALU_DEP_1)
	v_and_b32_e32 v12, 0x80000000, v12
	v_lshl_add_u32 v12, v13, 23, v12
	s_delay_alu instid0(VALU_DEP_1) | instskip(NEXT) | instid1(VALU_DEP_1)
	v_lshl_or_b32 v12, v19, 21, v12
                                        ; implicit-def: $vgpr19
	v_add_nc_u32_e32 v13, 0x38000000, v12
                                        ; implicit-def: $vgpr12
.LBB6_10204:                            ;   in Loop: Header=BB6_9788 Depth=3
	s_and_not1_saveexec_b32 s72, s13
; %bb.10205:                            ;   in Loop: Header=BB6_9788 Depth=3
	v_bfe_i32 v12, v12, 0, 8
	v_cmp_eq_u32_e32 vcc_lo, 0, v19
	s_delay_alu instid0(VALU_DEP_2) | instskip(SKIP_1) | instid1(VALU_DEP_1)
	v_cmp_lt_i16_e64 s13, -1, v12
	v_mov_b32_e32 v12, 0x7f800000
	v_cndmask_b32_e64 v12, 0xff800000, v12, s13
	s_delay_alu instid0(VALU_DEP_1)
	v_cndmask_b32_e32 v13, 0x7f800001, v12, vcc_lo
; %bb.10206:                            ;   in Loop: Header=BB6_9788 Depth=3
	s_or_b32 exec_lo, exec_lo, s72
.LBB6_10207:                            ;   in Loop: Header=BB6_9788 Depth=3
	s_delay_alu instid0(SALU_CYCLE_1)
	s_or_b32 exec_lo, exec_lo, s43
.LBB6_10208:                            ;   in Loop: Header=BB6_9788 Depth=3
	s_delay_alu instid0(SALU_CYCLE_1) | instskip(NEXT) | instid1(VALU_DEP_1)
	s_or_b32 exec_lo, exec_lo, s42
	v_dual_mul_f32 v18, v18, v13 :: v_dual_mov_b32 v23, v21
	v_mov_b32_e32 v13, v21
                                        ; implicit-def: $vgpr49
	s_mov_b32 s13, exec_lo
	s_delay_alu instid0(VALU_DEP_2) | instskip(SKIP_2) | instid1(VALU_DEP_3)
	v_and_b32_e32 v22, 0x7f800000, v18
	v_and_b32_e32 v12, 0x7fffff, v18
	v_lshrrev_b32_e32 v19, 24, v18
	v_cmpx_ne_u64_e32 0x7f800000, v[22:23]
	s_xor_b32 s42, exec_lo, s13
	s_cbranch_execz .LBB6_10222
; %bb.10209:                            ;   in Loop: Header=BB6_9788 Depth=3
	v_and_b32_e32 v22, 0x7fffffff, v18
	v_mov_b32_e32 v23, v21
	v_and_b32_e32 v20, 0x80, v19
                                        ; implicit-def: $vgpr49
	s_mov_b32 s13, exec_lo
	s_delay_alu instid0(VALU_DEP_2)
	v_cmpx_gt_u64_e32 0x47600001, v[22:23]
	s_xor_b32 s43, exec_lo, s13
	s_cbranch_execz .LBB6_10219
; %bb.10210:                            ;   in Loop: Header=BB6_9788 Depth=3
	v_mov_b32_e32 v49, 0
	s_mov_b32 s72, exec_lo
	v_cmpx_ne_u32_e32 0, v18
	s_cbranch_execz .LBB6_10218
; %bb.10211:                            ;   in Loop: Header=BB6_9788 Depth=3
	v_bfe_u32 v22, v18, 23, 8
	v_or_b32_e32 v19, 0x800000, v12
	s_delay_alu instid0(VALU_DEP_2) | instskip(SKIP_2) | instid1(VALU_DEP_2)
	v_cmp_gt_u32_e64 s13, 0x72, v22
	v_sub_nc_u32_e32 v18, 0x71, v22
	v_cmp_eq_u32_e32 vcc_lo, 0, v22
	v_dual_cndmask_b32 v18, 0, v18, s13 :: v_dual_cndmask_b32 v12, v19, v12, vcc_lo
	s_delay_alu instid0(VALU_DEP_1) | instskip(NEXT) | instid1(VALU_DEP_1)
	v_cndmask_b32_e64 v23, v18, 0x70, vcc_lo
	v_dual_add_nc_u32 v18, 21, v23 :: v_dual_add_nc_u32 v49, 20, v23
	s_delay_alu instid0(VALU_DEP_1) | instskip(NEXT) | instid1(VALU_DEP_2)
	v_lshlrev_b64_e64 v[18:19], v18, -1
	v_lshlrev_b64_e64 v[66:67], v49, 1
	s_delay_alu instid0(VALU_DEP_2) | instskip(SKIP_1) | instid1(VALU_DEP_4)
	v_bfi_b32 v18, v18, 0, v12
	v_lshrrev_b64 v[12:13], v23, v[12:13]
	v_bfi_b32 v19, v19, 0, 0
	s_delay_alu instid0(VALU_DEP_1) | instskip(NEXT) | instid1(VALU_DEP_3)
	v_cmp_eq_u64_e64 s13, v[18:19], v[66:67]
	v_mov_b64_e32 v[18:19], v[12:13]
	s_and_saveexec_b32 s73, s13
; %bb.10212:                            ;   in Loop: Header=BB6_9788 Depth=3
	v_bfe_u32 v18, v12, 21, 1
	v_mov_b32_e32 v19, v21
	s_delay_alu instid0(VALU_DEP_1) | instskip(NEXT) | instid1(VALU_DEP_1)
	v_add_nc_u64_e32 v[18:19], v[12:13], v[18:19]
	v_add_nc_u64_e32 v[18:19], -1, v[18:19]
; %bb.10213:                            ;   in Loop: Header=BB6_9788 Depth=3
	s_or_b32 exec_lo, exec_lo, s73
	v_add_nc_u32_e32 v13, 0xffffff81, v22
	v_lshrrev_b32_e32 v19, 23, v12
	s_mov_b32 s13, exec_lo
	s_delay_alu instid0(VALU_DEP_2) | instskip(NEXT) | instid1(VALU_DEP_1)
	v_cndmask_b32_e64 v13, v13, 0xffffff82, vcc_lo
	v_add3_u32 v22, v23, v13, v19
	v_and_b32_e32 v13, 0x1fffff, v18
                                        ; implicit-def: $vgpr18
	s_delay_alu instid0(VALU_DEP_1) | instskip(SKIP_1) | instid1(VALU_DEP_2)
	v_dual_add_nc_u32 v19, 14, v22 :: v_dual_add_nc_u32 v12, v13, v12
	v_mov_b32_e32 v13, v21
	v_cmpx_ne_u32_e32 0, v19
	s_xor_b32 s13, exec_lo, s13
; %bb.10214:                            ;   in Loop: Header=BB6_9788 Depth=3
	s_delay_alu instid0(VALU_DEP_2) | instskip(SKIP_1) | instid1(VALU_DEP_1)
	v_cmp_lt_u64_e32 vcc_lo, 0xffffff, v[12:13]
	v_add_nc_u32_e32 v18, 15, v22
	v_cndmask_b32_e32 v18, v19, v18, vcc_lo
	v_cndmask_b32_e64 v19, 0, 1, vcc_lo
	s_delay_alu instid0(VALU_DEP_1)
	v_lshrrev_b64 v[12:13], v19, v[12:13]
; %bb.10215:                            ;   in Loop: Header=BB6_9788 Depth=3
	s_and_not1_saveexec_b32 s13, s13
; %bb.10216:                            ;   in Loop: Header=BB6_9788 Depth=3
	s_delay_alu instid0(VALU_DEP_1)
	v_bfe_u32 v18, v12, 23, 1
; %bb.10217:                            ;   in Loop: Header=BB6_9788 Depth=3
	s_or_b32 exec_lo, exec_lo, s13
	s_delay_alu instid0(VALU_DEP_2) | instskip(NEXT) | instid1(VALU_DEP_2)
	v_lshrrev_b64 v[12:13], 21, v[12:13]
	v_cmp_gt_i32_e32 vcc_lo, 32, v18
	v_min_i32_e32 v19, 31, v18
	v_cmp_eq_u32_e64 s13, 0, v18
	s_delay_alu instid0(VALU_DEP_2) | instskip(SKIP_1) | instid1(VALU_DEP_2)
	v_dual_cndmask_b32 v13, 0, v13, vcc_lo :: v_dual_lshlrev_b32 v19, 2, v19
	v_cndmask_b32_e32 v12, 3, v12, vcc_lo
	v_and_b32_e32 v19, 0xfc, v19
	s_delay_alu instid0(VALU_DEP_2) | instskip(NEXT) | instid1(VALU_DEP_2)
	v_cmp_eq_u64_e32 vcc_lo, 0, v[12:13]
	v_and_or_b32 v12, v12, 3, v19
	s_and_b32 s13, s13, vcc_lo
	s_delay_alu instid0(VALU_DEP_1) | instid1(SALU_CYCLE_1)
	v_cndmask_b32_e64 v12, v12, 0, s13
	s_delay_alu instid0(VALU_DEP_1)
	v_or_b32_e32 v49, v12, v20
.LBB6_10218:                            ;   in Loop: Header=BB6_9788 Depth=3
	s_or_b32 exec_lo, exec_lo, s72
                                        ; implicit-def: $vgpr20
.LBB6_10219:                            ;   in Loop: Header=BB6_9788 Depth=3
	s_and_not1_saveexec_b32 s13, s43
; %bb.10220:                            ;   in Loop: Header=BB6_9788 Depth=3
	v_or_b32_e32 v49, 0x7b, v20
; %bb.10221:                            ;   in Loop: Header=BB6_9788 Depth=3
	s_or_b32 exec_lo, exec_lo, s13
                                        ; implicit-def: $vgpr18
                                        ; implicit-def: $vgpr12_vgpr13
                                        ; implicit-def: $vgpr19
.LBB6_10222:                            ;   in Loop: Header=BB6_9788 Depth=3
	s_and_not1_saveexec_b32 s13, s42
	s_cbranch_execz .LBB6_10228
; %bb.10223:                            ;   in Loop: Header=BB6_9788 Depth=3
	s_mov_b32 s42, exec_lo
                                        ; implicit-def: $vgpr49
	v_cmpx_ne_u64_e32 0, v[12:13]
	s_xor_b32 s42, exec_lo, s42
; %bb.10224:                            ;   in Loop: Header=BB6_9788 Depth=3
	v_or_b32_e32 v49, 0x7f, v19
                                        ; implicit-def: $vgpr18
; %bb.10225:                            ;   in Loop: Header=BB6_9788 Depth=3
	s_and_not1_saveexec_b32 s42, s42
; %bb.10226:                            ;   in Loop: Header=BB6_9788 Depth=3
	v_cmp_lt_i32_e32 vcc_lo, -1, v18
	v_mov_b32_e32 v12, 0x7c
	s_delay_alu instid0(VALU_DEP_1)
	v_cndmask_b32_e32 v49, 0xfc, v12, vcc_lo
; %bb.10227:                            ;   in Loop: Header=BB6_9788 Depth=3
	s_or_b32 exec_lo, exec_lo, s42
.LBB6_10228:                            ;   in Loop: Header=BB6_9788 Depth=3
	s_delay_alu instid0(SALU_CYCLE_1)
	s_or_b32 exec_lo, exec_lo, s13
	v_dual_mov_b32 v13, 0 :: v_dual_mov_b32 v18, 0
	s_mov_b32 s42, exec_lo
	v_cmpx_lt_u32_e32 0xffffff, v50
	s_cbranch_execz .LBB6_10238
; %bb.10229:                            ;   in Loop: Header=BB6_9788 Depth=3
	v_lshrrev_b32_e32 v12, 24, v50
	v_bfrev_b32_e32 v18, 1
	s_mov_b32 s43, exec_lo
	s_delay_alu instid0(VALU_DEP_2)
	v_cmpx_ne_u32_e32 0x80, v12
	s_cbranch_execz .LBB6_10237
; %bb.10230:                            ;   in Loop: Header=BB6_9788 Depth=3
	v_and_b32_e32 v18, 0x7c000000, v50
	v_bfe_u32 v19, v50, 24, 2
	s_delay_alu instid0(VALU_DEP_2) | instskip(SKIP_1) | instid1(SALU_CYCLE_1)
	v_cmp_ne_u32_e32 vcc_lo, 0x7c000000, v18
                                        ; implicit-def: $vgpr18
	s_and_saveexec_b32 s13, vcc_lo
	s_xor_b32 s13, exec_lo, s13
	s_cbranch_execz .LBB6_10234
; %bb.10231:                            ;   in Loop: Header=BB6_9788 Depth=3
	v_bfe_u32 v18, v50, 26, 5
	s_mov_b32 s72, exec_lo
	s_delay_alu instid0(VALU_DEP_1)
	v_cmpx_eq_u32_e32 0, v18
; %bb.10232:                            ;   in Loop: Header=BB6_9788 Depth=3
	v_clz_i32_u32_e32 v18, v19
	s_delay_alu instid0(VALU_DEP_1) | instskip(NEXT) | instid1(VALU_DEP_1)
	v_min_u32_e32 v18, 32, v18
	v_subrev_nc_u32_e32 v19, 29, v18
	v_sub_nc_u32_e32 v18, 30, v18
	s_delay_alu instid0(VALU_DEP_2) | instskip(NEXT) | instid1(VALU_DEP_1)
	v_lshlrev_b64_e32 v[22:23], v19, v[12:13]
	v_and_b32_e32 v19, 3, v22
; %bb.10233:                            ;   in Loop: Header=BB6_9788 Depth=3
	s_or_b32 exec_lo, exec_lo, s72
	v_and_b32_e32 v12, 0x80000000, v50
	s_delay_alu instid0(VALU_DEP_1) | instskip(NEXT) | instid1(VALU_DEP_1)
	v_lshl_add_u32 v12, v18, 23, v12
	v_lshl_or_b32 v12, v19, 21, v12
                                        ; implicit-def: $vgpr19
	s_delay_alu instid0(VALU_DEP_1)
	v_add_nc_u32_e32 v18, 0x38000000, v12
.LBB6_10234:                            ;   in Loop: Header=BB6_9788 Depth=3
	s_and_not1_saveexec_b32 s72, s13
; %bb.10235:                            ;   in Loop: Header=BB6_9788 Depth=3
	v_cmp_lt_i32_e64 s13, -1, v50
	v_mov_b32_e32 v12, 0x7f800000
	v_cmp_eq_u32_e32 vcc_lo, 0, v19
	s_delay_alu instid0(VALU_DEP_2) | instskip(NEXT) | instid1(VALU_DEP_1)
	v_cndmask_b32_e64 v12, 0xff800000, v12, s13
	v_cndmask_b32_e32 v18, 0x7f800001, v12, vcc_lo
; %bb.10236:                            ;   in Loop: Header=BB6_9788 Depth=3
	s_or_b32 exec_lo, exec_lo, s72
.LBB6_10237:                            ;   in Loop: Header=BB6_9788 Depth=3
	s_delay_alu instid0(SALU_CYCLE_1)
	s_or_b32 exec_lo, exec_lo, s43
.LBB6_10238:                            ;   in Loop: Header=BB6_9788 Depth=3
	s_delay_alu instid0(SALU_CYCLE_1) | instskip(NEXT) | instid1(SALU_CYCLE_1)
	s_or_b32 exec_lo, exec_lo, s42
	s_mov_b32 s42, exec_lo
	v_cmpx_lt_u32_e32 0xffffff, v38
	s_cbranch_execz .LBB6_10248
; %bb.10239:                            ;   in Loop: Header=BB6_9788 Depth=3
	v_lshrrev_b32_e32 v12, 24, v38
	v_bfrev_b32_e32 v13, 1
	s_mov_b32 s43, exec_lo
	s_delay_alu instid0(VALU_DEP_2)
	v_cmpx_ne_u32_e32 0x80, v12
	s_cbranch_execz .LBB6_10247
; %bb.10240:                            ;   in Loop: Header=BB6_9788 Depth=3
	v_and_b32_e32 v13, 0x7c000000, v38
	v_bfe_u32 v19, v38, 24, 2
	s_delay_alu instid0(VALU_DEP_2) | instskip(SKIP_1) | instid1(SALU_CYCLE_1)
	v_cmp_ne_u32_e32 vcc_lo, 0x7c000000, v13
                                        ; implicit-def: $vgpr13
	s_and_saveexec_b32 s13, vcc_lo
	s_xor_b32 s13, exec_lo, s13
	s_cbranch_execz .LBB6_10244
; %bb.10241:                            ;   in Loop: Header=BB6_9788 Depth=3
	v_bfe_u32 v13, v38, 26, 5
	s_mov_b32 s72, exec_lo
	s_delay_alu instid0(VALU_DEP_1)
	v_cmpx_eq_u32_e32 0, v13
; %bb.10242:                            ;   in Loop: Header=BB6_9788 Depth=3
	v_clz_i32_u32_e32 v13, v19
	s_delay_alu instid0(VALU_DEP_1) | instskip(NEXT) | instid1(VALU_DEP_1)
	v_min_u32_e32 v19, 32, v13
	v_subrev_nc_u32_e32 v13, 29, v19
	s_delay_alu instid0(VALU_DEP_1) | instskip(NEXT) | instid1(VALU_DEP_1)
	v_lshlrev_b64_e32 v[12:13], v13, v[12:13]
	v_dual_sub_nc_u32 v13, 30, v19 :: v_dual_bitop2_b32 v19, 3, v12 bitop3:0x40
; %bb.10243:                            ;   in Loop: Header=BB6_9788 Depth=3
	s_or_b32 exec_lo, exec_lo, s72
	v_and_b32_e32 v12, 0x80000000, v38
	s_delay_alu instid0(VALU_DEP_1) | instskip(NEXT) | instid1(VALU_DEP_1)
	v_lshl_add_u32 v12, v13, 23, v12
	v_lshl_or_b32 v12, v19, 21, v12
                                        ; implicit-def: $vgpr19
	s_delay_alu instid0(VALU_DEP_1)
	v_add_nc_u32_e32 v13, 0x38000000, v12
.LBB6_10244:                            ;   in Loop: Header=BB6_9788 Depth=3
	s_and_not1_saveexec_b32 s72, s13
; %bb.10245:                            ;   in Loop: Header=BB6_9788 Depth=3
	v_cmp_lt_i32_e64 s13, -1, v38
	v_mov_b32_e32 v12, 0x7f800000
	v_cmp_eq_u32_e32 vcc_lo, 0, v19
	s_delay_alu instid0(VALU_DEP_2) | instskip(NEXT) | instid1(VALU_DEP_1)
	v_cndmask_b32_e64 v12, 0xff800000, v12, s13
	v_cndmask_b32_e32 v13, 0x7f800001, v12, vcc_lo
; %bb.10246:                            ;   in Loop: Header=BB6_9788 Depth=3
	s_or_b32 exec_lo, exec_lo, s72
.LBB6_10247:                            ;   in Loop: Header=BB6_9788 Depth=3
	s_delay_alu instid0(SALU_CYCLE_1)
	s_or_b32 exec_lo, exec_lo, s43
.LBB6_10248:                            ;   in Loop: Header=BB6_9788 Depth=3
	s_delay_alu instid0(SALU_CYCLE_1) | instskip(NEXT) | instid1(VALU_DEP_1)
	s_or_b32 exec_lo, exec_lo, s42
	v_dual_mul_f32 v18, v18, v13 :: v_dual_mov_b32 v23, v21
	v_mov_b32_e32 v13, v21
                                        ; implicit-def: $vgpr65
	s_mov_b32 s13, exec_lo
	s_delay_alu instid0(VALU_DEP_2) | instskip(SKIP_2) | instid1(VALU_DEP_3)
	v_and_b32_e32 v22, 0x7f800000, v18
	v_and_b32_e32 v12, 0x7fffff, v18
	v_lshrrev_b32_e32 v19, 24, v18
	v_cmpx_ne_u64_e32 0x7f800000, v[22:23]
	s_xor_b32 s42, exec_lo, s13
	s_cbranch_execz .LBB6_10262
; %bb.10249:                            ;   in Loop: Header=BB6_9788 Depth=3
	v_and_b32_e32 v22, 0x7fffffff, v18
	v_mov_b32_e32 v23, v21
	v_and_b32_e32 v20, 0x80, v19
                                        ; implicit-def: $vgpr65
	s_mov_b32 s13, exec_lo
	s_delay_alu instid0(VALU_DEP_2)
	v_cmpx_gt_u64_e32 0x47600001, v[22:23]
	s_xor_b32 s43, exec_lo, s13
	s_cbranch_execz .LBB6_10259
; %bb.10250:                            ;   in Loop: Header=BB6_9788 Depth=3
	v_mov_b32_e32 v65, 0
	s_mov_b32 s72, exec_lo
	v_cmpx_ne_u32_e32 0, v18
	s_cbranch_execz .LBB6_10258
; %bb.10251:                            ;   in Loop: Header=BB6_9788 Depth=3
	v_bfe_u32 v22, v18, 23, 8
	v_or_b32_e32 v19, 0x800000, v12
	s_delay_alu instid0(VALU_DEP_2) | instskip(SKIP_2) | instid1(VALU_DEP_2)
	v_cmp_gt_u32_e64 s13, 0x72, v22
	v_sub_nc_u32_e32 v18, 0x71, v22
	v_cmp_eq_u32_e32 vcc_lo, 0, v22
	v_dual_cndmask_b32 v18, 0, v18, s13 :: v_dual_cndmask_b32 v12, v19, v12, vcc_lo
	s_delay_alu instid0(VALU_DEP_1) | instskip(NEXT) | instid1(VALU_DEP_1)
	v_cndmask_b32_e64 v23, v18, 0x70, vcc_lo
	v_dual_add_nc_u32 v18, 21, v23 :: v_dual_add_nc_u32 v65, 20, v23
	s_delay_alu instid0(VALU_DEP_1) | instskip(NEXT) | instid1(VALU_DEP_2)
	v_lshlrev_b64_e64 v[18:19], v18, -1
	v_lshlrev_b64_e64 v[66:67], v65, 1
	s_delay_alu instid0(VALU_DEP_2) | instskip(SKIP_1) | instid1(VALU_DEP_4)
	v_bfi_b32 v18, v18, 0, v12
	v_lshrrev_b64 v[12:13], v23, v[12:13]
	v_bfi_b32 v19, v19, 0, 0
	s_delay_alu instid0(VALU_DEP_1) | instskip(NEXT) | instid1(VALU_DEP_3)
	v_cmp_eq_u64_e64 s13, v[18:19], v[66:67]
	v_mov_b64_e32 v[18:19], v[12:13]
	s_and_saveexec_b32 s73, s13
; %bb.10252:                            ;   in Loop: Header=BB6_9788 Depth=3
	v_bfe_u32 v18, v12, 21, 1
	v_mov_b32_e32 v19, v21
	s_delay_alu instid0(VALU_DEP_1) | instskip(NEXT) | instid1(VALU_DEP_1)
	v_add_nc_u64_e32 v[18:19], v[12:13], v[18:19]
	v_add_nc_u64_e32 v[18:19], -1, v[18:19]
; %bb.10253:                            ;   in Loop: Header=BB6_9788 Depth=3
	s_or_b32 exec_lo, exec_lo, s73
	v_add_nc_u32_e32 v13, 0xffffff81, v22
	v_lshrrev_b32_e32 v19, 23, v12
	s_mov_b32 s13, exec_lo
	s_delay_alu instid0(VALU_DEP_2) | instskip(NEXT) | instid1(VALU_DEP_1)
	v_cndmask_b32_e64 v13, v13, 0xffffff82, vcc_lo
	v_add3_u32 v22, v23, v13, v19
	v_and_b32_e32 v13, 0x1fffff, v18
                                        ; implicit-def: $vgpr18
	s_delay_alu instid0(VALU_DEP_1) | instskip(SKIP_1) | instid1(VALU_DEP_2)
	v_dual_add_nc_u32 v19, 14, v22 :: v_dual_add_nc_u32 v12, v13, v12
	v_mov_b32_e32 v13, v21
	v_cmpx_ne_u32_e32 0, v19
	s_xor_b32 s13, exec_lo, s13
; %bb.10254:                            ;   in Loop: Header=BB6_9788 Depth=3
	s_delay_alu instid0(VALU_DEP_2) | instskip(SKIP_1) | instid1(VALU_DEP_1)
	v_cmp_lt_u64_e32 vcc_lo, 0xffffff, v[12:13]
	v_add_nc_u32_e32 v18, 15, v22
	v_cndmask_b32_e32 v18, v19, v18, vcc_lo
	v_cndmask_b32_e64 v19, 0, 1, vcc_lo
	s_delay_alu instid0(VALU_DEP_1)
	v_lshrrev_b64 v[12:13], v19, v[12:13]
; %bb.10255:                            ;   in Loop: Header=BB6_9788 Depth=3
	s_and_not1_saveexec_b32 s13, s13
; %bb.10256:                            ;   in Loop: Header=BB6_9788 Depth=3
	s_delay_alu instid0(VALU_DEP_1)
	v_bfe_u32 v18, v12, 23, 1
; %bb.10257:                            ;   in Loop: Header=BB6_9788 Depth=3
	s_or_b32 exec_lo, exec_lo, s13
	s_delay_alu instid0(VALU_DEP_2) | instskip(NEXT) | instid1(VALU_DEP_2)
	v_lshrrev_b64 v[12:13], 21, v[12:13]
	v_cmp_gt_i32_e32 vcc_lo, 32, v18
	v_min_i32_e32 v19, 31, v18
	v_cmp_eq_u32_e64 s13, 0, v18
	s_delay_alu instid0(VALU_DEP_2) | instskip(SKIP_1) | instid1(VALU_DEP_2)
	v_dual_cndmask_b32 v13, 0, v13, vcc_lo :: v_dual_lshlrev_b32 v19, 2, v19
	v_cndmask_b32_e32 v12, 3, v12, vcc_lo
	v_and_b32_e32 v19, 0xfc, v19
	s_delay_alu instid0(VALU_DEP_2) | instskip(NEXT) | instid1(VALU_DEP_2)
	v_cmp_eq_u64_e32 vcc_lo, 0, v[12:13]
	v_and_or_b32 v12, v12, 3, v19
	s_and_b32 s13, s13, vcc_lo
	s_delay_alu instid0(VALU_DEP_1) | instid1(SALU_CYCLE_1)
	v_cndmask_b32_e64 v12, v12, 0, s13
	s_delay_alu instid0(VALU_DEP_1)
	v_or_b32_e32 v65, v12, v20
.LBB6_10258:                            ;   in Loop: Header=BB6_9788 Depth=3
	s_or_b32 exec_lo, exec_lo, s72
                                        ; implicit-def: $vgpr20
.LBB6_10259:                            ;   in Loop: Header=BB6_9788 Depth=3
	s_and_not1_saveexec_b32 s13, s43
; %bb.10260:                            ;   in Loop: Header=BB6_9788 Depth=3
	v_or_b32_e32 v65, 0x7b, v20
; %bb.10261:                            ;   in Loop: Header=BB6_9788 Depth=3
	s_or_b32 exec_lo, exec_lo, s13
                                        ; implicit-def: $vgpr18
                                        ; implicit-def: $vgpr12_vgpr13
                                        ; implicit-def: $vgpr19
.LBB6_10262:                            ;   in Loop: Header=BB6_9788 Depth=3
	s_and_not1_saveexec_b32 s13, s42
	s_cbranch_execz .LBB6_10268
; %bb.10263:                            ;   in Loop: Header=BB6_9788 Depth=3
	s_mov_b32 s42, exec_lo
                                        ; implicit-def: $vgpr65
	v_cmpx_ne_u64_e32 0, v[12:13]
	s_xor_b32 s42, exec_lo, s42
; %bb.10264:                            ;   in Loop: Header=BB6_9788 Depth=3
	v_or_b32_e32 v65, 0x7f, v19
                                        ; implicit-def: $vgpr18
; %bb.10265:                            ;   in Loop: Header=BB6_9788 Depth=3
	s_and_not1_saveexec_b32 s42, s42
; %bb.10266:                            ;   in Loop: Header=BB6_9788 Depth=3
	v_cmp_lt_i32_e32 vcc_lo, -1, v18
	v_mov_b32_e32 v12, 0x7c
	s_delay_alu instid0(VALU_DEP_1)
	v_cndmask_b32_e32 v65, 0xfc, v12, vcc_lo
; %bb.10267:                            ;   in Loop: Header=BB6_9788 Depth=3
	s_or_b32 exec_lo, exec_lo, s42
.LBB6_10268:                            ;   in Loop: Header=BB6_9788 Depth=3
	s_delay_alu instid0(SALU_CYCLE_1) | instskip(SKIP_4) | instid1(VALU_DEP_3)
	s_or_b32 exec_lo, exec_lo, s13
	v_and_b32_e32 v20, 0xff, v51
	v_dual_mov_b32 v12, v51 :: v_dual_mov_b32 v13, v21
	v_dual_mov_b32 v19, 0 :: v_dual_mov_b32 v18, 0
	s_mov_b32 s42, exec_lo
	v_cmpx_ne_u16_e32 0, v20
	s_cbranch_execz .LBB6_10278
; %bb.10269:                            ;   in Loop: Header=BB6_9788 Depth=3
	v_bfrev_b32_e32 v18, 1
	s_mov_b32 s43, exec_lo
	v_cmpx_ne_u16_e32 0x80, v20
	s_cbranch_execz .LBB6_10277
; %bb.10270:                            ;   in Loop: Header=BB6_9788 Depth=3
	v_and_b32_e32 v18, 0x7c, v51
	v_and_b32_e32 v20, 3, v51
	s_delay_alu instid0(VALU_DEP_2) | instskip(SKIP_1) | instid1(SALU_CYCLE_1)
	v_cmp_ne_u32_e32 vcc_lo, 0x7c, v18
                                        ; implicit-def: $vgpr18
	s_and_saveexec_b32 s13, vcc_lo
	s_xor_b32 s13, exec_lo, s13
	s_cbranch_execz .LBB6_10274
; %bb.10271:                            ;   in Loop: Header=BB6_9788 Depth=3
	v_bfe_u32 v18, v51, 2, 5
	s_mov_b32 s72, exec_lo
	s_delay_alu instid0(VALU_DEP_1)
	v_cmpx_eq_u32_e32 0, v18
; %bb.10272:                            ;   in Loop: Header=BB6_9788 Depth=3
	v_clz_i32_u32_e32 v18, v20
	s_delay_alu instid0(VALU_DEP_1) | instskip(NEXT) | instid1(VALU_DEP_1)
	v_min_u32_e32 v18, 32, v18
	v_subrev_nc_u32_e32 v20, 29, v18
	v_sub_nc_u32_e32 v18, 30, v18
	s_delay_alu instid0(VALU_DEP_2) | instskip(NEXT) | instid1(VALU_DEP_1)
	v_lshlrev_b64_e32 v[22:23], v20, v[12:13]
	v_and_b32_e32 v20, 3, v22
; %bb.10273:                            ;   in Loop: Header=BB6_9788 Depth=3
	s_or_b32 exec_lo, exec_lo, s72
	v_lshlrev_b32_e32 v13, 24, v51
	s_delay_alu instid0(VALU_DEP_1) | instskip(NEXT) | instid1(VALU_DEP_1)
	v_and_b32_e32 v13, 0x80000000, v13
	v_lshl_add_u32 v13, v18, 23, v13
	s_delay_alu instid0(VALU_DEP_1) | instskip(NEXT) | instid1(VALU_DEP_1)
	v_lshl_or_b32 v13, v20, 21, v13
                                        ; implicit-def: $vgpr20
	v_add_nc_u32_e32 v18, 0x38000000, v13
.LBB6_10274:                            ;   in Loop: Header=BB6_9788 Depth=3
	s_and_not1_saveexec_b32 s72, s13
; %bb.10275:                            ;   in Loop: Header=BB6_9788 Depth=3
	v_bfe_i32 v13, v51, 0, 8
	v_cmp_eq_u32_e32 vcc_lo, 0, v20
	s_delay_alu instid0(VALU_DEP_2) | instskip(SKIP_1) | instid1(VALU_DEP_1)
	v_cmp_lt_i16_e64 s13, -1, v13
	v_mov_b32_e32 v13, 0x7f800000
	v_cndmask_b32_e64 v13, 0xff800000, v13, s13
	s_delay_alu instid0(VALU_DEP_1)
	v_cndmask_b32_e32 v18, 0x7f800001, v13, vcc_lo
; %bb.10276:                            ;   in Loop: Header=BB6_9788 Depth=3
	s_or_b32 exec_lo, exec_lo, s72
.LBB6_10277:                            ;   in Loop: Header=BB6_9788 Depth=3
	s_delay_alu instid0(SALU_CYCLE_1)
	s_or_b32 exec_lo, exec_lo, s43
.LBB6_10278:                            ;   in Loop: Header=BB6_9788 Depth=3
	s_delay_alu instid0(SALU_CYCLE_1) | instskip(SKIP_2) | instid1(VALU_DEP_1)
	s_or_b32 exec_lo, exec_lo, s42
	v_and_b32_e32 v13, 0xff, v39
	s_mov_b32 s42, exec_lo
	v_cmpx_ne_u16_e32 0, v13
	s_cbranch_execz .LBB6_10288
; %bb.10279:                            ;   in Loop: Header=BB6_9788 Depth=3
	v_bfrev_b32_e32 v19, 1
	s_mov_b32 s43, exec_lo
	v_cmpx_ne_u16_e32 0x80, v13
	s_cbranch_execz .LBB6_10287
; %bb.10280:                            ;   in Loop: Header=BB6_9788 Depth=3
	v_and_b32_e32 v19, 0x7c, v39
	v_and_b32_e32 v13, 3, v39
	s_delay_alu instid0(VALU_DEP_2) | instskip(SKIP_1) | instid1(SALU_CYCLE_1)
	v_cmp_ne_u32_e32 vcc_lo, 0x7c, v19
                                        ; implicit-def: $vgpr19
	s_and_saveexec_b32 s13, vcc_lo
	s_xor_b32 s13, exec_lo, s13
	s_cbranch_execz .LBB6_10284
; %bb.10281:                            ;   in Loop: Header=BB6_9788 Depth=3
	v_bfe_u32 v19, v39, 2, 5
	s_mov_b32 s72, exec_lo
	s_delay_alu instid0(VALU_DEP_1)
	v_cmpx_eq_u32_e32 0, v19
; %bb.10282:                            ;   in Loop: Header=BB6_9788 Depth=3
	v_clz_i32_u32_e32 v13, v13
	v_dual_mov_b32 v22, v39 :: v_dual_mov_b32 v23, v21
	s_delay_alu instid0(VALU_DEP_2) | instskip(NEXT) | instid1(VALU_DEP_1)
	v_min_u32_e32 v13, 32, v13
	v_subrev_nc_u32_e32 v19, 29, v13
	s_delay_alu instid0(VALU_DEP_1) | instskip(NEXT) | instid1(VALU_DEP_1)
	v_lshlrev_b64_e32 v[22:23], v19, v[22:23]
	v_dual_sub_nc_u32 v19, 30, v13 :: v_dual_bitop2_b32 v13, 3, v22 bitop3:0x40
; %bb.10283:                            ;   in Loop: Header=BB6_9788 Depth=3
	s_or_b32 exec_lo, exec_lo, s72
	v_lshlrev_b32_e32 v20, 24, v39
	s_delay_alu instid0(VALU_DEP_1) | instskip(NEXT) | instid1(VALU_DEP_1)
	v_and_b32_e32 v20, 0x80000000, v20
	v_lshl_add_u32 v19, v19, 23, v20
	s_delay_alu instid0(VALU_DEP_1) | instskip(NEXT) | instid1(VALU_DEP_1)
	v_lshl_or_b32 v13, v13, 21, v19
	v_add_nc_u32_e32 v19, 0x38000000, v13
                                        ; implicit-def: $vgpr13
.LBB6_10284:                            ;   in Loop: Header=BB6_9788 Depth=3
	s_and_not1_saveexec_b32 s72, s13
; %bb.10285:                            ;   in Loop: Header=BB6_9788 Depth=3
	v_bfe_i32 v19, v39, 0, 8
	v_cmp_eq_u32_e32 vcc_lo, 0, v13
	v_mov_b32_e32 v13, 0x7f800000
	s_delay_alu instid0(VALU_DEP_3) | instskip(NEXT) | instid1(VALU_DEP_1)
	v_cmp_lt_i16_e64 s13, -1, v19
	v_cndmask_b32_e64 v13, 0xff800000, v13, s13
	s_delay_alu instid0(VALU_DEP_1)
	v_cndmask_b32_e32 v19, 0x7f800001, v13, vcc_lo
; %bb.10286:                            ;   in Loop: Header=BB6_9788 Depth=3
	s_or_b32 exec_lo, exec_lo, s72
.LBB6_10287:                            ;   in Loop: Header=BB6_9788 Depth=3
	s_delay_alu instid0(SALU_CYCLE_1)
	s_or_b32 exec_lo, exec_lo, s43
.LBB6_10288:                            ;   in Loop: Header=BB6_9788 Depth=3
	s_delay_alu instid0(SALU_CYCLE_1) | instskip(NEXT) | instid1(VALU_DEP_1)
	s_or_b32 exec_lo, exec_lo, s42
	v_dual_mul_f32 v20, v18, v19 :: v_dual_mov_b32 v23, v21
	v_mov_b32_e32 v19, v21
                                        ; implicit-def: $vgpr66
	s_mov_b32 s13, exec_lo
	s_delay_alu instid0(VALU_DEP_2) | instskip(SKIP_2) | instid1(VALU_DEP_3)
	v_and_b32_e32 v22, 0x7f800000, v20
	v_and_b32_e32 v18, 0x7fffff, v20
	v_lshrrev_b32_e32 v13, 24, v20
	v_cmpx_ne_u64_e32 0x7f800000, v[22:23]
	s_xor_b32 s42, exec_lo, s13
	s_cbranch_execz .LBB6_10302
; %bb.10289:                            ;   in Loop: Header=BB6_9788 Depth=3
	v_and_b32_e32 v22, 0x7fffffff, v20
	v_mov_b32_e32 v23, v21
	v_and_b32_e32 v13, 0x80, v13
                                        ; implicit-def: $vgpr66
	s_mov_b32 s13, exec_lo
	s_delay_alu instid0(VALU_DEP_2)
	v_cmpx_gt_u64_e32 0x47600001, v[22:23]
	s_xor_b32 s43, exec_lo, s13
	s_cbranch_execz .LBB6_10299
; %bb.10290:                            ;   in Loop: Header=BB6_9788 Depth=3
	v_mov_b32_e32 v66, 0
	s_mov_b32 s72, exec_lo
	v_cmpx_ne_u32_e32 0, v20
	s_cbranch_execz .LBB6_10298
; %bb.10291:                            ;   in Loop: Header=BB6_9788 Depth=3
	v_bfe_u32 v20, v20, 23, 8
	v_or_b32_e32 v23, 0x800000, v18
	s_delay_alu instid0(VALU_DEP_2) | instskip(SKIP_2) | instid1(VALU_DEP_2)
	v_cmp_gt_u32_e64 s13, 0x72, v20
	v_sub_nc_u32_e32 v22, 0x71, v20
	v_cmp_eq_u32_e32 vcc_lo, 0, v20
	v_cndmask_b32_e64 v22, 0, v22, s13
	v_cndmask_b32_e32 v18, v23, v18, vcc_lo
	s_delay_alu instid0(VALU_DEP_2) | instskip(NEXT) | instid1(VALU_DEP_1)
	v_cndmask_b32_e64 v66, v22, 0x70, vcc_lo
	v_dual_add_nc_u32 v22, 21, v66 :: v_dual_add_nc_u32 v67, 20, v66
	s_delay_alu instid0(VALU_DEP_1) | instskip(NEXT) | instid1(VALU_DEP_2)
	v_lshlrev_b64_e64 v[22:23], v22, -1
	v_lshlrev_b64_e64 v[68:69], v67, 1
	s_delay_alu instid0(VALU_DEP_2) | instskip(SKIP_1) | instid1(VALU_DEP_4)
	v_bfi_b32 v22, v22, 0, v18
	v_lshrrev_b64 v[18:19], v66, v[18:19]
	v_bfi_b32 v23, v23, 0, 0
	s_delay_alu instid0(VALU_DEP_1) | instskip(NEXT) | instid1(VALU_DEP_3)
	v_cmp_eq_u64_e64 s13, v[22:23], v[68:69]
	v_mov_b64_e32 v[22:23], v[18:19]
	s_and_saveexec_b32 s73, s13
; %bb.10292:                            ;   in Loop: Header=BB6_9788 Depth=3
	v_bfe_u32 v22, v18, 21, 1
	v_mov_b32_e32 v23, v21
	s_delay_alu instid0(VALU_DEP_1) | instskip(NEXT) | instid1(VALU_DEP_1)
	v_add_nc_u64_e32 v[22:23], v[18:19], v[22:23]
	v_add_nc_u64_e32 v[22:23], -1, v[22:23]
; %bb.10293:                            ;   in Loop: Header=BB6_9788 Depth=3
	s_or_b32 exec_lo, exec_lo, s73
	v_add_nc_u32_e32 v19, 0xffffff81, v20
	v_lshrrev_b32_e32 v20, 23, v18
	s_mov_b32 s13, exec_lo
	s_delay_alu instid0(VALU_DEP_2) | instskip(NEXT) | instid1(VALU_DEP_1)
	v_cndmask_b32_e64 v19, v19, 0xffffff82, vcc_lo
	v_add3_u32 v23, v66, v19, v20
	v_and_b32_e32 v19, 0x1fffff, v22
                                        ; implicit-def: $vgpr20
	s_delay_alu instid0(VALU_DEP_1) | instskip(SKIP_1) | instid1(VALU_DEP_2)
	v_dual_add_nc_u32 v22, 14, v23 :: v_dual_add_nc_u32 v18, v19, v18
	v_mov_b32_e32 v19, v21
	v_cmpx_ne_u32_e32 0, v22
	s_xor_b32 s13, exec_lo, s13
; %bb.10294:                            ;   in Loop: Header=BB6_9788 Depth=3
	s_delay_alu instid0(VALU_DEP_2) | instskip(SKIP_1) | instid1(VALU_DEP_1)
	v_cmp_lt_u64_e32 vcc_lo, 0xffffff, v[18:19]
	v_add_nc_u32_e32 v20, 15, v23
	v_cndmask_b32_e32 v20, v22, v20, vcc_lo
	v_cndmask_b32_e64 v22, 0, 1, vcc_lo
	s_delay_alu instid0(VALU_DEP_1)
	v_lshrrev_b64 v[18:19], v22, v[18:19]
; %bb.10295:                            ;   in Loop: Header=BB6_9788 Depth=3
	s_and_not1_saveexec_b32 s13, s13
; %bb.10296:                            ;   in Loop: Header=BB6_9788 Depth=3
	s_delay_alu instid0(VALU_DEP_1)
	v_bfe_u32 v20, v18, 23, 1
; %bb.10297:                            ;   in Loop: Header=BB6_9788 Depth=3
	s_or_b32 exec_lo, exec_lo, s13
	s_delay_alu instid0(VALU_DEP_2) | instskip(NEXT) | instid1(VALU_DEP_2)
	v_lshrrev_b64 v[18:19], 21, v[18:19]
	v_cmp_gt_i32_e32 vcc_lo, 32, v20
	v_min_i32_e32 v22, 31, v20
	v_cmp_eq_u32_e64 s13, 0, v20
	s_delay_alu instid0(VALU_DEP_2) | instskip(SKIP_1) | instid1(VALU_DEP_2)
	v_dual_cndmask_b32 v19, 0, v19 :: v_dual_lshlrev_b32 v22, 2, v22
	v_cndmask_b32_e32 v18, 3, v18, vcc_lo
	v_and_b32_e32 v22, 0xfc, v22
	s_delay_alu instid0(VALU_DEP_2) | instskip(NEXT) | instid1(VALU_DEP_2)
	v_cmp_eq_u64_e32 vcc_lo, 0, v[18:19]
	v_and_or_b32 v18, v18, 3, v22
	s_and_b32 s13, s13, vcc_lo
	s_delay_alu instid0(VALU_DEP_1) | instid1(SALU_CYCLE_1)
	v_cndmask_b32_e64 v18, v18, 0, s13
	s_delay_alu instid0(VALU_DEP_1)
	v_or_b32_e32 v66, v18, v13
.LBB6_10298:                            ;   in Loop: Header=BB6_9788 Depth=3
	s_or_b32 exec_lo, exec_lo, s72
                                        ; implicit-def: $vgpr13
.LBB6_10299:                            ;   in Loop: Header=BB6_9788 Depth=3
	s_and_not1_saveexec_b32 s13, s43
; %bb.10300:                            ;   in Loop: Header=BB6_9788 Depth=3
	v_or_b32_e32 v66, 0x7b, v13
; %bb.10301:                            ;   in Loop: Header=BB6_9788 Depth=3
	s_or_b32 exec_lo, exec_lo, s13
                                        ; implicit-def: $vgpr20
                                        ; implicit-def: $vgpr18_vgpr19
                                        ; implicit-def: $vgpr13
.LBB6_10302:                            ;   in Loop: Header=BB6_9788 Depth=3
	s_and_not1_saveexec_b32 s13, s42
	s_cbranch_execz .LBB6_10308
; %bb.10303:                            ;   in Loop: Header=BB6_9788 Depth=3
	s_mov_b32 s42, exec_lo
                                        ; implicit-def: $vgpr66
	v_cmpx_ne_u64_e32 0, v[18:19]
	s_xor_b32 s42, exec_lo, s42
; %bb.10304:                            ;   in Loop: Header=BB6_9788 Depth=3
	v_or_b32_e32 v66, 0x7f, v13
                                        ; implicit-def: $vgpr20
; %bb.10305:                            ;   in Loop: Header=BB6_9788 Depth=3
	s_and_not1_saveexec_b32 s42, s42
; %bb.10306:                            ;   in Loop: Header=BB6_9788 Depth=3
	v_cmp_lt_i32_e32 vcc_lo, -1, v20
	v_mov_b32_e32 v13, 0x7c
	s_delay_alu instid0(VALU_DEP_1)
	v_cndmask_b32_e32 v66, 0xfc, v13, vcc_lo
; %bb.10307:                            ;   in Loop: Header=BB6_9788 Depth=3
	s_or_b32 exec_lo, exec_lo, s42
.LBB6_10308:                            ;   in Loop: Header=BB6_9788 Depth=3
	s_delay_alu instid0(SALU_CYCLE_1) | instskip(SKIP_3) | instid1(VALU_DEP_2)
	s_or_b32 exec_lo, exec_lo, s13
	v_lshrrev_b16 v18, 8, v12
	v_dual_mov_b32 v20, 0 :: v_dual_mov_b32 v19, 0
	s_mov_b32 s42, exec_lo
	v_cmpx_ne_u16_e32 0, v18
	s_cbranch_execz .LBB6_10318
; %bb.10309:                            ;   in Loop: Header=BB6_9788 Depth=3
	v_bfrev_b32_e32 v19, 1
	s_mov_b32 s43, exec_lo
	v_cmpx_ne_u16_e32 0x80, v18
	s_cbranch_execz .LBB6_10317
; %bb.10310:                            ;   in Loop: Header=BB6_9788 Depth=3
	v_and_b32_e32 v13, 0xffff, v18
	s_delay_alu instid0(VALU_DEP_1) | instskip(SKIP_1) | instid1(VALU_DEP_2)
	v_and_b32_e32 v19, 0x7c, v13
	v_and_b32_e32 v22, 3, v13
	v_cmp_ne_u32_e32 vcc_lo, 0x7c, v19
                                        ; implicit-def: $vgpr19
	s_and_saveexec_b32 s13, vcc_lo
	s_delay_alu instid0(SALU_CYCLE_1)
	s_xor_b32 s13, exec_lo, s13
	s_cbranch_execz .LBB6_10314
; %bb.10311:                            ;   in Loop: Header=BB6_9788 Depth=3
	v_bfe_u32 v13, v13, 2, 5
	s_mov_b32 s72, exec_lo
	s_delay_alu instid0(VALU_DEP_1)
	v_cmpx_eq_u32_e32 0, v13
	s_cbranch_execz .LBB6_10313
; %bb.10312:                            ;   in Loop: Header=BB6_9788 Depth=3
	v_clz_i32_u32_e32 v13, v22
	s_delay_alu instid0(VALU_DEP_1) | instskip(SKIP_1) | instid1(VALU_DEP_2)
	v_min_u32_e32 v13, 32, v13
	v_mov_b32_e32 v19, v21
	v_subrev_nc_u32_e32 v22, 29, v13
	v_sub_nc_u32_e32 v13, 30, v13
	s_delay_alu instid0(VALU_DEP_2) | instskip(NEXT) | instid1(VALU_DEP_1)
	v_lshlrev_b64_e32 v[18:19], v22, v[18:19]
	v_and_b32_e32 v22, 3, v18
.LBB6_10313:                            ;   in Loop: Header=BB6_9788 Depth=3
	s_or_b32 exec_lo, exec_lo, s72
	v_lshlrev_b32_e32 v12, 16, v12
	s_delay_alu instid0(VALU_DEP_1) | instskip(NEXT) | instid1(VALU_DEP_1)
	v_and_b32_e32 v12, 0x80000000, v12
	v_lshl_add_u32 v12, v13, 23, v12
	s_delay_alu instid0(VALU_DEP_1) | instskip(NEXT) | instid1(VALU_DEP_1)
	v_lshl_or_b32 v12, v22, 21, v12
                                        ; implicit-def: $vgpr22
	v_add_nc_u32_e32 v19, 0x38000000, v12
                                        ; implicit-def: $vgpr12_vgpr13
.LBB6_10314:                            ;   in Loop: Header=BB6_9788 Depth=3
	s_and_not1_saveexec_b32 s72, s13
; %bb.10315:                            ;   in Loop: Header=BB6_9788 Depth=3
	v_cmp_lt_i16_e64 s13, -1, v12
	v_mov_b32_e32 v12, 0x7f800000
	v_cmp_eq_u32_e32 vcc_lo, 0, v22
	s_delay_alu instid0(VALU_DEP_2) | instskip(NEXT) | instid1(VALU_DEP_1)
	v_cndmask_b32_e64 v12, 0xff800000, v12, s13
	v_cndmask_b32_e32 v19, 0x7f800001, v12, vcc_lo
; %bb.10316:                            ;   in Loop: Header=BB6_9788 Depth=3
	s_or_b32 exec_lo, exec_lo, s72
.LBB6_10317:                            ;   in Loop: Header=BB6_9788 Depth=3
	s_delay_alu instid0(SALU_CYCLE_1)
	s_or_b32 exec_lo, exec_lo, s43
.LBB6_10318:                            ;   in Loop: Header=BB6_9788 Depth=3
	s_delay_alu instid0(SALU_CYCLE_1) | instskip(SKIP_2) | instid1(VALU_DEP_1)
	s_or_b32 exec_lo, exec_lo, s42
	v_lshrrev_b16 v12, 8, v39
	s_mov_b32 s42, exec_lo
	v_cmpx_ne_u16_e32 0, v12
	s_cbranch_execz .LBB6_10328
; %bb.10319:                            ;   in Loop: Header=BB6_9788 Depth=3
	v_bfrev_b32_e32 v20, 1
	s_mov_b32 s43, exec_lo
	v_cmpx_ne_u16_e32 0x80, v12
	s_cbranch_execz .LBB6_10327
; %bb.10320:                            ;   in Loop: Header=BB6_9788 Depth=3
	v_and_b32_e32 v18, 0xffff, v12
	s_delay_alu instid0(VALU_DEP_1) | instskip(SKIP_1) | instid1(VALU_DEP_2)
	v_and_b32_e32 v20, 0x7c, v18
	v_and_b32_e32 v13, 3, v18
	v_cmp_ne_u32_e32 vcc_lo, 0x7c, v20
                                        ; implicit-def: $vgpr20
	s_and_saveexec_b32 s13, vcc_lo
	s_delay_alu instid0(SALU_CYCLE_1)
	s_xor_b32 s13, exec_lo, s13
	s_cbranch_execz .LBB6_10324
; %bb.10321:                            ;   in Loop: Header=BB6_9788 Depth=3
	v_bfe_u32 v18, v18, 2, 5
	s_mov_b32 s72, exec_lo
	s_delay_alu instid0(VALU_DEP_1)
	v_cmpx_eq_u32_e32 0, v18
	s_cbranch_execz .LBB6_10323
; %bb.10322:                            ;   in Loop: Header=BB6_9788 Depth=3
	v_clz_i32_u32_e32 v13, v13
	s_delay_alu instid0(VALU_DEP_1) | instskip(SKIP_1) | instid1(VALU_DEP_2)
	v_min_u32_e32 v18, 32, v13
	v_mov_b32_e32 v13, v21
	v_subrev_nc_u32_e32 v20, 29, v18
	v_sub_nc_u32_e32 v18, 30, v18
	s_delay_alu instid0(VALU_DEP_2) | instskip(NEXT) | instid1(VALU_DEP_1)
	v_lshlrev_b64_e32 v[12:13], v20, v[12:13]
	v_and_b32_e32 v13, 3, v12
.LBB6_10323:                            ;   in Loop: Header=BB6_9788 Depth=3
	s_or_b32 exec_lo, exec_lo, s72
	v_lshlrev_b32_e32 v12, 16, v39
	s_delay_alu instid0(VALU_DEP_1) | instskip(NEXT) | instid1(VALU_DEP_1)
	v_and_b32_e32 v12, 0x80000000, v12
	v_lshl_add_u32 v12, v18, 23, v12
	s_delay_alu instid0(VALU_DEP_1) | instskip(NEXT) | instid1(VALU_DEP_1)
	v_lshl_or_b32 v12, v13, 21, v12
                                        ; implicit-def: $vgpr13
	v_add_nc_u32_e32 v20, 0x38000000, v12
.LBB6_10324:                            ;   in Loop: Header=BB6_9788 Depth=3
	s_and_not1_saveexec_b32 s72, s13
; %bb.10325:                            ;   in Loop: Header=BB6_9788 Depth=3
	v_cmp_lt_i16_e64 s13, -1, v39
	v_mov_b32_e32 v12, 0x7f800000
	v_cmp_eq_u32_e32 vcc_lo, 0, v13
	s_delay_alu instid0(VALU_DEP_2) | instskip(NEXT) | instid1(VALU_DEP_1)
	v_cndmask_b32_e64 v12, 0xff800000, v12, s13
	v_cndmask_b32_e32 v20, 0x7f800001, v12, vcc_lo
; %bb.10326:                            ;   in Loop: Header=BB6_9788 Depth=3
	s_or_b32 exec_lo, exec_lo, s72
.LBB6_10327:                            ;   in Loop: Header=BB6_9788 Depth=3
	s_delay_alu instid0(SALU_CYCLE_1)
	s_or_b32 exec_lo, exec_lo, s43
.LBB6_10328:                            ;   in Loop: Header=BB6_9788 Depth=3
	s_delay_alu instid0(SALU_CYCLE_1) | instskip(NEXT) | instid1(VALU_DEP_1)
	s_or_b32 exec_lo, exec_lo, s42
	v_dual_mul_f32 v18, v19, v20 :: v_dual_mov_b32 v23, v21
	v_mov_b32_e32 v13, v21
                                        ; implicit-def: $vgpr67
	s_mov_b32 s13, exec_lo
	s_delay_alu instid0(VALU_DEP_2) | instskip(SKIP_2) | instid1(VALU_DEP_3)
	v_and_b32_e32 v22, 0x7f800000, v18
	v_and_b32_e32 v12, 0x7fffff, v18
	v_lshrrev_b32_e32 v19, 24, v18
	v_cmpx_ne_u64_e32 0x7f800000, v[22:23]
	s_xor_b32 s42, exec_lo, s13
	s_cbranch_execz .LBB6_10342
; %bb.10329:                            ;   in Loop: Header=BB6_9788 Depth=3
	v_and_b32_e32 v22, 0x7fffffff, v18
	v_mov_b32_e32 v23, v21
	v_and_b32_e32 v20, 0x80, v19
                                        ; implicit-def: $vgpr67
	s_mov_b32 s13, exec_lo
	s_delay_alu instid0(VALU_DEP_2)
	v_cmpx_gt_u64_e32 0x47600001, v[22:23]
	s_xor_b32 s43, exec_lo, s13
	s_cbranch_execz .LBB6_10339
; %bb.10330:                            ;   in Loop: Header=BB6_9788 Depth=3
	v_mov_b32_e32 v67, 0
	s_mov_b32 s72, exec_lo
	v_cmpx_ne_u32_e32 0, v18
	s_cbranch_execz .LBB6_10338
; %bb.10331:                            ;   in Loop: Header=BB6_9788 Depth=3
	v_bfe_u32 v22, v18, 23, 8
	v_or_b32_e32 v19, 0x800000, v12
	s_delay_alu instid0(VALU_DEP_2) | instskip(SKIP_2) | instid1(VALU_DEP_2)
	v_cmp_gt_u32_e64 s13, 0x72, v22
	v_sub_nc_u32_e32 v18, 0x71, v22
	v_cmp_eq_u32_e32 vcc_lo, 0, v22
	v_dual_cndmask_b32 v18, 0, v18, s13 :: v_dual_cndmask_b32 v12, v19, v12, vcc_lo
	s_delay_alu instid0(VALU_DEP_1) | instskip(NEXT) | instid1(VALU_DEP_1)
	v_cndmask_b32_e64 v23, v18, 0x70, vcc_lo
	v_dual_add_nc_u32 v18, 21, v23 :: v_dual_add_nc_u32 v67, 20, v23
	s_delay_alu instid0(VALU_DEP_1) | instskip(NEXT) | instid1(VALU_DEP_2)
	v_lshlrev_b64_e64 v[18:19], v18, -1
	v_lshlrev_b64_e64 v[68:69], v67, 1
	s_delay_alu instid0(VALU_DEP_2) | instskip(SKIP_1) | instid1(VALU_DEP_4)
	v_bfi_b32 v18, v18, 0, v12
	v_lshrrev_b64 v[12:13], v23, v[12:13]
	v_bfi_b32 v19, v19, 0, 0
	s_delay_alu instid0(VALU_DEP_1) | instskip(NEXT) | instid1(VALU_DEP_3)
	v_cmp_eq_u64_e64 s13, v[18:19], v[68:69]
	v_mov_b64_e32 v[18:19], v[12:13]
	s_and_saveexec_b32 s73, s13
; %bb.10332:                            ;   in Loop: Header=BB6_9788 Depth=3
	v_bfe_u32 v18, v12, 21, 1
	v_mov_b32_e32 v19, v21
	s_delay_alu instid0(VALU_DEP_1) | instskip(NEXT) | instid1(VALU_DEP_1)
	v_add_nc_u64_e32 v[18:19], v[12:13], v[18:19]
	v_add_nc_u64_e32 v[18:19], -1, v[18:19]
; %bb.10333:                            ;   in Loop: Header=BB6_9788 Depth=3
	s_or_b32 exec_lo, exec_lo, s73
	v_add_nc_u32_e32 v13, 0xffffff81, v22
	v_lshrrev_b32_e32 v19, 23, v12
	s_mov_b32 s13, exec_lo
	s_delay_alu instid0(VALU_DEP_2) | instskip(NEXT) | instid1(VALU_DEP_1)
	v_cndmask_b32_e64 v13, v13, 0xffffff82, vcc_lo
	v_add3_u32 v22, v23, v13, v19
	v_and_b32_e32 v13, 0x1fffff, v18
                                        ; implicit-def: $vgpr18
	s_delay_alu instid0(VALU_DEP_1) | instskip(SKIP_1) | instid1(VALU_DEP_2)
	v_dual_add_nc_u32 v19, 14, v22 :: v_dual_add_nc_u32 v12, v13, v12
	v_mov_b32_e32 v13, v21
	v_cmpx_ne_u32_e32 0, v19
	s_xor_b32 s13, exec_lo, s13
; %bb.10334:                            ;   in Loop: Header=BB6_9788 Depth=3
	s_delay_alu instid0(VALU_DEP_2) | instskip(SKIP_1) | instid1(VALU_DEP_1)
	v_cmp_lt_u64_e32 vcc_lo, 0xffffff, v[12:13]
	v_add_nc_u32_e32 v18, 15, v22
	v_cndmask_b32_e32 v18, v19, v18, vcc_lo
	v_cndmask_b32_e64 v19, 0, 1, vcc_lo
	s_delay_alu instid0(VALU_DEP_1)
	v_lshrrev_b64 v[12:13], v19, v[12:13]
; %bb.10335:                            ;   in Loop: Header=BB6_9788 Depth=3
	s_and_not1_saveexec_b32 s13, s13
; %bb.10336:                            ;   in Loop: Header=BB6_9788 Depth=3
	s_delay_alu instid0(VALU_DEP_1)
	v_bfe_u32 v18, v12, 23, 1
; %bb.10337:                            ;   in Loop: Header=BB6_9788 Depth=3
	s_or_b32 exec_lo, exec_lo, s13
	s_delay_alu instid0(VALU_DEP_2) | instskip(NEXT) | instid1(VALU_DEP_2)
	v_lshrrev_b64 v[12:13], 21, v[12:13]
	v_cmp_gt_i32_e32 vcc_lo, 32, v18
	v_min_i32_e32 v19, 31, v18
	v_cmp_eq_u32_e64 s13, 0, v18
	s_delay_alu instid0(VALU_DEP_2) | instskip(SKIP_1) | instid1(VALU_DEP_2)
	v_dual_cndmask_b32 v13, 0, v13, vcc_lo :: v_dual_lshlrev_b32 v19, 2, v19
	v_cndmask_b32_e32 v12, 3, v12, vcc_lo
	v_and_b32_e32 v19, 0xfc, v19
	s_delay_alu instid0(VALU_DEP_2) | instskip(NEXT) | instid1(VALU_DEP_2)
	v_cmp_eq_u64_e32 vcc_lo, 0, v[12:13]
	v_and_or_b32 v12, v12, 3, v19
	s_and_b32 s13, s13, vcc_lo
	s_delay_alu instid0(VALU_DEP_1) | instid1(SALU_CYCLE_1)
	v_cndmask_b32_e64 v12, v12, 0, s13
	s_delay_alu instid0(VALU_DEP_1)
	v_or_b32_e32 v67, v12, v20
.LBB6_10338:                            ;   in Loop: Header=BB6_9788 Depth=3
	s_or_b32 exec_lo, exec_lo, s72
                                        ; implicit-def: $vgpr20
.LBB6_10339:                            ;   in Loop: Header=BB6_9788 Depth=3
	s_and_not1_saveexec_b32 s13, s43
; %bb.10340:                            ;   in Loop: Header=BB6_9788 Depth=3
	v_or_b32_e32 v67, 0x7b, v20
; %bb.10341:                            ;   in Loop: Header=BB6_9788 Depth=3
	s_or_b32 exec_lo, exec_lo, s13
                                        ; implicit-def: $vgpr18
                                        ; implicit-def: $vgpr12_vgpr13
                                        ; implicit-def: $vgpr19
.LBB6_10342:                            ;   in Loop: Header=BB6_9788 Depth=3
	s_and_not1_saveexec_b32 s13, s42
	s_cbranch_execz .LBB6_10348
; %bb.10343:                            ;   in Loop: Header=BB6_9788 Depth=3
	s_mov_b32 s42, exec_lo
                                        ; implicit-def: $vgpr67
	v_cmpx_ne_u64_e32 0, v[12:13]
	s_xor_b32 s42, exec_lo, s42
; %bb.10344:                            ;   in Loop: Header=BB6_9788 Depth=3
	v_or_b32_e32 v67, 0x7f, v19
                                        ; implicit-def: $vgpr18
; %bb.10345:                            ;   in Loop: Header=BB6_9788 Depth=3
	s_and_not1_saveexec_b32 s42, s42
; %bb.10346:                            ;   in Loop: Header=BB6_9788 Depth=3
	v_cmp_lt_i32_e32 vcc_lo, -1, v18
	v_mov_b32_e32 v12, 0x7c
	s_delay_alu instid0(VALU_DEP_1)
	v_cndmask_b32_e32 v67, 0xfc, v12, vcc_lo
; %bb.10347:                            ;   in Loop: Header=BB6_9788 Depth=3
	s_or_b32 exec_lo, exec_lo, s42
.LBB6_10348:                            ;   in Loop: Header=BB6_9788 Depth=3
	s_delay_alu instid0(SALU_CYCLE_1) | instskip(SKIP_3) | instid1(VALU_DEP_2)
	s_or_b32 exec_lo, exec_lo, s13
	v_dual_mov_b32 v13, 0 :: v_dual_lshrrev_b32 v12, 16, v51
	v_mov_b32_e32 v18, 0
	s_mov_b32 s42, exec_lo
	v_and_b32_e32 v19, 0xff, v12
	s_delay_alu instid0(VALU_DEP_1)
	v_cmpx_ne_u16_e32 0, v19
	s_cbranch_execz .LBB6_10358
; %bb.10349:                            ;   in Loop: Header=BB6_9788 Depth=3
	v_bfrev_b32_e32 v18, 1
	s_mov_b32 s43, exec_lo
	v_cmpx_ne_u16_e32 0x80, v19
	s_cbranch_execz .LBB6_10357
; %bb.10350:                            ;   in Loop: Header=BB6_9788 Depth=3
	v_and_b32_e32 v18, 0x7c0000, v51
	v_bfe_u32 v19, v51, 16, 2
	s_delay_alu instid0(VALU_DEP_2) | instskip(SKIP_1) | instid1(SALU_CYCLE_1)
	v_cmp_ne_u32_e32 vcc_lo, 0x7c0000, v18
                                        ; implicit-def: $vgpr18
	s_and_saveexec_b32 s13, vcc_lo
	s_xor_b32 s13, exec_lo, s13
	s_cbranch_execz .LBB6_10354
; %bb.10351:                            ;   in Loop: Header=BB6_9788 Depth=3
	v_bfe_u32 v18, v51, 18, 5
	s_mov_b32 s72, exec_lo
	s_delay_alu instid0(VALU_DEP_1)
	v_cmpx_eq_u32_e32 0, v18
; %bb.10352:                            ;   in Loop: Header=BB6_9788 Depth=3
	v_clz_i32_u32_e32 v18, v19
	s_delay_alu instid0(VALU_DEP_1) | instskip(NEXT) | instid1(VALU_DEP_1)
	v_min_u32_e32 v18, 32, v18
	v_subrev_nc_u32_e32 v19, 29, v18
	v_sub_nc_u32_e32 v18, 30, v18
	s_delay_alu instid0(VALU_DEP_2) | instskip(NEXT) | instid1(VALU_DEP_1)
	v_lshlrev_b64_e32 v[22:23], v19, v[12:13]
	v_and_b32_e32 v19, 3, v22
; %bb.10353:                            ;   in Loop: Header=BB6_9788 Depth=3
	s_or_b32 exec_lo, exec_lo, s72
	v_lshlrev_b32_e32 v12, 24, v12
	s_delay_alu instid0(VALU_DEP_1) | instskip(NEXT) | instid1(VALU_DEP_1)
	v_and_b32_e32 v12, 0x80000000, v12
	v_lshl_add_u32 v12, v18, 23, v12
	s_delay_alu instid0(VALU_DEP_1) | instskip(NEXT) | instid1(VALU_DEP_1)
	v_lshl_or_b32 v12, v19, 21, v12
                                        ; implicit-def: $vgpr19
	v_add_nc_u32_e32 v18, 0x38000000, v12
                                        ; implicit-def: $vgpr12
.LBB6_10354:                            ;   in Loop: Header=BB6_9788 Depth=3
	s_and_not1_saveexec_b32 s72, s13
; %bb.10355:                            ;   in Loop: Header=BB6_9788 Depth=3
	v_bfe_i32 v12, v12, 0, 8
	v_cmp_eq_u32_e32 vcc_lo, 0, v19
	s_delay_alu instid0(VALU_DEP_2) | instskip(SKIP_1) | instid1(VALU_DEP_1)
	v_cmp_lt_i16_e64 s13, -1, v12
	v_mov_b32_e32 v12, 0x7f800000
	v_cndmask_b32_e64 v12, 0xff800000, v12, s13
	s_delay_alu instid0(VALU_DEP_1)
	v_cndmask_b32_e32 v18, 0x7f800001, v12, vcc_lo
; %bb.10356:                            ;   in Loop: Header=BB6_9788 Depth=3
	s_or_b32 exec_lo, exec_lo, s72
.LBB6_10357:                            ;   in Loop: Header=BB6_9788 Depth=3
	s_delay_alu instid0(SALU_CYCLE_1)
	s_or_b32 exec_lo, exec_lo, s43
.LBB6_10358:                            ;   in Loop: Header=BB6_9788 Depth=3
	s_delay_alu instid0(SALU_CYCLE_1) | instskip(SKIP_2) | instid1(VALU_DEP_1)
	s_or_b32 exec_lo, exec_lo, s42
	v_lshrrev_b32_e32 v12, 16, v39
	s_mov_b32 s42, exec_lo
	v_and_b32_e32 v19, 0xff, v12
	s_delay_alu instid0(VALU_DEP_1)
	v_cmpx_ne_u16_e32 0, v19
	s_cbranch_execz .LBB6_10368
; %bb.10359:                            ;   in Loop: Header=BB6_9788 Depth=3
	v_bfrev_b32_e32 v13, 1
	s_mov_b32 s43, exec_lo
	v_cmpx_ne_u16_e32 0x80, v19
	s_cbranch_execz .LBB6_10367
; %bb.10360:                            ;   in Loop: Header=BB6_9788 Depth=3
	v_and_b32_e32 v13, 0x7c0000, v39
	v_bfe_u32 v19, v39, 16, 2
	s_delay_alu instid0(VALU_DEP_2) | instskip(SKIP_1) | instid1(SALU_CYCLE_1)
	v_cmp_ne_u32_e32 vcc_lo, 0x7c0000, v13
                                        ; implicit-def: $vgpr13
	s_and_saveexec_b32 s13, vcc_lo
	s_xor_b32 s13, exec_lo, s13
	s_cbranch_execz .LBB6_10364
; %bb.10361:                            ;   in Loop: Header=BB6_9788 Depth=3
	v_bfe_u32 v13, v39, 18, 5
	s_mov_b32 s72, exec_lo
	s_delay_alu instid0(VALU_DEP_1)
	v_cmpx_eq_u32_e32 0, v13
; %bb.10362:                            ;   in Loop: Header=BB6_9788 Depth=3
	v_clz_i32_u32_e32 v13, v19
	s_delay_alu instid0(VALU_DEP_1) | instskip(NEXT) | instid1(VALU_DEP_1)
	v_min_u32_e32 v13, 32, v13
	v_subrev_nc_u32_e32 v19, 29, v13
	s_delay_alu instid0(VALU_DEP_1) | instskip(NEXT) | instid1(VALU_DEP_1)
	v_lshlrev_b64_e32 v[22:23], v19, v[12:13]
	v_dual_sub_nc_u32 v13, 30, v13 :: v_dual_bitop2_b32 v19, 3, v22 bitop3:0x40
; %bb.10363:                            ;   in Loop: Header=BB6_9788 Depth=3
	s_or_b32 exec_lo, exec_lo, s72
	v_lshlrev_b32_e32 v12, 24, v12
	s_delay_alu instid0(VALU_DEP_1) | instskip(NEXT) | instid1(VALU_DEP_1)
	v_and_b32_e32 v12, 0x80000000, v12
	v_lshl_add_u32 v12, v13, 23, v12
	s_delay_alu instid0(VALU_DEP_1) | instskip(NEXT) | instid1(VALU_DEP_1)
	v_lshl_or_b32 v12, v19, 21, v12
                                        ; implicit-def: $vgpr19
	v_add_nc_u32_e32 v13, 0x38000000, v12
                                        ; implicit-def: $vgpr12
.LBB6_10364:                            ;   in Loop: Header=BB6_9788 Depth=3
	s_and_not1_saveexec_b32 s72, s13
; %bb.10365:                            ;   in Loop: Header=BB6_9788 Depth=3
	v_bfe_i32 v12, v12, 0, 8
	v_cmp_eq_u32_e32 vcc_lo, 0, v19
	s_delay_alu instid0(VALU_DEP_2) | instskip(SKIP_1) | instid1(VALU_DEP_1)
	v_cmp_lt_i16_e64 s13, -1, v12
	v_mov_b32_e32 v12, 0x7f800000
	v_cndmask_b32_e64 v12, 0xff800000, v12, s13
	s_delay_alu instid0(VALU_DEP_1)
	v_cndmask_b32_e32 v13, 0x7f800001, v12, vcc_lo
; %bb.10366:                            ;   in Loop: Header=BB6_9788 Depth=3
	s_or_b32 exec_lo, exec_lo, s72
.LBB6_10367:                            ;   in Loop: Header=BB6_9788 Depth=3
	s_delay_alu instid0(SALU_CYCLE_1)
	s_or_b32 exec_lo, exec_lo, s43
.LBB6_10368:                            ;   in Loop: Header=BB6_9788 Depth=3
	s_delay_alu instid0(SALU_CYCLE_1) | instskip(NEXT) | instid1(VALU_DEP_1)
	s_or_b32 exec_lo, exec_lo, s42
	v_dual_mul_f32 v18, v18, v13 :: v_dual_mov_b32 v23, v21
	v_mov_b32_e32 v13, v21
                                        ; implicit-def: $vgpr68
	s_mov_b32 s13, exec_lo
	s_delay_alu instid0(VALU_DEP_2) | instskip(SKIP_2) | instid1(VALU_DEP_3)
	v_and_b32_e32 v22, 0x7f800000, v18
	v_and_b32_e32 v12, 0x7fffff, v18
	v_lshrrev_b32_e32 v19, 24, v18
	v_cmpx_ne_u64_e32 0x7f800000, v[22:23]
	s_xor_b32 s42, exec_lo, s13
	s_cbranch_execz .LBB6_10382
; %bb.10369:                            ;   in Loop: Header=BB6_9788 Depth=3
	v_and_b32_e32 v22, 0x7fffffff, v18
	v_mov_b32_e32 v23, v21
	v_and_b32_e32 v20, 0x80, v19
                                        ; implicit-def: $vgpr68
	s_mov_b32 s13, exec_lo
	s_delay_alu instid0(VALU_DEP_2)
	v_cmpx_gt_u64_e32 0x47600001, v[22:23]
	s_xor_b32 s43, exec_lo, s13
	s_cbranch_execz .LBB6_10379
; %bb.10370:                            ;   in Loop: Header=BB6_9788 Depth=3
	v_mov_b32_e32 v68, 0
	s_mov_b32 s72, exec_lo
	v_cmpx_ne_u32_e32 0, v18
	s_cbranch_execz .LBB6_10378
; %bb.10371:                            ;   in Loop: Header=BB6_9788 Depth=3
	v_bfe_u32 v22, v18, 23, 8
	v_or_b32_e32 v19, 0x800000, v12
	s_delay_alu instid0(VALU_DEP_2) | instskip(SKIP_2) | instid1(VALU_DEP_2)
	v_cmp_gt_u32_e64 s13, 0x72, v22
	v_sub_nc_u32_e32 v18, 0x71, v22
	v_cmp_eq_u32_e32 vcc_lo, 0, v22
	v_dual_cndmask_b32 v18, 0, v18, s13 :: v_dual_cndmask_b32 v12, v19, v12, vcc_lo
	s_delay_alu instid0(VALU_DEP_1) | instskip(NEXT) | instid1(VALU_DEP_1)
	v_cndmask_b32_e64 v23, v18, 0x70, vcc_lo
	v_dual_add_nc_u32 v18, 21, v23 :: v_dual_add_nc_u32 v68, 20, v23
	s_delay_alu instid0(VALU_DEP_1) | instskip(NEXT) | instid1(VALU_DEP_2)
	v_lshlrev_b64_e64 v[18:19], v18, -1
	v_lshlrev_b64_e64 v[68:69], v68, 1
	s_delay_alu instid0(VALU_DEP_2) | instskip(SKIP_1) | instid1(VALU_DEP_4)
	v_bfi_b32 v18, v18, 0, v12
	v_lshrrev_b64 v[12:13], v23, v[12:13]
	v_bfi_b32 v19, v19, 0, 0
	s_delay_alu instid0(VALU_DEP_1) | instskip(NEXT) | instid1(VALU_DEP_3)
	v_cmp_eq_u64_e64 s13, v[18:19], v[68:69]
	v_mov_b64_e32 v[18:19], v[12:13]
	s_and_saveexec_b32 s73, s13
; %bb.10372:                            ;   in Loop: Header=BB6_9788 Depth=3
	v_bfe_u32 v18, v12, 21, 1
	v_mov_b32_e32 v19, v21
	s_delay_alu instid0(VALU_DEP_1) | instskip(NEXT) | instid1(VALU_DEP_1)
	v_add_nc_u64_e32 v[18:19], v[12:13], v[18:19]
	v_add_nc_u64_e32 v[18:19], -1, v[18:19]
; %bb.10373:                            ;   in Loop: Header=BB6_9788 Depth=3
	s_or_b32 exec_lo, exec_lo, s73
	v_add_nc_u32_e32 v13, 0xffffff81, v22
	v_lshrrev_b32_e32 v19, 23, v12
	s_mov_b32 s13, exec_lo
	s_delay_alu instid0(VALU_DEP_2) | instskip(NEXT) | instid1(VALU_DEP_1)
	v_cndmask_b32_e64 v13, v13, 0xffffff82, vcc_lo
	v_add3_u32 v22, v23, v13, v19
	v_and_b32_e32 v13, 0x1fffff, v18
                                        ; implicit-def: $vgpr18
	s_delay_alu instid0(VALU_DEP_1) | instskip(SKIP_1) | instid1(VALU_DEP_2)
	v_dual_add_nc_u32 v19, 14, v22 :: v_dual_add_nc_u32 v12, v13, v12
	v_mov_b32_e32 v13, v21
	v_cmpx_ne_u32_e32 0, v19
	s_xor_b32 s13, exec_lo, s13
; %bb.10374:                            ;   in Loop: Header=BB6_9788 Depth=3
	s_delay_alu instid0(VALU_DEP_2) | instskip(SKIP_1) | instid1(VALU_DEP_1)
	v_cmp_lt_u64_e32 vcc_lo, 0xffffff, v[12:13]
	v_add_nc_u32_e32 v18, 15, v22
	v_cndmask_b32_e32 v18, v19, v18, vcc_lo
	v_cndmask_b32_e64 v19, 0, 1, vcc_lo
	s_delay_alu instid0(VALU_DEP_1)
	v_lshrrev_b64 v[12:13], v19, v[12:13]
; %bb.10375:                            ;   in Loop: Header=BB6_9788 Depth=3
	s_and_not1_saveexec_b32 s13, s13
; %bb.10376:                            ;   in Loop: Header=BB6_9788 Depth=3
	s_delay_alu instid0(VALU_DEP_1)
	v_bfe_u32 v18, v12, 23, 1
; %bb.10377:                            ;   in Loop: Header=BB6_9788 Depth=3
	s_or_b32 exec_lo, exec_lo, s13
	s_delay_alu instid0(VALU_DEP_2) | instskip(NEXT) | instid1(VALU_DEP_2)
	v_lshrrev_b64 v[12:13], 21, v[12:13]
	v_cmp_gt_i32_e32 vcc_lo, 32, v18
	v_min_i32_e32 v19, 31, v18
	v_cmp_eq_u32_e64 s13, 0, v18
	s_delay_alu instid0(VALU_DEP_2) | instskip(SKIP_1) | instid1(VALU_DEP_2)
	v_dual_cndmask_b32 v13, 0, v13, vcc_lo :: v_dual_lshlrev_b32 v19, 2, v19
	v_cndmask_b32_e32 v12, 3, v12, vcc_lo
	v_and_b32_e32 v19, 0xfc, v19
	s_delay_alu instid0(VALU_DEP_2) | instskip(NEXT) | instid1(VALU_DEP_2)
	v_cmp_eq_u64_e32 vcc_lo, 0, v[12:13]
	v_and_or_b32 v12, v12, 3, v19
	s_and_b32 s13, s13, vcc_lo
	s_delay_alu instid0(VALU_DEP_1) | instid1(SALU_CYCLE_1)
	v_cndmask_b32_e64 v12, v12, 0, s13
	s_delay_alu instid0(VALU_DEP_1)
	v_or_b32_e32 v68, v12, v20
.LBB6_10378:                            ;   in Loop: Header=BB6_9788 Depth=3
	s_or_b32 exec_lo, exec_lo, s72
                                        ; implicit-def: $vgpr20
.LBB6_10379:                            ;   in Loop: Header=BB6_9788 Depth=3
	s_and_not1_saveexec_b32 s13, s43
; %bb.10380:                            ;   in Loop: Header=BB6_9788 Depth=3
	v_or_b32_e32 v68, 0x7b, v20
; %bb.10381:                            ;   in Loop: Header=BB6_9788 Depth=3
	s_or_b32 exec_lo, exec_lo, s13
                                        ; implicit-def: $vgpr18
                                        ; implicit-def: $vgpr12_vgpr13
                                        ; implicit-def: $vgpr19
.LBB6_10382:                            ;   in Loop: Header=BB6_9788 Depth=3
	s_and_not1_saveexec_b32 s13, s42
	s_cbranch_execz .LBB6_10388
; %bb.10383:                            ;   in Loop: Header=BB6_9788 Depth=3
	s_mov_b32 s42, exec_lo
                                        ; implicit-def: $vgpr68
	v_cmpx_ne_u64_e32 0, v[12:13]
	s_xor_b32 s42, exec_lo, s42
; %bb.10384:                            ;   in Loop: Header=BB6_9788 Depth=3
	v_or_b32_e32 v68, 0x7f, v19
                                        ; implicit-def: $vgpr18
; %bb.10385:                            ;   in Loop: Header=BB6_9788 Depth=3
	s_and_not1_saveexec_b32 s42, s42
; %bb.10386:                            ;   in Loop: Header=BB6_9788 Depth=3
	v_cmp_lt_i32_e32 vcc_lo, -1, v18
	v_mov_b32_e32 v12, 0x7c
	s_delay_alu instid0(VALU_DEP_1)
	v_cndmask_b32_e32 v68, 0xfc, v12, vcc_lo
; %bb.10387:                            ;   in Loop: Header=BB6_9788 Depth=3
	s_or_b32 exec_lo, exec_lo, s42
.LBB6_10388:                            ;   in Loop: Header=BB6_9788 Depth=3
	s_delay_alu instid0(SALU_CYCLE_1)
	s_or_b32 exec_lo, exec_lo, s13
	v_dual_mov_b32 v13, 0 :: v_dual_mov_b32 v18, 0
	s_mov_b32 s42, exec_lo
	v_cmpx_lt_u64_e64 s[22:23], v[50:51]
	s_cbranch_execz .LBB6_10398
; %bb.10389:                            ;   in Loop: Header=BB6_9788 Depth=3
	v_lshrrev_b32_e32 v12, 24, v51
	v_bfrev_b32_e32 v18, 1
	s_mov_b32 s43, exec_lo
	s_delay_alu instid0(VALU_DEP_2)
	v_cmpx_ne_u32_e32 0x80, v12
	s_cbranch_execz .LBB6_10397
; %bb.10390:                            ;   in Loop: Header=BB6_9788 Depth=3
	v_and_b32_e32 v18, 0x7c000000, v51
	v_bfe_u32 v19, v51, 24, 2
	s_delay_alu instid0(VALU_DEP_2) | instskip(SKIP_1) | instid1(SALU_CYCLE_1)
	v_cmp_ne_u32_e32 vcc_lo, 0x7c000000, v18
                                        ; implicit-def: $vgpr18
	s_and_saveexec_b32 s13, vcc_lo
	s_xor_b32 s13, exec_lo, s13
	s_cbranch_execz .LBB6_10394
; %bb.10391:                            ;   in Loop: Header=BB6_9788 Depth=3
	v_bfe_u32 v18, v51, 26, 5
	s_mov_b32 s72, exec_lo
	s_delay_alu instid0(VALU_DEP_1)
	v_cmpx_eq_u32_e32 0, v18
; %bb.10392:                            ;   in Loop: Header=BB6_9788 Depth=3
	v_clz_i32_u32_e32 v18, v19
	s_delay_alu instid0(VALU_DEP_1) | instskip(NEXT) | instid1(VALU_DEP_1)
	v_min_u32_e32 v18, 32, v18
	v_subrev_nc_u32_e32 v19, 29, v18
	v_sub_nc_u32_e32 v18, 30, v18
	s_delay_alu instid0(VALU_DEP_2) | instskip(NEXT) | instid1(VALU_DEP_1)
	v_lshlrev_b64_e32 v[22:23], v19, v[12:13]
	v_and_b32_e32 v19, 3, v22
; %bb.10393:                            ;   in Loop: Header=BB6_9788 Depth=3
	s_or_b32 exec_lo, exec_lo, s72
	v_and_b32_e32 v12, 0x80000000, v51
                                        ; implicit-def: $vgpr50_vgpr51
	s_delay_alu instid0(VALU_DEP_1) | instskip(NEXT) | instid1(VALU_DEP_1)
	v_lshl_add_u32 v12, v18, 23, v12
	v_lshl_or_b32 v12, v19, 21, v12
                                        ; implicit-def: $vgpr19
	s_delay_alu instid0(VALU_DEP_1)
	v_add_nc_u32_e32 v18, 0x38000000, v12
.LBB6_10394:                            ;   in Loop: Header=BB6_9788 Depth=3
	s_and_not1_saveexec_b32 s72, s13
; %bb.10395:                            ;   in Loop: Header=BB6_9788 Depth=3
	v_cmp_lt_i64_e64 s13, -1, v[50:51]
	v_mov_b32_e32 v12, 0x7f800000
	v_cmp_eq_u32_e32 vcc_lo, 0, v19
	s_delay_alu instid0(VALU_DEP_2) | instskip(NEXT) | instid1(VALU_DEP_1)
	v_cndmask_b32_e64 v12, 0xff800000, v12, s13
	v_cndmask_b32_e32 v18, 0x7f800001, v12, vcc_lo
; %bb.10396:                            ;   in Loop: Header=BB6_9788 Depth=3
	s_or_b32 exec_lo, exec_lo, s72
.LBB6_10397:                            ;   in Loop: Header=BB6_9788 Depth=3
	s_delay_alu instid0(SALU_CYCLE_1)
	s_or_b32 exec_lo, exec_lo, s43
.LBB6_10398:                            ;   in Loop: Header=BB6_9788 Depth=3
	s_delay_alu instid0(SALU_CYCLE_1) | instskip(NEXT) | instid1(SALU_CYCLE_1)
	s_or_b32 exec_lo, exec_lo, s42
	s_mov_b32 s42, exec_lo
	v_cmpx_lt_u64_e64 s[22:23], v[38:39]
	s_cbranch_execz .LBB6_10408
; %bb.10399:                            ;   in Loop: Header=BB6_9788 Depth=3
	v_lshrrev_b32_e32 v12, 24, v39
	v_bfrev_b32_e32 v13, 1
	s_mov_b32 s43, exec_lo
	s_delay_alu instid0(VALU_DEP_2)
	v_cmpx_ne_u32_e32 0x80, v12
	s_cbranch_execz .LBB6_10407
; %bb.10400:                            ;   in Loop: Header=BB6_9788 Depth=3
	v_and_b32_e32 v13, 0x7c000000, v39
	v_bfe_u32 v19, v39, 24, 2
	s_delay_alu instid0(VALU_DEP_2) | instskip(SKIP_1) | instid1(SALU_CYCLE_1)
	v_cmp_ne_u32_e32 vcc_lo, 0x7c000000, v13
                                        ; implicit-def: $vgpr13
	s_and_saveexec_b32 s13, vcc_lo
	s_xor_b32 s13, exec_lo, s13
	s_cbranch_execz .LBB6_10404
; %bb.10401:                            ;   in Loop: Header=BB6_9788 Depth=3
	v_bfe_u32 v13, v39, 26, 5
	s_mov_b32 s72, exec_lo
	s_delay_alu instid0(VALU_DEP_1)
	v_cmpx_eq_u32_e32 0, v13
; %bb.10402:                            ;   in Loop: Header=BB6_9788 Depth=3
	v_clz_i32_u32_e32 v13, v19
	s_delay_alu instid0(VALU_DEP_1) | instskip(NEXT) | instid1(VALU_DEP_1)
	v_min_u32_e32 v19, 32, v13
	v_subrev_nc_u32_e32 v13, 29, v19
	s_delay_alu instid0(VALU_DEP_1) | instskip(NEXT) | instid1(VALU_DEP_1)
	v_lshlrev_b64_e32 v[12:13], v13, v[12:13]
	v_dual_sub_nc_u32 v13, 30, v19 :: v_dual_bitop2_b32 v19, 3, v12 bitop3:0x40
; %bb.10403:                            ;   in Loop: Header=BB6_9788 Depth=3
	s_or_b32 exec_lo, exec_lo, s72
	v_and_b32_e32 v12, 0x80000000, v39
                                        ; implicit-def: $vgpr38_vgpr39
	s_delay_alu instid0(VALU_DEP_1) | instskip(NEXT) | instid1(VALU_DEP_1)
	v_lshl_add_u32 v12, v13, 23, v12
	v_lshl_or_b32 v12, v19, 21, v12
                                        ; implicit-def: $vgpr19
	s_delay_alu instid0(VALU_DEP_1)
	v_add_nc_u32_e32 v13, 0x38000000, v12
.LBB6_10404:                            ;   in Loop: Header=BB6_9788 Depth=3
	s_and_not1_saveexec_b32 s72, s13
; %bb.10405:                            ;   in Loop: Header=BB6_9788 Depth=3
	v_cmp_lt_i64_e64 s13, -1, v[38:39]
	v_mov_b32_e32 v12, 0x7f800000
	v_cmp_eq_u32_e32 vcc_lo, 0, v19
	s_delay_alu instid0(VALU_DEP_2) | instskip(NEXT) | instid1(VALU_DEP_1)
	v_cndmask_b32_e64 v12, 0xff800000, v12, s13
	v_cndmask_b32_e32 v13, 0x7f800001, v12, vcc_lo
; %bb.10406:                            ;   in Loop: Header=BB6_9788 Depth=3
	s_or_b32 exec_lo, exec_lo, s72
.LBB6_10407:                            ;   in Loop: Header=BB6_9788 Depth=3
	s_delay_alu instid0(SALU_CYCLE_1)
	s_or_b32 exec_lo, exec_lo, s43
.LBB6_10408:                            ;   in Loop: Header=BB6_9788 Depth=3
	s_delay_alu instid0(SALU_CYCLE_1) | instskip(NEXT) | instid1(VALU_DEP_1)
	s_or_b32 exec_lo, exec_lo, s42
	v_dual_mul_f32 v18, v18, v13 :: v_dual_mov_b32 v23, v21
	v_mov_b32_e32 v13, v21
                                        ; implicit-def: $vgpr38
	s_mov_b32 s13, exec_lo
	s_delay_alu instid0(VALU_DEP_2) | instskip(SKIP_2) | instid1(VALU_DEP_3)
	v_and_b32_e32 v22, 0x7f800000, v18
	v_and_b32_e32 v12, 0x7fffff, v18
	v_lshrrev_b32_e32 v19, 24, v18
	v_cmpx_ne_u64_e32 0x7f800000, v[22:23]
	s_xor_b32 s42, exec_lo, s13
	s_cbranch_execz .LBB6_10422
; %bb.10409:                            ;   in Loop: Header=BB6_9788 Depth=3
	v_and_b32_e32 v22, 0x7fffffff, v18
	v_mov_b32_e32 v23, v21
	v_and_b32_e32 v20, 0x80, v19
                                        ; implicit-def: $vgpr38
	s_mov_b32 s13, exec_lo
	s_delay_alu instid0(VALU_DEP_2)
	v_cmpx_gt_u64_e32 0x47600001, v[22:23]
	s_xor_b32 s43, exec_lo, s13
	s_cbranch_execz .LBB6_10419
; %bb.10410:                            ;   in Loop: Header=BB6_9788 Depth=3
	v_mov_b32_e32 v38, 0
	s_mov_b32 s72, exec_lo
	v_cmpx_ne_u32_e32 0, v18
	s_cbranch_execz .LBB6_10418
; %bb.10411:                            ;   in Loop: Header=BB6_9788 Depth=3
	v_bfe_u32 v22, v18, 23, 8
	v_or_b32_e32 v19, 0x800000, v12
	s_delay_alu instid0(VALU_DEP_2) | instskip(SKIP_2) | instid1(VALU_DEP_2)
	v_cmp_gt_u32_e64 s13, 0x72, v22
	v_sub_nc_u32_e32 v18, 0x71, v22
	v_cmp_eq_u32_e32 vcc_lo, 0, v22
	v_dual_cndmask_b32 v18, 0, v18, s13 :: v_dual_cndmask_b32 v12, v19, v12, vcc_lo
	s_delay_alu instid0(VALU_DEP_1) | instskip(NEXT) | instid1(VALU_DEP_1)
	v_cndmask_b32_e64 v23, v18, 0x70, vcc_lo
	v_dual_add_nc_u32 v18, 21, v23 :: v_dual_add_nc_u32 v38, 20, v23
	s_delay_alu instid0(VALU_DEP_1) | instskip(NEXT) | instid1(VALU_DEP_2)
	v_lshlrev_b64_e64 v[18:19], v18, -1
	v_lshlrev_b64_e64 v[38:39], v38, 1
	s_delay_alu instid0(VALU_DEP_2) | instskip(SKIP_1) | instid1(VALU_DEP_4)
	v_bfi_b32 v18, v18, 0, v12
	v_lshrrev_b64 v[12:13], v23, v[12:13]
	v_bfi_b32 v19, v19, 0, 0
	s_delay_alu instid0(VALU_DEP_1) | instskip(NEXT) | instid1(VALU_DEP_3)
	v_cmp_eq_u64_e64 s13, v[18:19], v[38:39]
	v_mov_b64_e32 v[18:19], v[12:13]
	s_and_saveexec_b32 s73, s13
; %bb.10412:                            ;   in Loop: Header=BB6_9788 Depth=3
	v_bfe_u32 v18, v12, 21, 1
	v_mov_b32_e32 v19, v21
	s_delay_alu instid0(VALU_DEP_1) | instskip(NEXT) | instid1(VALU_DEP_1)
	v_add_nc_u64_e32 v[18:19], v[12:13], v[18:19]
	v_add_nc_u64_e32 v[18:19], -1, v[18:19]
; %bb.10413:                            ;   in Loop: Header=BB6_9788 Depth=3
	s_or_b32 exec_lo, exec_lo, s73
	v_add_nc_u32_e32 v13, 0xffffff81, v22
	v_lshrrev_b32_e32 v19, 23, v12
	s_mov_b32 s13, exec_lo
	s_delay_alu instid0(VALU_DEP_2) | instskip(NEXT) | instid1(VALU_DEP_1)
	v_cndmask_b32_e64 v13, v13, 0xffffff82, vcc_lo
	v_add3_u32 v22, v23, v13, v19
	v_and_b32_e32 v13, 0x1fffff, v18
                                        ; implicit-def: $vgpr18
	s_delay_alu instid0(VALU_DEP_1) | instskip(SKIP_1) | instid1(VALU_DEP_2)
	v_dual_add_nc_u32 v19, 14, v22 :: v_dual_add_nc_u32 v12, v13, v12
	v_mov_b32_e32 v13, v21
	v_cmpx_ne_u32_e32 0, v19
	s_xor_b32 s13, exec_lo, s13
; %bb.10414:                            ;   in Loop: Header=BB6_9788 Depth=3
	s_delay_alu instid0(VALU_DEP_2) | instskip(SKIP_1) | instid1(VALU_DEP_1)
	v_cmp_lt_u64_e32 vcc_lo, 0xffffff, v[12:13]
	v_add_nc_u32_e32 v18, 15, v22
	v_cndmask_b32_e32 v18, v19, v18, vcc_lo
	v_cndmask_b32_e64 v19, 0, 1, vcc_lo
	s_delay_alu instid0(VALU_DEP_1)
	v_lshrrev_b64 v[12:13], v19, v[12:13]
; %bb.10415:                            ;   in Loop: Header=BB6_9788 Depth=3
	s_and_not1_saveexec_b32 s13, s13
; %bb.10416:                            ;   in Loop: Header=BB6_9788 Depth=3
	s_delay_alu instid0(VALU_DEP_1)
	v_bfe_u32 v18, v12, 23, 1
; %bb.10417:                            ;   in Loop: Header=BB6_9788 Depth=3
	s_or_b32 exec_lo, exec_lo, s13
	s_delay_alu instid0(VALU_DEP_2) | instskip(NEXT) | instid1(VALU_DEP_2)
	v_lshrrev_b64 v[12:13], 21, v[12:13]
	v_cmp_gt_i32_e32 vcc_lo, 32, v18
	v_min_i32_e32 v19, 31, v18
	v_cmp_eq_u32_e64 s13, 0, v18
	s_delay_alu instid0(VALU_DEP_2) | instskip(SKIP_1) | instid1(VALU_DEP_2)
	v_dual_cndmask_b32 v13, 0, v13, vcc_lo :: v_dual_lshlrev_b32 v19, 2, v19
	v_cndmask_b32_e32 v12, 3, v12, vcc_lo
	v_and_b32_e32 v19, 0xfc, v19
	s_delay_alu instid0(VALU_DEP_2) | instskip(NEXT) | instid1(VALU_DEP_2)
	v_cmp_eq_u64_e32 vcc_lo, 0, v[12:13]
	v_and_or_b32 v12, v12, 3, v19
	s_and_b32 s13, s13, vcc_lo
	s_delay_alu instid0(VALU_DEP_1) | instid1(SALU_CYCLE_1)
	v_cndmask_b32_e64 v12, v12, 0, s13
	s_delay_alu instid0(VALU_DEP_1)
	v_or_b32_e32 v38, v12, v20
.LBB6_10418:                            ;   in Loop: Header=BB6_9788 Depth=3
	s_or_b32 exec_lo, exec_lo, s72
                                        ; implicit-def: $vgpr20
.LBB6_10419:                            ;   in Loop: Header=BB6_9788 Depth=3
	s_and_not1_saveexec_b32 s13, s43
; %bb.10420:                            ;   in Loop: Header=BB6_9788 Depth=3
	v_or_b32_e32 v38, 0x7b, v20
; %bb.10421:                            ;   in Loop: Header=BB6_9788 Depth=3
	s_or_b32 exec_lo, exec_lo, s13
                                        ; implicit-def: $vgpr18
                                        ; implicit-def: $vgpr12_vgpr13
                                        ; implicit-def: $vgpr19
.LBB6_10422:                            ;   in Loop: Header=BB6_9788 Depth=3
	s_and_not1_saveexec_b32 s13, s42
	s_cbranch_execz .LBB6_10428
; %bb.10423:                            ;   in Loop: Header=BB6_9788 Depth=3
	s_mov_b32 s42, exec_lo
                                        ; implicit-def: $vgpr38
	v_cmpx_ne_u64_e32 0, v[12:13]
	s_xor_b32 s42, exec_lo, s42
; %bb.10424:                            ;   in Loop: Header=BB6_9788 Depth=3
	v_or_b32_e32 v38, 0x7f, v19
                                        ; implicit-def: $vgpr18
; %bb.10425:                            ;   in Loop: Header=BB6_9788 Depth=3
	s_and_not1_saveexec_b32 s42, s42
; %bb.10426:                            ;   in Loop: Header=BB6_9788 Depth=3
	v_cmp_lt_i32_e32 vcc_lo, -1, v18
	v_mov_b32_e32 v12, 0x7c
	s_delay_alu instid0(VALU_DEP_1)
	v_cndmask_b32_e32 v38, 0xfc, v12, vcc_lo
; %bb.10427:                            ;   in Loop: Header=BB6_9788 Depth=3
	s_or_b32 exec_lo, exec_lo, s42
.LBB6_10428:                            ;   in Loop: Header=BB6_9788 Depth=3
	s_delay_alu instid0(SALU_CYCLE_1) | instskip(SKIP_2) | instid1(VALU_DEP_2)
	s_or_b32 exec_lo, exec_lo, s13
	v_and_b32_e32 v13, 0xff, v32
	v_mov_b32_e32 v12, 0
	v_cmp_ne_u16_e32 vcc_lo, 0, v13
	v_mov_b32_e32 v13, 0
	s_and_saveexec_b32 s42, vcc_lo
	s_cbranch_execz .LBB6_10438
; %bb.10429:                            ;   in Loop: Header=BB6_9788 Depth=3
	v_bfe_i32 v19, v32, 0, 8
	v_bfrev_b32_e32 v13, 1
	s_mov_b32 s43, exec_lo
	s_delay_alu instid0(VALU_DEP_2)
	v_cmpx_ne_u16_e32 0xff80, v19
	s_cbranch_execz .LBB6_10437
; %bb.10430:                            ;   in Loop: Header=BB6_9788 Depth=3
	v_and_b32_e32 v13, 0x7c, v32
	v_and_b32_e32 v18, 3, v32
	s_delay_alu instid0(VALU_DEP_2) | instskip(SKIP_1) | instid1(SALU_CYCLE_1)
	v_cmp_ne_u32_e32 vcc_lo, 0x7c, v13
                                        ; implicit-def: $vgpr13
	s_and_saveexec_b32 s13, vcc_lo
	s_xor_b32 s13, exec_lo, s13
	s_cbranch_execz .LBB6_10434
; %bb.10431:                            ;   in Loop: Header=BB6_9788 Depth=3
	v_bfe_u32 v13, v32, 2, 5
	s_mov_b32 s72, exec_lo
	s_delay_alu instid0(VALU_DEP_1)
	v_cmpx_eq_u32_e32 0, v13
; %bb.10432:                            ;   in Loop: Header=BB6_9788 Depth=3
	v_clz_i32_u32_e32 v13, v18
	s_delay_alu instid0(VALU_DEP_1) | instskip(NEXT) | instid1(VALU_DEP_1)
	v_min_u32_e32 v13, 32, v13
	v_subrev_nc_u32_e32 v18, 29, v13
	s_delay_alu instid0(VALU_DEP_1) | instskip(NEXT) | instid1(VALU_DEP_1)
	v_lshlrev_b64_e32 v[18:19], v18, v[32:33]
	v_dual_sub_nc_u32 v13, 30, v13 :: v_dual_bitop2_b32 v18, 3, v18 bitop3:0x40
; %bb.10433:                            ;   in Loop: Header=BB6_9788 Depth=3
	s_or_b32 exec_lo, exec_lo, s72
	v_lshlrev_b32_e32 v19, 24, v32
	s_delay_alu instid0(VALU_DEP_1) | instskip(NEXT) | instid1(VALU_DEP_1)
	v_and_b32_e32 v19, 0x80000000, v19
	v_lshl_add_u32 v13, v13, 23, v19
                                        ; implicit-def: $vgpr19
	s_delay_alu instid0(VALU_DEP_1) | instskip(NEXT) | instid1(VALU_DEP_1)
	v_lshl_or_b32 v13, v18, 21, v13
                                        ; implicit-def: $vgpr18
	v_add_nc_u32_e32 v13, 0x38000000, v13
.LBB6_10434:                            ;   in Loop: Header=BB6_9788 Depth=3
	s_and_not1_saveexec_b32 s72, s13
; %bb.10435:                            ;   in Loop: Header=BB6_9788 Depth=3
	v_cmp_lt_i16_e64 s13, -1, v19
	v_mov_b32_e32 v13, 0x7f800000
	v_cmp_eq_u32_e32 vcc_lo, 0, v18
	s_delay_alu instid0(VALU_DEP_2) | instskip(NEXT) | instid1(VALU_DEP_1)
	v_cndmask_b32_e64 v13, 0xff800000, v13, s13
	v_cndmask_b32_e32 v13, 0x7f800001, v13, vcc_lo
; %bb.10436:                            ;   in Loop: Header=BB6_9788 Depth=3
	s_or_b32 exec_lo, exec_lo, s72
.LBB6_10437:                            ;   in Loop: Header=BB6_9788 Depth=3
	s_delay_alu instid0(SALU_CYCLE_1)
	s_or_b32 exec_lo, exec_lo, s43
.LBB6_10438:                            ;   in Loop: Header=BB6_9788 Depth=3
	s_delay_alu instid0(SALU_CYCLE_1) | instskip(SKIP_3) | instid1(VALU_DEP_1)
	s_or_b32 exec_lo, exec_lo, s42
	s_wait_loadcnt 0x2
	v_and_b32_e32 v18, 0xff, v24
	s_mov_b32 s42, exec_lo
	v_cmpx_ne_u16_e32 0, v18
	s_cbranch_execz .LBB6_10448
; %bb.10439:                            ;   in Loop: Header=BB6_9788 Depth=3
	v_bfe_i32 v19, v24, 0, 8
	v_bfrev_b32_e32 v12, 1
	s_mov_b32 s43, exec_lo
	s_delay_alu instid0(VALU_DEP_2)
	v_cmpx_ne_u16_e32 0xff80, v19
	s_cbranch_execz .LBB6_10447
; %bb.10440:                            ;   in Loop: Header=BB6_9788 Depth=3
	v_and_b32_e32 v12, 0x7c, v24
	v_and_b32_e32 v18, 3, v24
	s_delay_alu instid0(VALU_DEP_2) | instskip(SKIP_1) | instid1(SALU_CYCLE_1)
	v_cmp_ne_u32_e32 vcc_lo, 0x7c, v12
                                        ; implicit-def: $vgpr12
	s_and_saveexec_b32 s13, vcc_lo
	s_xor_b32 s13, exec_lo, s13
	s_cbranch_execz .LBB6_10444
; %bb.10441:                            ;   in Loop: Header=BB6_9788 Depth=3
	v_bfe_u32 v12, v24, 2, 5
	s_mov_b32 s72, exec_lo
	s_delay_alu instid0(VALU_DEP_1)
	v_cmpx_eq_u32_e32 0, v12
; %bb.10442:                            ;   in Loop: Header=BB6_9788 Depth=3
	v_clz_i32_u32_e32 v12, v18
	s_delay_alu instid0(VALU_DEP_1) | instskip(NEXT) | instid1(VALU_DEP_1)
	v_min_u32_e32 v12, 32, v12
	v_subrev_nc_u32_e32 v18, 29, v12
	s_delay_alu instid0(VALU_DEP_1) | instskip(NEXT) | instid1(VALU_DEP_1)
	v_lshlrev_b64_e32 v[18:19], v18, v[24:25]
	v_dual_sub_nc_u32 v12, 30, v12 :: v_dual_bitop2_b32 v18, 3, v18 bitop3:0x40
; %bb.10443:                            ;   in Loop: Header=BB6_9788 Depth=3
	s_or_b32 exec_lo, exec_lo, s72
	v_lshlrev_b32_e32 v19, 24, v24
	s_delay_alu instid0(VALU_DEP_1) | instskip(NEXT) | instid1(VALU_DEP_1)
	v_and_b32_e32 v19, 0x80000000, v19
	v_lshl_add_u32 v12, v12, 23, v19
                                        ; implicit-def: $vgpr19
	s_delay_alu instid0(VALU_DEP_1) | instskip(NEXT) | instid1(VALU_DEP_1)
	v_lshl_or_b32 v12, v18, 21, v12
                                        ; implicit-def: $vgpr18
	v_add_nc_u32_e32 v12, 0x38000000, v12
.LBB6_10444:                            ;   in Loop: Header=BB6_9788 Depth=3
	s_and_not1_saveexec_b32 s72, s13
; %bb.10445:                            ;   in Loop: Header=BB6_9788 Depth=3
	v_cmp_lt_i16_e64 s13, -1, v19
	v_mov_b32_e32 v12, 0x7f800000
	v_cmp_eq_u32_e32 vcc_lo, 0, v18
	s_delay_alu instid0(VALU_DEP_2) | instskip(NEXT) | instid1(VALU_DEP_1)
	v_cndmask_b32_e64 v12, 0xff800000, v12, s13
	v_cndmask_b32_e32 v12, 0x7f800001, v12, vcc_lo
; %bb.10446:                            ;   in Loop: Header=BB6_9788 Depth=3
	s_or_b32 exec_lo, exec_lo, s72
.LBB6_10447:                            ;   in Loop: Header=BB6_9788 Depth=3
	s_delay_alu instid0(SALU_CYCLE_1)
	s_or_b32 exec_lo, exec_lo, s43
.LBB6_10448:                            ;   in Loop: Header=BB6_9788 Depth=3
	s_delay_alu instid0(SALU_CYCLE_1) | instskip(NEXT) | instid1(VALU_DEP_1)
	s_or_b32 exec_lo, exec_lo, s42
	v_mul_f32_e32 v18, v13, v12
	v_dual_mov_b32 v23, v21 :: v_dual_mov_b32 v13, v21
                                        ; implicit-def: $vgpr39
	s_mov_b32 s13, exec_lo
	s_delay_alu instid0(VALU_DEP_2) | instskip(SKIP_2) | instid1(VALU_DEP_3)
	v_and_b32_e32 v22, 0x7f800000, v18
	v_and_b32_e32 v12, 0x7fffff, v18
	v_lshrrev_b32_e32 v19, 24, v18
	v_cmpx_ne_u64_e32 0x7f800000, v[22:23]
	s_xor_b32 s42, exec_lo, s13
	s_cbranch_execz .LBB6_10462
; %bb.10449:                            ;   in Loop: Header=BB6_9788 Depth=3
	v_and_b32_e32 v22, 0x7fffffff, v18
	v_mov_b32_e32 v23, v21
	v_and_b32_e32 v20, 0x80, v19
                                        ; implicit-def: $vgpr39
	s_mov_b32 s13, exec_lo
	s_delay_alu instid0(VALU_DEP_2)
	v_cmpx_gt_u64_e32 0x47600001, v[22:23]
	s_xor_b32 s43, exec_lo, s13
	s_cbranch_execz .LBB6_10459
; %bb.10450:                            ;   in Loop: Header=BB6_9788 Depth=3
	v_mov_b32_e32 v39, 0
	s_mov_b32 s72, exec_lo
	v_cmpx_ne_u32_e32 0, v18
	s_cbranch_execz .LBB6_10458
; %bb.10451:                            ;   in Loop: Header=BB6_9788 Depth=3
	v_bfe_u32 v22, v18, 23, 8
	v_or_b32_e32 v19, 0x800000, v12
	s_delay_alu instid0(VALU_DEP_2) | instskip(SKIP_2) | instid1(VALU_DEP_2)
	v_cmp_gt_u32_e64 s13, 0x72, v22
	v_sub_nc_u32_e32 v18, 0x71, v22
	v_cmp_eq_u32_e32 vcc_lo, 0, v22
	v_dual_cndmask_b32 v18, 0, v18, s13 :: v_dual_cndmask_b32 v12, v19, v12, vcc_lo
	s_delay_alu instid0(VALU_DEP_1) | instskip(NEXT) | instid1(VALU_DEP_1)
	v_cndmask_b32_e64 v23, v18, 0x70, vcc_lo
	v_dual_add_nc_u32 v18, 21, v23 :: v_dual_add_nc_u32 v39, 20, v23
	s_delay_alu instid0(VALU_DEP_1) | instskip(NEXT) | instid1(VALU_DEP_2)
	v_lshlrev_b64_e64 v[18:19], v18, -1
	v_lshlrev_b64_e64 v[50:51], v39, 1
	s_delay_alu instid0(VALU_DEP_2) | instskip(SKIP_1) | instid1(VALU_DEP_4)
	v_bfi_b32 v18, v18, 0, v12
	v_lshrrev_b64 v[12:13], v23, v[12:13]
	v_bfi_b32 v19, v19, 0, 0
	s_delay_alu instid0(VALU_DEP_1) | instskip(NEXT) | instid1(VALU_DEP_3)
	v_cmp_eq_u64_e64 s13, v[18:19], v[50:51]
	v_mov_b64_e32 v[18:19], v[12:13]
	s_and_saveexec_b32 s73, s13
; %bb.10452:                            ;   in Loop: Header=BB6_9788 Depth=3
	v_bfe_u32 v18, v12, 21, 1
	v_mov_b32_e32 v19, v21
	s_delay_alu instid0(VALU_DEP_1) | instskip(NEXT) | instid1(VALU_DEP_1)
	v_add_nc_u64_e32 v[18:19], v[12:13], v[18:19]
	v_add_nc_u64_e32 v[18:19], -1, v[18:19]
; %bb.10453:                            ;   in Loop: Header=BB6_9788 Depth=3
	s_or_b32 exec_lo, exec_lo, s73
	v_add_nc_u32_e32 v13, 0xffffff81, v22
	v_lshrrev_b32_e32 v19, 23, v12
	s_mov_b32 s13, exec_lo
	s_delay_alu instid0(VALU_DEP_2) | instskip(NEXT) | instid1(VALU_DEP_1)
	v_cndmask_b32_e64 v13, v13, 0xffffff82, vcc_lo
	v_add3_u32 v22, v23, v13, v19
	v_and_b32_e32 v13, 0x1fffff, v18
                                        ; implicit-def: $vgpr18
	s_delay_alu instid0(VALU_DEP_1) | instskip(SKIP_1) | instid1(VALU_DEP_2)
	v_dual_add_nc_u32 v19, 14, v22 :: v_dual_add_nc_u32 v12, v13, v12
	v_mov_b32_e32 v13, v21
	v_cmpx_ne_u32_e32 0, v19
	s_xor_b32 s13, exec_lo, s13
; %bb.10454:                            ;   in Loop: Header=BB6_9788 Depth=3
	s_delay_alu instid0(VALU_DEP_2) | instskip(SKIP_1) | instid1(VALU_DEP_1)
	v_cmp_lt_u64_e32 vcc_lo, 0xffffff, v[12:13]
	v_add_nc_u32_e32 v18, 15, v22
	v_cndmask_b32_e32 v18, v19, v18, vcc_lo
	v_cndmask_b32_e64 v19, 0, 1, vcc_lo
	s_delay_alu instid0(VALU_DEP_1)
	v_lshrrev_b64 v[12:13], v19, v[12:13]
; %bb.10455:                            ;   in Loop: Header=BB6_9788 Depth=3
	s_and_not1_saveexec_b32 s13, s13
; %bb.10456:                            ;   in Loop: Header=BB6_9788 Depth=3
	s_delay_alu instid0(VALU_DEP_1)
	v_bfe_u32 v18, v12, 23, 1
; %bb.10457:                            ;   in Loop: Header=BB6_9788 Depth=3
	s_or_b32 exec_lo, exec_lo, s13
	s_delay_alu instid0(VALU_DEP_2) | instskip(NEXT) | instid1(VALU_DEP_2)
	v_lshrrev_b64 v[12:13], 21, v[12:13]
	v_cmp_gt_i32_e32 vcc_lo, 32, v18
	v_min_i32_e32 v19, 31, v18
	v_cmp_eq_u32_e64 s13, 0, v18
	s_delay_alu instid0(VALU_DEP_2) | instskip(SKIP_1) | instid1(VALU_DEP_2)
	v_dual_cndmask_b32 v13, 0, v13, vcc_lo :: v_dual_lshlrev_b32 v19, 2, v19
	v_cndmask_b32_e32 v12, 3, v12, vcc_lo
	v_and_b32_e32 v19, 0xfc, v19
	s_delay_alu instid0(VALU_DEP_2) | instskip(NEXT) | instid1(VALU_DEP_2)
	v_cmp_eq_u64_e32 vcc_lo, 0, v[12:13]
	v_and_or_b32 v12, v12, 3, v19
	s_and_b32 s13, s13, vcc_lo
	s_delay_alu instid0(VALU_DEP_1) | instid1(SALU_CYCLE_1)
	v_cndmask_b32_e64 v12, v12, 0, s13
	s_delay_alu instid0(VALU_DEP_1)
	v_or_b32_e32 v39, v12, v20
.LBB6_10458:                            ;   in Loop: Header=BB6_9788 Depth=3
	s_or_b32 exec_lo, exec_lo, s72
                                        ; implicit-def: $vgpr20
.LBB6_10459:                            ;   in Loop: Header=BB6_9788 Depth=3
	s_and_not1_saveexec_b32 s13, s43
; %bb.10460:                            ;   in Loop: Header=BB6_9788 Depth=3
	v_or_b32_e32 v39, 0x7b, v20
; %bb.10461:                            ;   in Loop: Header=BB6_9788 Depth=3
	s_or_b32 exec_lo, exec_lo, s13
                                        ; implicit-def: $vgpr18
                                        ; implicit-def: $vgpr12_vgpr13
                                        ; implicit-def: $vgpr19
.LBB6_10462:                            ;   in Loop: Header=BB6_9788 Depth=3
	s_and_not1_saveexec_b32 s13, s42
	s_cbranch_execz .LBB6_10468
; %bb.10463:                            ;   in Loop: Header=BB6_9788 Depth=3
	s_mov_b32 s42, exec_lo
                                        ; implicit-def: $vgpr39
	v_cmpx_ne_u64_e32 0, v[12:13]
	s_xor_b32 s42, exec_lo, s42
; %bb.10464:                            ;   in Loop: Header=BB6_9788 Depth=3
	v_or_b32_e32 v39, 0x7f, v19
                                        ; implicit-def: $vgpr18
; %bb.10465:                            ;   in Loop: Header=BB6_9788 Depth=3
	s_and_not1_saveexec_b32 s42, s42
; %bb.10466:                            ;   in Loop: Header=BB6_9788 Depth=3
	v_cmp_lt_i32_e32 vcc_lo, -1, v18
	v_mov_b32_e32 v12, 0x7c
	s_delay_alu instid0(VALU_DEP_1)
	v_cndmask_b32_e32 v39, 0xfc, v12, vcc_lo
; %bb.10467:                            ;   in Loop: Header=BB6_9788 Depth=3
	s_or_b32 exec_lo, exec_lo, s42
.LBB6_10468:                            ;   in Loop: Header=BB6_9788 Depth=3
	s_delay_alu instid0(SALU_CYCLE_1) | instskip(SKIP_3) | instid1(VALU_DEP_2)
	s_or_b32 exec_lo, exec_lo, s13
	v_lshrrev_b16 v12, 8, v32
	v_dual_mov_b32 v18, 0 :: v_dual_mov_b32 v19, 0
	s_mov_b32 s42, exec_lo
	v_cmpx_ne_u16_e32 0, v12
	s_cbranch_execz .LBB6_10478
; %bb.10469:                            ;   in Loop: Header=BB6_9788 Depth=3
	v_bfrev_b32_e32 v19, 1
	s_mov_b32 s43, exec_lo
	v_cmpx_ne_u16_e32 0x80, v12
	s_cbranch_execz .LBB6_10477
; %bb.10470:                            ;   in Loop: Header=BB6_9788 Depth=3
	v_and_b32_e32 v20, 0xffff, v12
	s_delay_alu instid0(VALU_DEP_1) | instskip(SKIP_1) | instid1(VALU_DEP_2)
	v_and_b32_e32 v19, 0x7c, v20
	v_and_b32_e32 v13, 3, v20
	v_cmp_ne_u32_e32 vcc_lo, 0x7c, v19
                                        ; implicit-def: $vgpr19
	s_and_saveexec_b32 s13, vcc_lo
	s_delay_alu instid0(SALU_CYCLE_1)
	s_xor_b32 s13, exec_lo, s13
	s_cbranch_execz .LBB6_10474
; %bb.10471:                            ;   in Loop: Header=BB6_9788 Depth=3
	v_bfe_u32 v19, v20, 2, 5
	s_mov_b32 s72, exec_lo
	s_delay_alu instid0(VALU_DEP_1)
	v_cmpx_eq_u32_e32 0, v19
	s_cbranch_execz .LBB6_10473
; %bb.10472:                            ;   in Loop: Header=BB6_9788 Depth=3
	v_clz_i32_u32_e32 v13, v13
	s_delay_alu instid0(VALU_DEP_1) | instskip(SKIP_1) | instid1(VALU_DEP_2)
	v_min_u32_e32 v19, 32, v13
	v_mov_b32_e32 v13, v21
	v_subrev_nc_u32_e32 v20, 29, v19
	v_sub_nc_u32_e32 v19, 30, v19
	s_delay_alu instid0(VALU_DEP_2) | instskip(NEXT) | instid1(VALU_DEP_1)
	v_lshlrev_b64_e32 v[12:13], v20, v[12:13]
	v_and_b32_e32 v13, 3, v12
.LBB6_10473:                            ;   in Loop: Header=BB6_9788 Depth=3
	s_or_b32 exec_lo, exec_lo, s72
	v_lshlrev_b32_e32 v12, 16, v32
	s_delay_alu instid0(VALU_DEP_1) | instskip(NEXT) | instid1(VALU_DEP_1)
	v_and_b32_e32 v12, 0x80000000, v12
	v_lshl_add_u32 v12, v19, 23, v12
	s_delay_alu instid0(VALU_DEP_1) | instskip(NEXT) | instid1(VALU_DEP_1)
	v_lshl_or_b32 v12, v13, 21, v12
                                        ; implicit-def: $vgpr13
	v_add_nc_u32_e32 v19, 0x38000000, v12
.LBB6_10474:                            ;   in Loop: Header=BB6_9788 Depth=3
	s_and_not1_saveexec_b32 s72, s13
; %bb.10475:                            ;   in Loop: Header=BB6_9788 Depth=3
	v_cmp_lt_i16_e64 s13, -1, v32
	v_mov_b32_e32 v12, 0x7f800000
	v_cmp_eq_u32_e32 vcc_lo, 0, v13
	s_delay_alu instid0(VALU_DEP_2) | instskip(NEXT) | instid1(VALU_DEP_1)
	v_cndmask_b32_e64 v12, 0xff800000, v12, s13
	v_cndmask_b32_e32 v19, 0x7f800001, v12, vcc_lo
; %bb.10476:                            ;   in Loop: Header=BB6_9788 Depth=3
	s_or_b32 exec_lo, exec_lo, s72
.LBB6_10477:                            ;   in Loop: Header=BB6_9788 Depth=3
	s_delay_alu instid0(SALU_CYCLE_1)
	s_or_b32 exec_lo, exec_lo, s43
.LBB6_10478:                            ;   in Loop: Header=BB6_9788 Depth=3
	s_delay_alu instid0(SALU_CYCLE_1) | instskip(SKIP_2) | instid1(VALU_DEP_1)
	s_or_b32 exec_lo, exec_lo, s42
	v_lshrrev_b16 v12, 8, v24
	s_mov_b32 s42, exec_lo
	v_cmpx_ne_u16_e32 0, v12
	s_cbranch_execz .LBB6_10488
; %bb.10479:                            ;   in Loop: Header=BB6_9788 Depth=3
	v_bfrev_b32_e32 v18, 1
	s_mov_b32 s43, exec_lo
	v_cmpx_ne_u16_e32 0x80, v12
	s_cbranch_execz .LBB6_10487
; %bb.10480:                            ;   in Loop: Header=BB6_9788 Depth=3
	v_and_b32_e32 v20, 0xffff, v12
	s_delay_alu instid0(VALU_DEP_1) | instskip(SKIP_1) | instid1(VALU_DEP_2)
	v_and_b32_e32 v18, 0x7c, v20
	v_and_b32_e32 v13, 3, v20
	v_cmp_ne_u32_e32 vcc_lo, 0x7c, v18
                                        ; implicit-def: $vgpr18
	s_and_saveexec_b32 s13, vcc_lo
	s_delay_alu instid0(SALU_CYCLE_1)
	s_xor_b32 s13, exec_lo, s13
	s_cbranch_execz .LBB6_10484
; %bb.10481:                            ;   in Loop: Header=BB6_9788 Depth=3
	v_bfe_u32 v18, v20, 2, 5
	s_mov_b32 s72, exec_lo
	s_delay_alu instid0(VALU_DEP_1)
	v_cmpx_eq_u32_e32 0, v18
	s_cbranch_execz .LBB6_10483
; %bb.10482:                            ;   in Loop: Header=BB6_9788 Depth=3
	v_clz_i32_u32_e32 v13, v13
	s_delay_alu instid0(VALU_DEP_1) | instskip(SKIP_1) | instid1(VALU_DEP_2)
	v_min_u32_e32 v18, 32, v13
	v_mov_b32_e32 v13, v21
	v_subrev_nc_u32_e32 v20, 29, v18
	v_sub_nc_u32_e32 v18, 30, v18
	s_delay_alu instid0(VALU_DEP_2) | instskip(NEXT) | instid1(VALU_DEP_1)
	v_lshlrev_b64_e32 v[12:13], v20, v[12:13]
	v_and_b32_e32 v13, 3, v12
.LBB6_10483:                            ;   in Loop: Header=BB6_9788 Depth=3
	s_or_b32 exec_lo, exec_lo, s72
	v_lshlrev_b32_e32 v12, 16, v24
	s_delay_alu instid0(VALU_DEP_1) | instskip(NEXT) | instid1(VALU_DEP_1)
	v_and_b32_e32 v12, 0x80000000, v12
	v_lshl_add_u32 v12, v18, 23, v12
	s_delay_alu instid0(VALU_DEP_1) | instskip(NEXT) | instid1(VALU_DEP_1)
	v_lshl_or_b32 v12, v13, 21, v12
                                        ; implicit-def: $vgpr13
	v_add_nc_u32_e32 v18, 0x38000000, v12
.LBB6_10484:                            ;   in Loop: Header=BB6_9788 Depth=3
	s_and_not1_saveexec_b32 s72, s13
; %bb.10485:                            ;   in Loop: Header=BB6_9788 Depth=3
	v_cmp_lt_i16_e64 s13, -1, v24
	v_mov_b32_e32 v12, 0x7f800000
	v_cmp_eq_u32_e32 vcc_lo, 0, v13
	s_delay_alu instid0(VALU_DEP_2) | instskip(NEXT) | instid1(VALU_DEP_1)
	v_cndmask_b32_e64 v12, 0xff800000, v12, s13
	v_cndmask_b32_e32 v18, 0x7f800001, v12, vcc_lo
; %bb.10486:                            ;   in Loop: Header=BB6_9788 Depth=3
	s_or_b32 exec_lo, exec_lo, s72
.LBB6_10487:                            ;   in Loop: Header=BB6_9788 Depth=3
	s_delay_alu instid0(SALU_CYCLE_1)
	s_or_b32 exec_lo, exec_lo, s43
.LBB6_10488:                            ;   in Loop: Header=BB6_9788 Depth=3
	s_delay_alu instid0(SALU_CYCLE_1) | instskip(NEXT) | instid1(VALU_DEP_1)
	s_or_b32 exec_lo, exec_lo, s42
	v_dual_mul_f32 v18, v19, v18 :: v_dual_mov_b32 v23, v21
	v_mov_b32_e32 v13, v21
                                        ; implicit-def: $vgpr50
	s_mov_b32 s13, exec_lo
	s_delay_alu instid0(VALU_DEP_2) | instskip(SKIP_2) | instid1(VALU_DEP_3)
	v_and_b32_e32 v22, 0x7f800000, v18
	v_and_b32_e32 v12, 0x7fffff, v18
	v_lshrrev_b32_e32 v19, 24, v18
	v_cmpx_ne_u64_e32 0x7f800000, v[22:23]
	s_xor_b32 s42, exec_lo, s13
	s_cbranch_execz .LBB6_10502
; %bb.10489:                            ;   in Loop: Header=BB6_9788 Depth=3
	v_and_b32_e32 v22, 0x7fffffff, v18
	v_mov_b32_e32 v23, v21
	v_and_b32_e32 v20, 0x80, v19
                                        ; implicit-def: $vgpr50
	s_mov_b32 s13, exec_lo
	s_delay_alu instid0(VALU_DEP_2)
	v_cmpx_gt_u64_e32 0x47600001, v[22:23]
	s_xor_b32 s43, exec_lo, s13
	s_cbranch_execz .LBB6_10499
; %bb.10490:                            ;   in Loop: Header=BB6_9788 Depth=3
	v_mov_b32_e32 v50, 0
	s_mov_b32 s72, exec_lo
	v_cmpx_ne_u32_e32 0, v18
	s_cbranch_execz .LBB6_10498
; %bb.10491:                            ;   in Loop: Header=BB6_9788 Depth=3
	v_bfe_u32 v22, v18, 23, 8
	v_or_b32_e32 v19, 0x800000, v12
	s_delay_alu instid0(VALU_DEP_2) | instskip(SKIP_2) | instid1(VALU_DEP_2)
	v_cmp_gt_u32_e64 s13, 0x72, v22
	v_sub_nc_u32_e32 v18, 0x71, v22
	v_cmp_eq_u32_e32 vcc_lo, 0, v22
	v_dual_cndmask_b32 v18, 0, v18, s13 :: v_dual_cndmask_b32 v12, v19, v12, vcc_lo
	s_delay_alu instid0(VALU_DEP_1) | instskip(NEXT) | instid1(VALU_DEP_1)
	v_cndmask_b32_e64 v23, v18, 0x70, vcc_lo
	v_dual_add_nc_u32 v18, 21, v23 :: v_dual_add_nc_u32 v50, 20, v23
	s_delay_alu instid0(VALU_DEP_1) | instskip(NEXT) | instid1(VALU_DEP_2)
	v_lshlrev_b64_e64 v[18:19], v18, -1
	v_lshlrev_b64_e64 v[50:51], v50, 1
	s_delay_alu instid0(VALU_DEP_2) | instskip(SKIP_1) | instid1(VALU_DEP_4)
	v_bfi_b32 v18, v18, 0, v12
	v_lshrrev_b64 v[12:13], v23, v[12:13]
	v_bfi_b32 v19, v19, 0, 0
	s_delay_alu instid0(VALU_DEP_1) | instskip(NEXT) | instid1(VALU_DEP_3)
	v_cmp_eq_u64_e64 s13, v[18:19], v[50:51]
	v_mov_b64_e32 v[18:19], v[12:13]
	s_and_saveexec_b32 s73, s13
; %bb.10492:                            ;   in Loop: Header=BB6_9788 Depth=3
	v_bfe_u32 v18, v12, 21, 1
	v_mov_b32_e32 v19, v21
	s_delay_alu instid0(VALU_DEP_1) | instskip(NEXT) | instid1(VALU_DEP_1)
	v_add_nc_u64_e32 v[18:19], v[12:13], v[18:19]
	v_add_nc_u64_e32 v[18:19], -1, v[18:19]
; %bb.10493:                            ;   in Loop: Header=BB6_9788 Depth=3
	s_or_b32 exec_lo, exec_lo, s73
	v_add_nc_u32_e32 v13, 0xffffff81, v22
	v_lshrrev_b32_e32 v19, 23, v12
	s_mov_b32 s13, exec_lo
	s_delay_alu instid0(VALU_DEP_2) | instskip(NEXT) | instid1(VALU_DEP_1)
	v_cndmask_b32_e64 v13, v13, 0xffffff82, vcc_lo
	v_add3_u32 v22, v23, v13, v19
	v_and_b32_e32 v13, 0x1fffff, v18
                                        ; implicit-def: $vgpr18
	s_delay_alu instid0(VALU_DEP_1) | instskip(SKIP_1) | instid1(VALU_DEP_2)
	v_dual_add_nc_u32 v19, 14, v22 :: v_dual_add_nc_u32 v12, v13, v12
	v_mov_b32_e32 v13, v21
	v_cmpx_ne_u32_e32 0, v19
	s_xor_b32 s13, exec_lo, s13
; %bb.10494:                            ;   in Loop: Header=BB6_9788 Depth=3
	s_delay_alu instid0(VALU_DEP_2) | instskip(SKIP_1) | instid1(VALU_DEP_1)
	v_cmp_lt_u64_e32 vcc_lo, 0xffffff, v[12:13]
	v_add_nc_u32_e32 v18, 15, v22
	v_cndmask_b32_e32 v18, v19, v18, vcc_lo
	v_cndmask_b32_e64 v19, 0, 1, vcc_lo
	s_delay_alu instid0(VALU_DEP_1)
	v_lshrrev_b64 v[12:13], v19, v[12:13]
; %bb.10495:                            ;   in Loop: Header=BB6_9788 Depth=3
	s_and_not1_saveexec_b32 s13, s13
; %bb.10496:                            ;   in Loop: Header=BB6_9788 Depth=3
	s_delay_alu instid0(VALU_DEP_1)
	v_bfe_u32 v18, v12, 23, 1
; %bb.10497:                            ;   in Loop: Header=BB6_9788 Depth=3
	s_or_b32 exec_lo, exec_lo, s13
	s_delay_alu instid0(VALU_DEP_2) | instskip(NEXT) | instid1(VALU_DEP_2)
	v_lshrrev_b64 v[12:13], 21, v[12:13]
	v_cmp_gt_i32_e32 vcc_lo, 32, v18
	v_min_i32_e32 v19, 31, v18
	v_cmp_eq_u32_e64 s13, 0, v18
	s_delay_alu instid0(VALU_DEP_2) | instskip(SKIP_1) | instid1(VALU_DEP_2)
	v_dual_cndmask_b32 v13, 0, v13, vcc_lo :: v_dual_lshlrev_b32 v19, 2, v19
	v_cndmask_b32_e32 v12, 3, v12, vcc_lo
	v_and_b32_e32 v19, 0xfc, v19
	s_delay_alu instid0(VALU_DEP_2) | instskip(NEXT) | instid1(VALU_DEP_2)
	v_cmp_eq_u64_e32 vcc_lo, 0, v[12:13]
	v_and_or_b32 v12, v12, 3, v19
	s_and_b32 s13, s13, vcc_lo
	s_delay_alu instid0(VALU_DEP_1) | instid1(SALU_CYCLE_1)
	v_cndmask_b32_e64 v12, v12, 0, s13
	s_delay_alu instid0(VALU_DEP_1)
	v_or_b32_e32 v50, v12, v20
.LBB6_10498:                            ;   in Loop: Header=BB6_9788 Depth=3
	s_or_b32 exec_lo, exec_lo, s72
                                        ; implicit-def: $vgpr20
.LBB6_10499:                            ;   in Loop: Header=BB6_9788 Depth=3
	s_and_not1_saveexec_b32 s13, s43
; %bb.10500:                            ;   in Loop: Header=BB6_9788 Depth=3
	v_or_b32_e32 v50, 0x7b, v20
; %bb.10501:                            ;   in Loop: Header=BB6_9788 Depth=3
	s_or_b32 exec_lo, exec_lo, s13
                                        ; implicit-def: $vgpr18
                                        ; implicit-def: $vgpr12_vgpr13
                                        ; implicit-def: $vgpr19
.LBB6_10502:                            ;   in Loop: Header=BB6_9788 Depth=3
	s_and_not1_saveexec_b32 s13, s42
	s_cbranch_execz .LBB6_10508
; %bb.10503:                            ;   in Loop: Header=BB6_9788 Depth=3
	s_mov_b32 s42, exec_lo
                                        ; implicit-def: $vgpr50
	v_cmpx_ne_u64_e32 0, v[12:13]
	s_xor_b32 s42, exec_lo, s42
; %bb.10504:                            ;   in Loop: Header=BB6_9788 Depth=3
	v_or_b32_e32 v50, 0x7f, v19
                                        ; implicit-def: $vgpr18
; %bb.10505:                            ;   in Loop: Header=BB6_9788 Depth=3
	s_and_not1_saveexec_b32 s42, s42
; %bb.10506:                            ;   in Loop: Header=BB6_9788 Depth=3
	v_cmp_lt_i32_e32 vcc_lo, -1, v18
	v_mov_b32_e32 v12, 0x7c
	s_delay_alu instid0(VALU_DEP_1)
	v_cndmask_b32_e32 v50, 0xfc, v12, vcc_lo
; %bb.10507:                            ;   in Loop: Header=BB6_9788 Depth=3
	s_or_b32 exec_lo, exec_lo, s42
.LBB6_10508:                            ;   in Loop: Header=BB6_9788 Depth=3
	s_delay_alu instid0(SALU_CYCLE_1) | instskip(SKIP_3) | instid1(VALU_DEP_2)
	s_or_b32 exec_lo, exec_lo, s13
	v_dual_mov_b32 v13, 0 :: v_dual_lshrrev_b32 v12, 16, v32
	v_mov_b32_e32 v18, 0
	s_mov_b32 s42, exec_lo
	v_and_b32_e32 v19, 0xff, v12
	s_delay_alu instid0(VALU_DEP_1)
	v_cmpx_ne_u16_e32 0, v19
	s_cbranch_execz .LBB6_10518
; %bb.10509:                            ;   in Loop: Header=BB6_9788 Depth=3
	v_bfrev_b32_e32 v18, 1
	s_mov_b32 s43, exec_lo
	v_cmpx_ne_u16_e32 0x80, v19
	s_cbranch_execz .LBB6_10517
; %bb.10510:                            ;   in Loop: Header=BB6_9788 Depth=3
	v_and_b32_e32 v18, 0x7c0000, v32
	v_bfe_u32 v19, v32, 16, 2
	s_delay_alu instid0(VALU_DEP_2) | instskip(SKIP_1) | instid1(SALU_CYCLE_1)
	v_cmp_ne_u32_e32 vcc_lo, 0x7c0000, v18
                                        ; implicit-def: $vgpr18
	s_and_saveexec_b32 s13, vcc_lo
	s_xor_b32 s13, exec_lo, s13
	s_cbranch_execz .LBB6_10514
; %bb.10511:                            ;   in Loop: Header=BB6_9788 Depth=3
	v_bfe_u32 v18, v32, 18, 5
	s_mov_b32 s72, exec_lo
	s_delay_alu instid0(VALU_DEP_1)
	v_cmpx_eq_u32_e32 0, v18
; %bb.10512:                            ;   in Loop: Header=BB6_9788 Depth=3
	v_clz_i32_u32_e32 v18, v19
	s_delay_alu instid0(VALU_DEP_1) | instskip(NEXT) | instid1(VALU_DEP_1)
	v_min_u32_e32 v18, 32, v18
	v_subrev_nc_u32_e32 v19, 29, v18
	v_sub_nc_u32_e32 v18, 30, v18
	s_delay_alu instid0(VALU_DEP_2) | instskip(NEXT) | instid1(VALU_DEP_1)
	v_lshlrev_b64_e32 v[22:23], v19, v[12:13]
	v_and_b32_e32 v19, 3, v22
; %bb.10513:                            ;   in Loop: Header=BB6_9788 Depth=3
	s_or_b32 exec_lo, exec_lo, s72
	v_lshlrev_b32_e32 v12, 24, v12
	s_delay_alu instid0(VALU_DEP_1) | instskip(NEXT) | instid1(VALU_DEP_1)
	v_and_b32_e32 v12, 0x80000000, v12
	v_lshl_add_u32 v12, v18, 23, v12
	s_delay_alu instid0(VALU_DEP_1) | instskip(NEXT) | instid1(VALU_DEP_1)
	v_lshl_or_b32 v12, v19, 21, v12
                                        ; implicit-def: $vgpr19
	v_add_nc_u32_e32 v18, 0x38000000, v12
                                        ; implicit-def: $vgpr12
.LBB6_10514:                            ;   in Loop: Header=BB6_9788 Depth=3
	s_and_not1_saveexec_b32 s72, s13
; %bb.10515:                            ;   in Loop: Header=BB6_9788 Depth=3
	v_bfe_i32 v12, v12, 0, 8
	v_cmp_eq_u32_e32 vcc_lo, 0, v19
	s_delay_alu instid0(VALU_DEP_2) | instskip(SKIP_1) | instid1(VALU_DEP_1)
	v_cmp_lt_i16_e64 s13, -1, v12
	v_mov_b32_e32 v12, 0x7f800000
	v_cndmask_b32_e64 v12, 0xff800000, v12, s13
	s_delay_alu instid0(VALU_DEP_1)
	v_cndmask_b32_e32 v18, 0x7f800001, v12, vcc_lo
; %bb.10516:                            ;   in Loop: Header=BB6_9788 Depth=3
	s_or_b32 exec_lo, exec_lo, s72
.LBB6_10517:                            ;   in Loop: Header=BB6_9788 Depth=3
	s_delay_alu instid0(SALU_CYCLE_1)
	s_or_b32 exec_lo, exec_lo, s43
.LBB6_10518:                            ;   in Loop: Header=BB6_9788 Depth=3
	s_delay_alu instid0(SALU_CYCLE_1) | instskip(SKIP_2) | instid1(VALU_DEP_1)
	s_or_b32 exec_lo, exec_lo, s42
	v_lshrrev_b32_e32 v12, 16, v24
	s_mov_b32 s42, exec_lo
	v_and_b32_e32 v19, 0xff, v12
	s_delay_alu instid0(VALU_DEP_1)
	v_cmpx_ne_u16_e32 0, v19
	s_cbranch_execz .LBB6_10528
; %bb.10519:                            ;   in Loop: Header=BB6_9788 Depth=3
	v_bfrev_b32_e32 v13, 1
	s_mov_b32 s43, exec_lo
	v_cmpx_ne_u16_e32 0x80, v19
	s_cbranch_execz .LBB6_10527
; %bb.10520:                            ;   in Loop: Header=BB6_9788 Depth=3
	v_and_b32_e32 v13, 0x7c0000, v24
	v_bfe_u32 v19, v24, 16, 2
	s_delay_alu instid0(VALU_DEP_2) | instskip(SKIP_1) | instid1(SALU_CYCLE_1)
	v_cmp_ne_u32_e32 vcc_lo, 0x7c0000, v13
                                        ; implicit-def: $vgpr13
	s_and_saveexec_b32 s13, vcc_lo
	s_xor_b32 s13, exec_lo, s13
	s_cbranch_execz .LBB6_10524
; %bb.10521:                            ;   in Loop: Header=BB6_9788 Depth=3
	v_bfe_u32 v13, v24, 18, 5
	s_mov_b32 s72, exec_lo
	s_delay_alu instid0(VALU_DEP_1)
	v_cmpx_eq_u32_e32 0, v13
; %bb.10522:                            ;   in Loop: Header=BB6_9788 Depth=3
	v_clz_i32_u32_e32 v13, v19
	s_delay_alu instid0(VALU_DEP_1) | instskip(NEXT) | instid1(VALU_DEP_1)
	v_min_u32_e32 v13, 32, v13
	v_subrev_nc_u32_e32 v19, 29, v13
	s_delay_alu instid0(VALU_DEP_1) | instskip(NEXT) | instid1(VALU_DEP_1)
	v_lshlrev_b64_e32 v[22:23], v19, v[12:13]
	v_dual_sub_nc_u32 v13, 30, v13 :: v_dual_bitop2_b32 v19, 3, v22 bitop3:0x40
; %bb.10523:                            ;   in Loop: Header=BB6_9788 Depth=3
	s_or_b32 exec_lo, exec_lo, s72
	v_lshlrev_b32_e32 v12, 24, v12
	s_delay_alu instid0(VALU_DEP_1) | instskip(NEXT) | instid1(VALU_DEP_1)
	v_and_b32_e32 v12, 0x80000000, v12
	v_lshl_add_u32 v12, v13, 23, v12
	s_delay_alu instid0(VALU_DEP_1) | instskip(NEXT) | instid1(VALU_DEP_1)
	v_lshl_or_b32 v12, v19, 21, v12
                                        ; implicit-def: $vgpr19
	v_add_nc_u32_e32 v13, 0x38000000, v12
                                        ; implicit-def: $vgpr12
.LBB6_10524:                            ;   in Loop: Header=BB6_9788 Depth=3
	s_and_not1_saveexec_b32 s72, s13
; %bb.10525:                            ;   in Loop: Header=BB6_9788 Depth=3
	v_bfe_i32 v12, v12, 0, 8
	v_cmp_eq_u32_e32 vcc_lo, 0, v19
	s_delay_alu instid0(VALU_DEP_2) | instskip(SKIP_1) | instid1(VALU_DEP_1)
	v_cmp_lt_i16_e64 s13, -1, v12
	v_mov_b32_e32 v12, 0x7f800000
	v_cndmask_b32_e64 v12, 0xff800000, v12, s13
	s_delay_alu instid0(VALU_DEP_1)
	v_cndmask_b32_e32 v13, 0x7f800001, v12, vcc_lo
; %bb.10526:                            ;   in Loop: Header=BB6_9788 Depth=3
	s_or_b32 exec_lo, exec_lo, s72
.LBB6_10527:                            ;   in Loop: Header=BB6_9788 Depth=3
	s_delay_alu instid0(SALU_CYCLE_1)
	s_or_b32 exec_lo, exec_lo, s43
.LBB6_10528:                            ;   in Loop: Header=BB6_9788 Depth=3
	s_delay_alu instid0(SALU_CYCLE_1) | instskip(NEXT) | instid1(VALU_DEP_1)
	s_or_b32 exec_lo, exec_lo, s42
	v_dual_mul_f32 v18, v18, v13 :: v_dual_mov_b32 v23, v21
	v_mov_b32_e32 v13, v21
                                        ; implicit-def: $vgpr51
	s_mov_b32 s13, exec_lo
	s_delay_alu instid0(VALU_DEP_2) | instskip(SKIP_2) | instid1(VALU_DEP_3)
	v_and_b32_e32 v22, 0x7f800000, v18
	v_and_b32_e32 v12, 0x7fffff, v18
	v_lshrrev_b32_e32 v19, 24, v18
	v_cmpx_ne_u64_e32 0x7f800000, v[22:23]
	s_xor_b32 s42, exec_lo, s13
	s_cbranch_execz .LBB6_10542
; %bb.10529:                            ;   in Loop: Header=BB6_9788 Depth=3
	v_and_b32_e32 v22, 0x7fffffff, v18
	v_mov_b32_e32 v23, v21
	v_and_b32_e32 v20, 0x80, v19
                                        ; implicit-def: $vgpr51
	s_mov_b32 s13, exec_lo
	s_delay_alu instid0(VALU_DEP_2)
	v_cmpx_gt_u64_e32 0x47600001, v[22:23]
	s_xor_b32 s43, exec_lo, s13
	s_cbranch_execz .LBB6_10539
; %bb.10530:                            ;   in Loop: Header=BB6_9788 Depth=3
	v_mov_b32_e32 v51, 0
	s_mov_b32 s72, exec_lo
	v_cmpx_ne_u32_e32 0, v18
	s_cbranch_execz .LBB6_10538
; %bb.10531:                            ;   in Loop: Header=BB6_9788 Depth=3
	v_bfe_u32 v22, v18, 23, 8
	v_or_b32_e32 v19, 0x800000, v12
	s_delay_alu instid0(VALU_DEP_2) | instskip(SKIP_2) | instid1(VALU_DEP_2)
	v_cmp_gt_u32_e64 s13, 0x72, v22
	v_sub_nc_u32_e32 v18, 0x71, v22
	v_cmp_eq_u32_e32 vcc_lo, 0, v22
	v_dual_cndmask_b32 v18, 0, v18, s13 :: v_dual_cndmask_b32 v12, v19, v12, vcc_lo
	s_delay_alu instid0(VALU_DEP_1) | instskip(NEXT) | instid1(VALU_DEP_1)
	v_cndmask_b32_e64 v23, v18, 0x70, vcc_lo
	v_dual_add_nc_u32 v18, 21, v23 :: v_dual_add_nc_u32 v51, 20, v23
	s_delay_alu instid0(VALU_DEP_1) | instskip(NEXT) | instid1(VALU_DEP_2)
	v_lshlrev_b64_e64 v[18:19], v18, -1
	v_lshlrev_b64_e64 v[70:71], v51, 1
	s_delay_alu instid0(VALU_DEP_2) | instskip(SKIP_1) | instid1(VALU_DEP_4)
	v_bfi_b32 v18, v18, 0, v12
	v_lshrrev_b64 v[12:13], v23, v[12:13]
	v_bfi_b32 v19, v19, 0, 0
	s_delay_alu instid0(VALU_DEP_1) | instskip(NEXT) | instid1(VALU_DEP_3)
	v_cmp_eq_u64_e64 s13, v[18:19], v[70:71]
	v_mov_b64_e32 v[18:19], v[12:13]
	s_and_saveexec_b32 s73, s13
; %bb.10532:                            ;   in Loop: Header=BB6_9788 Depth=3
	v_bfe_u32 v18, v12, 21, 1
	v_mov_b32_e32 v19, v21
	s_delay_alu instid0(VALU_DEP_1) | instskip(NEXT) | instid1(VALU_DEP_1)
	v_add_nc_u64_e32 v[18:19], v[12:13], v[18:19]
	v_add_nc_u64_e32 v[18:19], -1, v[18:19]
; %bb.10533:                            ;   in Loop: Header=BB6_9788 Depth=3
	s_or_b32 exec_lo, exec_lo, s73
	v_add_nc_u32_e32 v13, 0xffffff81, v22
	v_lshrrev_b32_e32 v19, 23, v12
	s_mov_b32 s13, exec_lo
	s_delay_alu instid0(VALU_DEP_2) | instskip(NEXT) | instid1(VALU_DEP_1)
	v_cndmask_b32_e64 v13, v13, 0xffffff82, vcc_lo
	v_add3_u32 v22, v23, v13, v19
	v_and_b32_e32 v13, 0x1fffff, v18
                                        ; implicit-def: $vgpr18
	s_delay_alu instid0(VALU_DEP_1) | instskip(SKIP_1) | instid1(VALU_DEP_2)
	v_dual_add_nc_u32 v19, 14, v22 :: v_dual_add_nc_u32 v12, v13, v12
	v_mov_b32_e32 v13, v21
	v_cmpx_ne_u32_e32 0, v19
	s_xor_b32 s13, exec_lo, s13
; %bb.10534:                            ;   in Loop: Header=BB6_9788 Depth=3
	s_delay_alu instid0(VALU_DEP_2) | instskip(SKIP_1) | instid1(VALU_DEP_1)
	v_cmp_lt_u64_e32 vcc_lo, 0xffffff, v[12:13]
	v_add_nc_u32_e32 v18, 15, v22
	v_cndmask_b32_e32 v18, v19, v18, vcc_lo
	v_cndmask_b32_e64 v19, 0, 1, vcc_lo
	s_delay_alu instid0(VALU_DEP_1)
	v_lshrrev_b64 v[12:13], v19, v[12:13]
; %bb.10535:                            ;   in Loop: Header=BB6_9788 Depth=3
	s_and_not1_saveexec_b32 s13, s13
; %bb.10536:                            ;   in Loop: Header=BB6_9788 Depth=3
	s_delay_alu instid0(VALU_DEP_1)
	v_bfe_u32 v18, v12, 23, 1
; %bb.10537:                            ;   in Loop: Header=BB6_9788 Depth=3
	s_or_b32 exec_lo, exec_lo, s13
	s_delay_alu instid0(VALU_DEP_2) | instskip(NEXT) | instid1(VALU_DEP_2)
	v_lshrrev_b64 v[12:13], 21, v[12:13]
	v_cmp_gt_i32_e32 vcc_lo, 32, v18
	v_min_i32_e32 v19, 31, v18
	v_cmp_eq_u32_e64 s13, 0, v18
	s_delay_alu instid0(VALU_DEP_2) | instskip(SKIP_1) | instid1(VALU_DEP_2)
	v_dual_cndmask_b32 v13, 0, v13, vcc_lo :: v_dual_lshlrev_b32 v19, 2, v19
	v_cndmask_b32_e32 v12, 3, v12, vcc_lo
	v_and_b32_e32 v19, 0xfc, v19
	s_delay_alu instid0(VALU_DEP_2) | instskip(NEXT) | instid1(VALU_DEP_2)
	v_cmp_eq_u64_e32 vcc_lo, 0, v[12:13]
	v_and_or_b32 v12, v12, 3, v19
	s_and_b32 s13, s13, vcc_lo
	s_delay_alu instid0(VALU_DEP_1) | instid1(SALU_CYCLE_1)
	v_cndmask_b32_e64 v12, v12, 0, s13
	s_delay_alu instid0(VALU_DEP_1)
	v_or_b32_e32 v51, v12, v20
.LBB6_10538:                            ;   in Loop: Header=BB6_9788 Depth=3
	s_or_b32 exec_lo, exec_lo, s72
                                        ; implicit-def: $vgpr20
.LBB6_10539:                            ;   in Loop: Header=BB6_9788 Depth=3
	s_and_not1_saveexec_b32 s13, s43
; %bb.10540:                            ;   in Loop: Header=BB6_9788 Depth=3
	v_or_b32_e32 v51, 0x7b, v20
; %bb.10541:                            ;   in Loop: Header=BB6_9788 Depth=3
	s_or_b32 exec_lo, exec_lo, s13
                                        ; implicit-def: $vgpr18
                                        ; implicit-def: $vgpr12_vgpr13
                                        ; implicit-def: $vgpr19
.LBB6_10542:                            ;   in Loop: Header=BB6_9788 Depth=3
	s_and_not1_saveexec_b32 s13, s42
	s_cbranch_execz .LBB6_10548
; %bb.10543:                            ;   in Loop: Header=BB6_9788 Depth=3
	s_mov_b32 s42, exec_lo
                                        ; implicit-def: $vgpr51
	v_cmpx_ne_u64_e32 0, v[12:13]
	s_xor_b32 s42, exec_lo, s42
; %bb.10544:                            ;   in Loop: Header=BB6_9788 Depth=3
	v_or_b32_e32 v51, 0x7f, v19
                                        ; implicit-def: $vgpr18
; %bb.10545:                            ;   in Loop: Header=BB6_9788 Depth=3
	s_and_not1_saveexec_b32 s42, s42
; %bb.10546:                            ;   in Loop: Header=BB6_9788 Depth=3
	v_cmp_lt_i32_e32 vcc_lo, -1, v18
	v_mov_b32_e32 v12, 0x7c
	s_delay_alu instid0(VALU_DEP_1)
	v_cndmask_b32_e32 v51, 0xfc, v12, vcc_lo
; %bb.10547:                            ;   in Loop: Header=BB6_9788 Depth=3
	s_or_b32 exec_lo, exec_lo, s42
.LBB6_10548:                            ;   in Loop: Header=BB6_9788 Depth=3
	s_delay_alu instid0(SALU_CYCLE_1)
	s_or_b32 exec_lo, exec_lo, s13
	v_dual_mov_b32 v13, 0 :: v_dual_mov_b32 v18, 0
	s_mov_b32 s42, exec_lo
	v_cmpx_lt_u32_e32 0xffffff, v32
	s_cbranch_execz .LBB6_10558
; %bb.10549:                            ;   in Loop: Header=BB6_9788 Depth=3
	v_lshrrev_b32_e32 v12, 24, v32
	v_bfrev_b32_e32 v18, 1
	s_mov_b32 s43, exec_lo
	s_delay_alu instid0(VALU_DEP_2)
	v_cmpx_ne_u32_e32 0x80, v12
	s_cbranch_execz .LBB6_10557
; %bb.10550:                            ;   in Loop: Header=BB6_9788 Depth=3
	v_and_b32_e32 v18, 0x7c000000, v32
	v_bfe_u32 v19, v32, 24, 2
	s_delay_alu instid0(VALU_DEP_2) | instskip(SKIP_1) | instid1(SALU_CYCLE_1)
	v_cmp_ne_u32_e32 vcc_lo, 0x7c000000, v18
                                        ; implicit-def: $vgpr18
	s_and_saveexec_b32 s13, vcc_lo
	s_xor_b32 s13, exec_lo, s13
	s_cbranch_execz .LBB6_10554
; %bb.10551:                            ;   in Loop: Header=BB6_9788 Depth=3
	v_bfe_u32 v18, v32, 26, 5
	s_mov_b32 s72, exec_lo
	s_delay_alu instid0(VALU_DEP_1)
	v_cmpx_eq_u32_e32 0, v18
; %bb.10552:                            ;   in Loop: Header=BB6_9788 Depth=3
	v_clz_i32_u32_e32 v18, v19
	s_delay_alu instid0(VALU_DEP_1) | instskip(NEXT) | instid1(VALU_DEP_1)
	v_min_u32_e32 v18, 32, v18
	v_subrev_nc_u32_e32 v19, 29, v18
	v_sub_nc_u32_e32 v18, 30, v18
	s_delay_alu instid0(VALU_DEP_2) | instskip(NEXT) | instid1(VALU_DEP_1)
	v_lshlrev_b64_e32 v[22:23], v19, v[12:13]
	v_and_b32_e32 v19, 3, v22
; %bb.10553:                            ;   in Loop: Header=BB6_9788 Depth=3
	s_or_b32 exec_lo, exec_lo, s72
	v_and_b32_e32 v12, 0x80000000, v32
	s_delay_alu instid0(VALU_DEP_1) | instskip(NEXT) | instid1(VALU_DEP_1)
	v_lshl_add_u32 v12, v18, 23, v12
	v_lshl_or_b32 v12, v19, 21, v12
                                        ; implicit-def: $vgpr19
	s_delay_alu instid0(VALU_DEP_1)
	v_add_nc_u32_e32 v18, 0x38000000, v12
.LBB6_10554:                            ;   in Loop: Header=BB6_9788 Depth=3
	s_and_not1_saveexec_b32 s72, s13
; %bb.10555:                            ;   in Loop: Header=BB6_9788 Depth=3
	v_cmp_lt_i32_e64 s13, -1, v32
	v_mov_b32_e32 v12, 0x7f800000
	v_cmp_eq_u32_e32 vcc_lo, 0, v19
	s_delay_alu instid0(VALU_DEP_2) | instskip(NEXT) | instid1(VALU_DEP_1)
	v_cndmask_b32_e64 v12, 0xff800000, v12, s13
	v_cndmask_b32_e32 v18, 0x7f800001, v12, vcc_lo
; %bb.10556:                            ;   in Loop: Header=BB6_9788 Depth=3
	s_or_b32 exec_lo, exec_lo, s72
.LBB6_10557:                            ;   in Loop: Header=BB6_9788 Depth=3
	s_delay_alu instid0(SALU_CYCLE_1)
	s_or_b32 exec_lo, exec_lo, s43
.LBB6_10558:                            ;   in Loop: Header=BB6_9788 Depth=3
	s_delay_alu instid0(SALU_CYCLE_1) | instskip(NEXT) | instid1(SALU_CYCLE_1)
	s_or_b32 exec_lo, exec_lo, s42
	s_mov_b32 s42, exec_lo
	v_cmpx_lt_u32_e32 0xffffff, v24
	s_cbranch_execz .LBB6_10568
; %bb.10559:                            ;   in Loop: Header=BB6_9788 Depth=3
	v_lshrrev_b32_e32 v12, 24, v24
	v_bfrev_b32_e32 v13, 1
	s_mov_b32 s43, exec_lo
	s_delay_alu instid0(VALU_DEP_2)
	v_cmpx_ne_u32_e32 0x80, v12
	s_cbranch_execz .LBB6_10567
; %bb.10560:                            ;   in Loop: Header=BB6_9788 Depth=3
	v_and_b32_e32 v13, 0x7c000000, v24
	v_bfe_u32 v19, v24, 24, 2
	s_delay_alu instid0(VALU_DEP_2) | instskip(SKIP_1) | instid1(SALU_CYCLE_1)
	v_cmp_ne_u32_e32 vcc_lo, 0x7c000000, v13
                                        ; implicit-def: $vgpr13
	s_and_saveexec_b32 s13, vcc_lo
	s_xor_b32 s13, exec_lo, s13
	s_cbranch_execz .LBB6_10564
; %bb.10561:                            ;   in Loop: Header=BB6_9788 Depth=3
	v_bfe_u32 v13, v24, 26, 5
	s_mov_b32 s72, exec_lo
	s_delay_alu instid0(VALU_DEP_1)
	v_cmpx_eq_u32_e32 0, v13
; %bb.10562:                            ;   in Loop: Header=BB6_9788 Depth=3
	v_clz_i32_u32_e32 v13, v19
	s_delay_alu instid0(VALU_DEP_1) | instskip(NEXT) | instid1(VALU_DEP_1)
	v_min_u32_e32 v19, 32, v13
	v_subrev_nc_u32_e32 v13, 29, v19
	s_delay_alu instid0(VALU_DEP_1) | instskip(NEXT) | instid1(VALU_DEP_1)
	v_lshlrev_b64_e32 v[12:13], v13, v[12:13]
	v_dual_sub_nc_u32 v13, 30, v19 :: v_dual_bitop2_b32 v19, 3, v12 bitop3:0x40
; %bb.10563:                            ;   in Loop: Header=BB6_9788 Depth=3
	s_or_b32 exec_lo, exec_lo, s72
	v_and_b32_e32 v12, 0x80000000, v24
	s_delay_alu instid0(VALU_DEP_1) | instskip(NEXT) | instid1(VALU_DEP_1)
	v_lshl_add_u32 v12, v13, 23, v12
	v_lshl_or_b32 v12, v19, 21, v12
                                        ; implicit-def: $vgpr19
	s_delay_alu instid0(VALU_DEP_1)
	v_add_nc_u32_e32 v13, 0x38000000, v12
.LBB6_10564:                            ;   in Loop: Header=BB6_9788 Depth=3
	s_and_not1_saveexec_b32 s72, s13
; %bb.10565:                            ;   in Loop: Header=BB6_9788 Depth=3
	v_cmp_lt_i32_e64 s13, -1, v24
	v_mov_b32_e32 v12, 0x7f800000
	v_cmp_eq_u32_e32 vcc_lo, 0, v19
	s_delay_alu instid0(VALU_DEP_2) | instskip(NEXT) | instid1(VALU_DEP_1)
	v_cndmask_b32_e64 v12, 0xff800000, v12, s13
	v_cndmask_b32_e32 v13, 0x7f800001, v12, vcc_lo
; %bb.10566:                            ;   in Loop: Header=BB6_9788 Depth=3
	s_or_b32 exec_lo, exec_lo, s72
.LBB6_10567:                            ;   in Loop: Header=BB6_9788 Depth=3
	s_delay_alu instid0(SALU_CYCLE_1)
	s_or_b32 exec_lo, exec_lo, s43
.LBB6_10568:                            ;   in Loop: Header=BB6_9788 Depth=3
	s_delay_alu instid0(SALU_CYCLE_1) | instskip(NEXT) | instid1(VALU_DEP_1)
	s_or_b32 exec_lo, exec_lo, s42
	v_dual_mul_f32 v18, v18, v13 :: v_dual_mov_b32 v23, v21
	v_mov_b32_e32 v13, v21
                                        ; implicit-def: $vgpr69
	s_mov_b32 s13, exec_lo
	s_delay_alu instid0(VALU_DEP_2) | instskip(SKIP_2) | instid1(VALU_DEP_3)
	v_and_b32_e32 v22, 0x7f800000, v18
	v_and_b32_e32 v12, 0x7fffff, v18
	v_lshrrev_b32_e32 v19, 24, v18
	v_cmpx_ne_u64_e32 0x7f800000, v[22:23]
	s_xor_b32 s42, exec_lo, s13
	s_cbranch_execz .LBB6_10582
; %bb.10569:                            ;   in Loop: Header=BB6_9788 Depth=3
	v_and_b32_e32 v22, 0x7fffffff, v18
	v_mov_b32_e32 v23, v21
	v_and_b32_e32 v20, 0x80, v19
                                        ; implicit-def: $vgpr69
	s_mov_b32 s13, exec_lo
	s_delay_alu instid0(VALU_DEP_2)
	v_cmpx_gt_u64_e32 0x47600001, v[22:23]
	s_xor_b32 s43, exec_lo, s13
	s_cbranch_execz .LBB6_10579
; %bb.10570:                            ;   in Loop: Header=BB6_9788 Depth=3
	v_mov_b32_e32 v69, 0
	s_mov_b32 s72, exec_lo
	v_cmpx_ne_u32_e32 0, v18
	s_cbranch_execz .LBB6_10578
; %bb.10571:                            ;   in Loop: Header=BB6_9788 Depth=3
	v_bfe_u32 v22, v18, 23, 8
	v_or_b32_e32 v19, 0x800000, v12
	s_delay_alu instid0(VALU_DEP_2) | instskip(SKIP_2) | instid1(VALU_DEP_2)
	v_cmp_gt_u32_e64 s13, 0x72, v22
	v_sub_nc_u32_e32 v18, 0x71, v22
	v_cmp_eq_u32_e32 vcc_lo, 0, v22
	v_dual_cndmask_b32 v18, 0, v18, s13 :: v_dual_cndmask_b32 v12, v19, v12, vcc_lo
	s_delay_alu instid0(VALU_DEP_1) | instskip(NEXT) | instid1(VALU_DEP_1)
	v_cndmask_b32_e64 v23, v18, 0x70, vcc_lo
	v_dual_add_nc_u32 v18, 21, v23 :: v_dual_add_nc_u32 v69, 20, v23
	s_delay_alu instid0(VALU_DEP_1) | instskip(NEXT) | instid1(VALU_DEP_2)
	v_lshlrev_b64_e64 v[18:19], v18, -1
	v_lshlrev_b64_e64 v[70:71], v69, 1
	s_delay_alu instid0(VALU_DEP_2) | instskip(SKIP_1) | instid1(VALU_DEP_4)
	v_bfi_b32 v18, v18, 0, v12
	v_lshrrev_b64 v[12:13], v23, v[12:13]
	v_bfi_b32 v19, v19, 0, 0
	s_delay_alu instid0(VALU_DEP_1) | instskip(NEXT) | instid1(VALU_DEP_3)
	v_cmp_eq_u64_e64 s13, v[18:19], v[70:71]
	v_mov_b64_e32 v[18:19], v[12:13]
	s_and_saveexec_b32 s73, s13
; %bb.10572:                            ;   in Loop: Header=BB6_9788 Depth=3
	v_bfe_u32 v18, v12, 21, 1
	v_mov_b32_e32 v19, v21
	s_delay_alu instid0(VALU_DEP_1) | instskip(NEXT) | instid1(VALU_DEP_1)
	v_add_nc_u64_e32 v[18:19], v[12:13], v[18:19]
	v_add_nc_u64_e32 v[18:19], -1, v[18:19]
; %bb.10573:                            ;   in Loop: Header=BB6_9788 Depth=3
	s_or_b32 exec_lo, exec_lo, s73
	v_add_nc_u32_e32 v13, 0xffffff81, v22
	v_lshrrev_b32_e32 v19, 23, v12
	s_mov_b32 s13, exec_lo
	s_delay_alu instid0(VALU_DEP_2) | instskip(NEXT) | instid1(VALU_DEP_1)
	v_cndmask_b32_e64 v13, v13, 0xffffff82, vcc_lo
	v_add3_u32 v22, v23, v13, v19
	v_and_b32_e32 v13, 0x1fffff, v18
                                        ; implicit-def: $vgpr18
	s_delay_alu instid0(VALU_DEP_1) | instskip(SKIP_1) | instid1(VALU_DEP_2)
	v_dual_add_nc_u32 v19, 14, v22 :: v_dual_add_nc_u32 v12, v13, v12
	v_mov_b32_e32 v13, v21
	v_cmpx_ne_u32_e32 0, v19
	s_xor_b32 s13, exec_lo, s13
; %bb.10574:                            ;   in Loop: Header=BB6_9788 Depth=3
	s_delay_alu instid0(VALU_DEP_2) | instskip(SKIP_1) | instid1(VALU_DEP_1)
	v_cmp_lt_u64_e32 vcc_lo, 0xffffff, v[12:13]
	v_add_nc_u32_e32 v18, 15, v22
	v_cndmask_b32_e32 v18, v19, v18, vcc_lo
	v_cndmask_b32_e64 v19, 0, 1, vcc_lo
	s_delay_alu instid0(VALU_DEP_1)
	v_lshrrev_b64 v[12:13], v19, v[12:13]
; %bb.10575:                            ;   in Loop: Header=BB6_9788 Depth=3
	s_and_not1_saveexec_b32 s13, s13
; %bb.10576:                            ;   in Loop: Header=BB6_9788 Depth=3
	s_delay_alu instid0(VALU_DEP_1)
	v_bfe_u32 v18, v12, 23, 1
; %bb.10577:                            ;   in Loop: Header=BB6_9788 Depth=3
	s_or_b32 exec_lo, exec_lo, s13
	s_delay_alu instid0(VALU_DEP_2) | instskip(NEXT) | instid1(VALU_DEP_2)
	v_lshrrev_b64 v[12:13], 21, v[12:13]
	v_cmp_gt_i32_e32 vcc_lo, 32, v18
	v_min_i32_e32 v19, 31, v18
	v_cmp_eq_u32_e64 s13, 0, v18
	s_delay_alu instid0(VALU_DEP_2) | instskip(SKIP_1) | instid1(VALU_DEP_2)
	v_dual_cndmask_b32 v13, 0, v13, vcc_lo :: v_dual_lshlrev_b32 v19, 2, v19
	v_cndmask_b32_e32 v12, 3, v12, vcc_lo
	v_and_b32_e32 v19, 0xfc, v19
	s_delay_alu instid0(VALU_DEP_2) | instskip(NEXT) | instid1(VALU_DEP_2)
	v_cmp_eq_u64_e32 vcc_lo, 0, v[12:13]
	v_and_or_b32 v12, v12, 3, v19
	s_and_b32 s13, s13, vcc_lo
	s_delay_alu instid0(VALU_DEP_1) | instid1(SALU_CYCLE_1)
	v_cndmask_b32_e64 v12, v12, 0, s13
	s_delay_alu instid0(VALU_DEP_1)
	v_or_b32_e32 v69, v12, v20
.LBB6_10578:                            ;   in Loop: Header=BB6_9788 Depth=3
	s_or_b32 exec_lo, exec_lo, s72
                                        ; implicit-def: $vgpr20
.LBB6_10579:                            ;   in Loop: Header=BB6_9788 Depth=3
	s_and_not1_saveexec_b32 s13, s43
; %bb.10580:                            ;   in Loop: Header=BB6_9788 Depth=3
	v_or_b32_e32 v69, 0x7b, v20
; %bb.10581:                            ;   in Loop: Header=BB6_9788 Depth=3
	s_or_b32 exec_lo, exec_lo, s13
                                        ; implicit-def: $vgpr18
                                        ; implicit-def: $vgpr12_vgpr13
                                        ; implicit-def: $vgpr19
.LBB6_10582:                            ;   in Loop: Header=BB6_9788 Depth=3
	s_and_not1_saveexec_b32 s13, s42
	s_cbranch_execz .LBB6_10588
; %bb.10583:                            ;   in Loop: Header=BB6_9788 Depth=3
	s_mov_b32 s42, exec_lo
                                        ; implicit-def: $vgpr69
	v_cmpx_ne_u64_e32 0, v[12:13]
	s_xor_b32 s42, exec_lo, s42
; %bb.10584:                            ;   in Loop: Header=BB6_9788 Depth=3
	v_or_b32_e32 v69, 0x7f, v19
                                        ; implicit-def: $vgpr18
; %bb.10585:                            ;   in Loop: Header=BB6_9788 Depth=3
	s_and_not1_saveexec_b32 s42, s42
; %bb.10586:                            ;   in Loop: Header=BB6_9788 Depth=3
	v_cmp_lt_i32_e32 vcc_lo, -1, v18
	v_mov_b32_e32 v12, 0x7c
	s_delay_alu instid0(VALU_DEP_1)
	v_cndmask_b32_e32 v69, 0xfc, v12, vcc_lo
; %bb.10587:                            ;   in Loop: Header=BB6_9788 Depth=3
	s_or_b32 exec_lo, exec_lo, s42
.LBB6_10588:                            ;   in Loop: Header=BB6_9788 Depth=3
	s_delay_alu instid0(SALU_CYCLE_1) | instskip(SKIP_4) | instid1(VALU_DEP_3)
	s_or_b32 exec_lo, exec_lo, s13
	v_and_b32_e32 v20, 0xff, v33
	v_dual_mov_b32 v12, v33 :: v_dual_mov_b32 v13, v21
	v_dual_mov_b32 v19, 0 :: v_dual_mov_b32 v18, 0
	s_mov_b32 s42, exec_lo
	v_cmpx_ne_u16_e32 0, v20
	s_cbranch_execz .LBB6_10598
; %bb.10589:                            ;   in Loop: Header=BB6_9788 Depth=3
	v_bfrev_b32_e32 v18, 1
	s_mov_b32 s43, exec_lo
	v_cmpx_ne_u16_e32 0x80, v20
	s_cbranch_execz .LBB6_10597
; %bb.10590:                            ;   in Loop: Header=BB6_9788 Depth=3
	v_and_b32_e32 v18, 0x7c, v33
	v_and_b32_e32 v20, 3, v33
	s_delay_alu instid0(VALU_DEP_2) | instskip(SKIP_1) | instid1(SALU_CYCLE_1)
	v_cmp_ne_u32_e32 vcc_lo, 0x7c, v18
                                        ; implicit-def: $vgpr18
	s_and_saveexec_b32 s13, vcc_lo
	s_xor_b32 s13, exec_lo, s13
	s_cbranch_execz .LBB6_10594
; %bb.10591:                            ;   in Loop: Header=BB6_9788 Depth=3
	v_bfe_u32 v18, v33, 2, 5
	s_mov_b32 s72, exec_lo
	s_delay_alu instid0(VALU_DEP_1)
	v_cmpx_eq_u32_e32 0, v18
; %bb.10592:                            ;   in Loop: Header=BB6_9788 Depth=3
	v_clz_i32_u32_e32 v18, v20
	s_delay_alu instid0(VALU_DEP_1) | instskip(NEXT) | instid1(VALU_DEP_1)
	v_min_u32_e32 v18, 32, v18
	v_subrev_nc_u32_e32 v20, 29, v18
	v_sub_nc_u32_e32 v18, 30, v18
	s_delay_alu instid0(VALU_DEP_2) | instskip(NEXT) | instid1(VALU_DEP_1)
	v_lshlrev_b64_e32 v[22:23], v20, v[12:13]
	v_and_b32_e32 v20, 3, v22
; %bb.10593:                            ;   in Loop: Header=BB6_9788 Depth=3
	s_or_b32 exec_lo, exec_lo, s72
	v_lshlrev_b32_e32 v13, 24, v33
	s_delay_alu instid0(VALU_DEP_1) | instskip(NEXT) | instid1(VALU_DEP_1)
	v_and_b32_e32 v13, 0x80000000, v13
	v_lshl_add_u32 v13, v18, 23, v13
	s_delay_alu instid0(VALU_DEP_1) | instskip(NEXT) | instid1(VALU_DEP_1)
	v_lshl_or_b32 v13, v20, 21, v13
                                        ; implicit-def: $vgpr20
	v_add_nc_u32_e32 v18, 0x38000000, v13
.LBB6_10594:                            ;   in Loop: Header=BB6_9788 Depth=3
	s_and_not1_saveexec_b32 s72, s13
; %bb.10595:                            ;   in Loop: Header=BB6_9788 Depth=3
	v_bfe_i32 v13, v33, 0, 8
	v_cmp_eq_u32_e32 vcc_lo, 0, v20
	s_delay_alu instid0(VALU_DEP_2) | instskip(SKIP_1) | instid1(VALU_DEP_1)
	v_cmp_lt_i16_e64 s13, -1, v13
	v_mov_b32_e32 v13, 0x7f800000
	v_cndmask_b32_e64 v13, 0xff800000, v13, s13
	s_delay_alu instid0(VALU_DEP_1)
	v_cndmask_b32_e32 v18, 0x7f800001, v13, vcc_lo
; %bb.10596:                            ;   in Loop: Header=BB6_9788 Depth=3
	s_or_b32 exec_lo, exec_lo, s72
.LBB6_10597:                            ;   in Loop: Header=BB6_9788 Depth=3
	s_delay_alu instid0(SALU_CYCLE_1)
	s_or_b32 exec_lo, exec_lo, s43
.LBB6_10598:                            ;   in Loop: Header=BB6_9788 Depth=3
	s_delay_alu instid0(SALU_CYCLE_1) | instskip(SKIP_2) | instid1(VALU_DEP_1)
	s_or_b32 exec_lo, exec_lo, s42
	v_and_b32_e32 v13, 0xff, v25
	s_mov_b32 s42, exec_lo
	v_cmpx_ne_u16_e32 0, v13
	s_cbranch_execz .LBB6_10608
; %bb.10599:                            ;   in Loop: Header=BB6_9788 Depth=3
	v_bfrev_b32_e32 v19, 1
	s_mov_b32 s43, exec_lo
	v_cmpx_ne_u16_e32 0x80, v13
	s_cbranch_execz .LBB6_10607
; %bb.10600:                            ;   in Loop: Header=BB6_9788 Depth=3
	v_and_b32_e32 v19, 0x7c, v25
	v_and_b32_e32 v13, 3, v25
	s_delay_alu instid0(VALU_DEP_2) | instskip(SKIP_1) | instid1(SALU_CYCLE_1)
	v_cmp_ne_u32_e32 vcc_lo, 0x7c, v19
                                        ; implicit-def: $vgpr19
	s_and_saveexec_b32 s13, vcc_lo
	s_xor_b32 s13, exec_lo, s13
	s_cbranch_execz .LBB6_10604
; %bb.10601:                            ;   in Loop: Header=BB6_9788 Depth=3
	v_bfe_u32 v19, v25, 2, 5
	s_mov_b32 s72, exec_lo
	s_delay_alu instid0(VALU_DEP_1)
	v_cmpx_eq_u32_e32 0, v19
; %bb.10602:                            ;   in Loop: Header=BB6_9788 Depth=3
	v_clz_i32_u32_e32 v13, v13
	v_dual_mov_b32 v22, v25 :: v_dual_mov_b32 v23, v21
	s_delay_alu instid0(VALU_DEP_2) | instskip(NEXT) | instid1(VALU_DEP_1)
	v_min_u32_e32 v13, 32, v13
	v_subrev_nc_u32_e32 v19, 29, v13
	s_delay_alu instid0(VALU_DEP_1) | instskip(NEXT) | instid1(VALU_DEP_1)
	v_lshlrev_b64_e32 v[22:23], v19, v[22:23]
	v_dual_sub_nc_u32 v19, 30, v13 :: v_dual_bitop2_b32 v13, 3, v22 bitop3:0x40
; %bb.10603:                            ;   in Loop: Header=BB6_9788 Depth=3
	s_or_b32 exec_lo, exec_lo, s72
	v_lshlrev_b32_e32 v20, 24, v25
	s_delay_alu instid0(VALU_DEP_1) | instskip(NEXT) | instid1(VALU_DEP_1)
	v_and_b32_e32 v20, 0x80000000, v20
	v_lshl_add_u32 v19, v19, 23, v20
	s_delay_alu instid0(VALU_DEP_1) | instskip(NEXT) | instid1(VALU_DEP_1)
	v_lshl_or_b32 v13, v13, 21, v19
	v_add_nc_u32_e32 v19, 0x38000000, v13
                                        ; implicit-def: $vgpr13
.LBB6_10604:                            ;   in Loop: Header=BB6_9788 Depth=3
	s_and_not1_saveexec_b32 s72, s13
; %bb.10605:                            ;   in Loop: Header=BB6_9788 Depth=3
	v_bfe_i32 v19, v25, 0, 8
	v_cmp_eq_u32_e32 vcc_lo, 0, v13
	v_mov_b32_e32 v13, 0x7f800000
	s_delay_alu instid0(VALU_DEP_3) | instskip(NEXT) | instid1(VALU_DEP_1)
	v_cmp_lt_i16_e64 s13, -1, v19
	v_cndmask_b32_e64 v13, 0xff800000, v13, s13
	s_delay_alu instid0(VALU_DEP_1)
	v_cndmask_b32_e32 v19, 0x7f800001, v13, vcc_lo
; %bb.10606:                            ;   in Loop: Header=BB6_9788 Depth=3
	s_or_b32 exec_lo, exec_lo, s72
.LBB6_10607:                            ;   in Loop: Header=BB6_9788 Depth=3
	s_delay_alu instid0(SALU_CYCLE_1)
	s_or_b32 exec_lo, exec_lo, s43
.LBB6_10608:                            ;   in Loop: Header=BB6_9788 Depth=3
	s_delay_alu instid0(SALU_CYCLE_1) | instskip(NEXT) | instid1(VALU_DEP_1)
	s_or_b32 exec_lo, exec_lo, s42
	v_dual_mul_f32 v20, v18, v19 :: v_dual_mov_b32 v23, v21
	v_mov_b32_e32 v19, v21
                                        ; implicit-def: $vgpr70
	s_mov_b32 s13, exec_lo
	s_delay_alu instid0(VALU_DEP_2) | instskip(SKIP_2) | instid1(VALU_DEP_3)
	v_and_b32_e32 v22, 0x7f800000, v20
	v_and_b32_e32 v18, 0x7fffff, v20
	v_lshrrev_b32_e32 v13, 24, v20
	v_cmpx_ne_u64_e32 0x7f800000, v[22:23]
	s_xor_b32 s42, exec_lo, s13
	s_cbranch_execz .LBB6_10622
; %bb.10609:                            ;   in Loop: Header=BB6_9788 Depth=3
	v_and_b32_e32 v22, 0x7fffffff, v20
	v_mov_b32_e32 v23, v21
	v_and_b32_e32 v13, 0x80, v13
                                        ; implicit-def: $vgpr70
	s_mov_b32 s13, exec_lo
	s_delay_alu instid0(VALU_DEP_2)
	v_cmpx_gt_u64_e32 0x47600001, v[22:23]
	s_xor_b32 s43, exec_lo, s13
	s_cbranch_execz .LBB6_10619
; %bb.10610:                            ;   in Loop: Header=BB6_9788 Depth=3
	v_mov_b32_e32 v70, 0
	s_mov_b32 s72, exec_lo
	v_cmpx_ne_u32_e32 0, v20
	s_cbranch_execz .LBB6_10618
; %bb.10611:                            ;   in Loop: Header=BB6_9788 Depth=3
	v_bfe_u32 v20, v20, 23, 8
	v_or_b32_e32 v23, 0x800000, v18
	s_delay_alu instid0(VALU_DEP_2) | instskip(SKIP_2) | instid1(VALU_DEP_2)
	v_cmp_gt_u32_e64 s13, 0x72, v20
	v_sub_nc_u32_e32 v22, 0x71, v20
	v_cmp_eq_u32_e32 vcc_lo, 0, v20
	v_cndmask_b32_e64 v22, 0, v22, s13
	v_cndmask_b32_e32 v18, v23, v18, vcc_lo
	s_delay_alu instid0(VALU_DEP_2) | instskip(NEXT) | instid1(VALU_DEP_1)
	v_cndmask_b32_e64 v70, v22, 0x70, vcc_lo
	v_dual_add_nc_u32 v22, 21, v70 :: v_dual_add_nc_u32 v71, 20, v70
	s_delay_alu instid0(VALU_DEP_1) | instskip(NEXT) | instid1(VALU_DEP_2)
	v_lshlrev_b64_e64 v[22:23], v22, -1
	v_lshlrev_b64_e64 v[80:81], v71, 1
	s_delay_alu instid0(VALU_DEP_2) | instskip(SKIP_1) | instid1(VALU_DEP_4)
	v_bfi_b32 v22, v22, 0, v18
	v_lshrrev_b64 v[18:19], v70, v[18:19]
	v_bfi_b32 v23, v23, 0, 0
	s_delay_alu instid0(VALU_DEP_1) | instskip(NEXT) | instid1(VALU_DEP_3)
	v_cmp_eq_u64_e64 s13, v[22:23], v[80:81]
	v_mov_b64_e32 v[22:23], v[18:19]
	s_and_saveexec_b32 s73, s13
; %bb.10612:                            ;   in Loop: Header=BB6_9788 Depth=3
	v_bfe_u32 v22, v18, 21, 1
	v_mov_b32_e32 v23, v21
	s_delay_alu instid0(VALU_DEP_1) | instskip(NEXT) | instid1(VALU_DEP_1)
	v_add_nc_u64_e32 v[22:23], v[18:19], v[22:23]
	v_add_nc_u64_e32 v[22:23], -1, v[22:23]
; %bb.10613:                            ;   in Loop: Header=BB6_9788 Depth=3
	s_or_b32 exec_lo, exec_lo, s73
	v_add_nc_u32_e32 v19, 0xffffff81, v20
	v_lshrrev_b32_e32 v20, 23, v18
	s_mov_b32 s13, exec_lo
	s_delay_alu instid0(VALU_DEP_2) | instskip(NEXT) | instid1(VALU_DEP_1)
	v_cndmask_b32_e64 v19, v19, 0xffffff82, vcc_lo
	v_add3_u32 v23, v70, v19, v20
	v_and_b32_e32 v19, 0x1fffff, v22
                                        ; implicit-def: $vgpr20
	s_delay_alu instid0(VALU_DEP_1) | instskip(SKIP_1) | instid1(VALU_DEP_2)
	v_dual_add_nc_u32 v22, 14, v23 :: v_dual_add_nc_u32 v18, v19, v18
	v_mov_b32_e32 v19, v21
	v_cmpx_ne_u32_e32 0, v22
	s_xor_b32 s13, exec_lo, s13
; %bb.10614:                            ;   in Loop: Header=BB6_9788 Depth=3
	s_delay_alu instid0(VALU_DEP_2) | instskip(SKIP_1) | instid1(VALU_DEP_1)
	v_cmp_lt_u64_e32 vcc_lo, 0xffffff, v[18:19]
	v_add_nc_u32_e32 v20, 15, v23
	v_cndmask_b32_e32 v20, v22, v20, vcc_lo
	v_cndmask_b32_e64 v22, 0, 1, vcc_lo
	s_delay_alu instid0(VALU_DEP_1)
	v_lshrrev_b64 v[18:19], v22, v[18:19]
; %bb.10615:                            ;   in Loop: Header=BB6_9788 Depth=3
	s_and_not1_saveexec_b32 s13, s13
; %bb.10616:                            ;   in Loop: Header=BB6_9788 Depth=3
	s_delay_alu instid0(VALU_DEP_1)
	v_bfe_u32 v20, v18, 23, 1
; %bb.10617:                            ;   in Loop: Header=BB6_9788 Depth=3
	s_or_b32 exec_lo, exec_lo, s13
	s_delay_alu instid0(VALU_DEP_2) | instskip(NEXT) | instid1(VALU_DEP_2)
	v_lshrrev_b64 v[18:19], 21, v[18:19]
	v_cmp_gt_i32_e32 vcc_lo, 32, v20
	v_min_i32_e32 v22, 31, v20
	v_cmp_eq_u32_e64 s13, 0, v20
	s_delay_alu instid0(VALU_DEP_2) | instskip(SKIP_1) | instid1(VALU_DEP_2)
	v_dual_cndmask_b32 v19, 0, v19 :: v_dual_lshlrev_b32 v22, 2, v22
	v_cndmask_b32_e32 v18, 3, v18, vcc_lo
	v_and_b32_e32 v22, 0xfc, v22
	s_delay_alu instid0(VALU_DEP_2) | instskip(NEXT) | instid1(VALU_DEP_2)
	v_cmp_eq_u64_e32 vcc_lo, 0, v[18:19]
	v_and_or_b32 v18, v18, 3, v22
	s_and_b32 s13, s13, vcc_lo
	s_delay_alu instid0(VALU_DEP_1) | instid1(SALU_CYCLE_1)
	v_cndmask_b32_e64 v18, v18, 0, s13
	s_delay_alu instid0(VALU_DEP_1)
	v_or_b32_e32 v70, v18, v13
.LBB6_10618:                            ;   in Loop: Header=BB6_9788 Depth=3
	s_or_b32 exec_lo, exec_lo, s72
                                        ; implicit-def: $vgpr13
.LBB6_10619:                            ;   in Loop: Header=BB6_9788 Depth=3
	s_and_not1_saveexec_b32 s13, s43
; %bb.10620:                            ;   in Loop: Header=BB6_9788 Depth=3
	v_or_b32_e32 v70, 0x7b, v13
; %bb.10621:                            ;   in Loop: Header=BB6_9788 Depth=3
	s_or_b32 exec_lo, exec_lo, s13
                                        ; implicit-def: $vgpr20
                                        ; implicit-def: $vgpr18_vgpr19
                                        ; implicit-def: $vgpr13
.LBB6_10622:                            ;   in Loop: Header=BB6_9788 Depth=3
	s_and_not1_saveexec_b32 s13, s42
	s_cbranch_execz .LBB6_10628
; %bb.10623:                            ;   in Loop: Header=BB6_9788 Depth=3
	s_mov_b32 s42, exec_lo
                                        ; implicit-def: $vgpr70
	v_cmpx_ne_u64_e32 0, v[18:19]
	s_xor_b32 s42, exec_lo, s42
; %bb.10624:                            ;   in Loop: Header=BB6_9788 Depth=3
	v_or_b32_e32 v70, 0x7f, v13
                                        ; implicit-def: $vgpr20
; %bb.10625:                            ;   in Loop: Header=BB6_9788 Depth=3
	s_and_not1_saveexec_b32 s42, s42
; %bb.10626:                            ;   in Loop: Header=BB6_9788 Depth=3
	v_cmp_lt_i32_e32 vcc_lo, -1, v20
	v_mov_b32_e32 v13, 0x7c
	s_delay_alu instid0(VALU_DEP_1)
	v_cndmask_b32_e32 v70, 0xfc, v13, vcc_lo
; %bb.10627:                            ;   in Loop: Header=BB6_9788 Depth=3
	s_or_b32 exec_lo, exec_lo, s42
.LBB6_10628:                            ;   in Loop: Header=BB6_9788 Depth=3
	s_delay_alu instid0(SALU_CYCLE_1) | instskip(SKIP_3) | instid1(VALU_DEP_2)
	s_or_b32 exec_lo, exec_lo, s13
	v_lshrrev_b16 v18, 8, v12
	v_dual_mov_b32 v20, 0 :: v_dual_mov_b32 v19, 0
	s_mov_b32 s42, exec_lo
	v_cmpx_ne_u16_e32 0, v18
	s_cbranch_execz .LBB6_10638
; %bb.10629:                            ;   in Loop: Header=BB6_9788 Depth=3
	v_bfrev_b32_e32 v19, 1
	s_mov_b32 s43, exec_lo
	v_cmpx_ne_u16_e32 0x80, v18
	s_cbranch_execz .LBB6_10637
; %bb.10630:                            ;   in Loop: Header=BB6_9788 Depth=3
	v_and_b32_e32 v13, 0xffff, v18
	s_delay_alu instid0(VALU_DEP_1) | instskip(SKIP_1) | instid1(VALU_DEP_2)
	v_and_b32_e32 v19, 0x7c, v13
	v_and_b32_e32 v22, 3, v13
	v_cmp_ne_u32_e32 vcc_lo, 0x7c, v19
                                        ; implicit-def: $vgpr19
	s_and_saveexec_b32 s13, vcc_lo
	s_delay_alu instid0(SALU_CYCLE_1)
	s_xor_b32 s13, exec_lo, s13
	s_cbranch_execz .LBB6_10634
; %bb.10631:                            ;   in Loop: Header=BB6_9788 Depth=3
	v_bfe_u32 v13, v13, 2, 5
	s_mov_b32 s72, exec_lo
	s_delay_alu instid0(VALU_DEP_1)
	v_cmpx_eq_u32_e32 0, v13
	s_cbranch_execz .LBB6_10633
; %bb.10632:                            ;   in Loop: Header=BB6_9788 Depth=3
	v_clz_i32_u32_e32 v13, v22
	s_delay_alu instid0(VALU_DEP_1) | instskip(SKIP_1) | instid1(VALU_DEP_2)
	v_min_u32_e32 v13, 32, v13
	v_mov_b32_e32 v19, v21
	v_subrev_nc_u32_e32 v22, 29, v13
	v_sub_nc_u32_e32 v13, 30, v13
	s_delay_alu instid0(VALU_DEP_2) | instskip(NEXT) | instid1(VALU_DEP_1)
	v_lshlrev_b64_e32 v[18:19], v22, v[18:19]
	v_and_b32_e32 v22, 3, v18
.LBB6_10633:                            ;   in Loop: Header=BB6_9788 Depth=3
	s_or_b32 exec_lo, exec_lo, s72
	v_lshlrev_b32_e32 v12, 16, v12
	s_delay_alu instid0(VALU_DEP_1) | instskip(NEXT) | instid1(VALU_DEP_1)
	v_and_b32_e32 v12, 0x80000000, v12
	v_lshl_add_u32 v12, v13, 23, v12
	s_delay_alu instid0(VALU_DEP_1) | instskip(NEXT) | instid1(VALU_DEP_1)
	v_lshl_or_b32 v12, v22, 21, v12
                                        ; implicit-def: $vgpr22
	v_add_nc_u32_e32 v19, 0x38000000, v12
                                        ; implicit-def: $vgpr12_vgpr13
.LBB6_10634:                            ;   in Loop: Header=BB6_9788 Depth=3
	s_and_not1_saveexec_b32 s72, s13
; %bb.10635:                            ;   in Loop: Header=BB6_9788 Depth=3
	v_cmp_lt_i16_e64 s13, -1, v12
	v_mov_b32_e32 v12, 0x7f800000
	v_cmp_eq_u32_e32 vcc_lo, 0, v22
	s_delay_alu instid0(VALU_DEP_2) | instskip(NEXT) | instid1(VALU_DEP_1)
	v_cndmask_b32_e64 v12, 0xff800000, v12, s13
	v_cndmask_b32_e32 v19, 0x7f800001, v12, vcc_lo
; %bb.10636:                            ;   in Loop: Header=BB6_9788 Depth=3
	s_or_b32 exec_lo, exec_lo, s72
.LBB6_10637:                            ;   in Loop: Header=BB6_9788 Depth=3
	s_delay_alu instid0(SALU_CYCLE_1)
	s_or_b32 exec_lo, exec_lo, s43
.LBB6_10638:                            ;   in Loop: Header=BB6_9788 Depth=3
	s_delay_alu instid0(SALU_CYCLE_1) | instskip(SKIP_2) | instid1(VALU_DEP_1)
	s_or_b32 exec_lo, exec_lo, s42
	v_lshrrev_b16 v12, 8, v25
	s_mov_b32 s42, exec_lo
	v_cmpx_ne_u16_e32 0, v12
	s_cbranch_execz .LBB6_10648
; %bb.10639:                            ;   in Loop: Header=BB6_9788 Depth=3
	v_bfrev_b32_e32 v20, 1
	s_mov_b32 s43, exec_lo
	v_cmpx_ne_u16_e32 0x80, v12
	s_cbranch_execz .LBB6_10647
; %bb.10640:                            ;   in Loop: Header=BB6_9788 Depth=3
	v_and_b32_e32 v18, 0xffff, v12
	s_delay_alu instid0(VALU_DEP_1) | instskip(SKIP_1) | instid1(VALU_DEP_2)
	v_and_b32_e32 v20, 0x7c, v18
	v_and_b32_e32 v13, 3, v18
	v_cmp_ne_u32_e32 vcc_lo, 0x7c, v20
                                        ; implicit-def: $vgpr20
	s_and_saveexec_b32 s13, vcc_lo
	s_delay_alu instid0(SALU_CYCLE_1)
	s_xor_b32 s13, exec_lo, s13
	s_cbranch_execz .LBB6_10644
; %bb.10641:                            ;   in Loop: Header=BB6_9788 Depth=3
	v_bfe_u32 v18, v18, 2, 5
	s_mov_b32 s72, exec_lo
	s_delay_alu instid0(VALU_DEP_1)
	v_cmpx_eq_u32_e32 0, v18
	s_cbranch_execz .LBB6_10643
; %bb.10642:                            ;   in Loop: Header=BB6_9788 Depth=3
	v_clz_i32_u32_e32 v13, v13
	s_delay_alu instid0(VALU_DEP_1) | instskip(SKIP_1) | instid1(VALU_DEP_2)
	v_min_u32_e32 v18, 32, v13
	v_mov_b32_e32 v13, v21
	v_subrev_nc_u32_e32 v20, 29, v18
	v_sub_nc_u32_e32 v18, 30, v18
	s_delay_alu instid0(VALU_DEP_2) | instskip(NEXT) | instid1(VALU_DEP_1)
	v_lshlrev_b64_e32 v[12:13], v20, v[12:13]
	v_and_b32_e32 v13, 3, v12
.LBB6_10643:                            ;   in Loop: Header=BB6_9788 Depth=3
	s_or_b32 exec_lo, exec_lo, s72
	v_lshlrev_b32_e32 v12, 16, v25
	s_delay_alu instid0(VALU_DEP_1) | instskip(NEXT) | instid1(VALU_DEP_1)
	v_and_b32_e32 v12, 0x80000000, v12
	v_lshl_add_u32 v12, v18, 23, v12
	s_delay_alu instid0(VALU_DEP_1) | instskip(NEXT) | instid1(VALU_DEP_1)
	v_lshl_or_b32 v12, v13, 21, v12
                                        ; implicit-def: $vgpr13
	v_add_nc_u32_e32 v20, 0x38000000, v12
.LBB6_10644:                            ;   in Loop: Header=BB6_9788 Depth=3
	s_and_not1_saveexec_b32 s72, s13
; %bb.10645:                            ;   in Loop: Header=BB6_9788 Depth=3
	v_cmp_lt_i16_e64 s13, -1, v25
	v_mov_b32_e32 v12, 0x7f800000
	v_cmp_eq_u32_e32 vcc_lo, 0, v13
	s_delay_alu instid0(VALU_DEP_2) | instskip(NEXT) | instid1(VALU_DEP_1)
	v_cndmask_b32_e64 v12, 0xff800000, v12, s13
	v_cndmask_b32_e32 v20, 0x7f800001, v12, vcc_lo
; %bb.10646:                            ;   in Loop: Header=BB6_9788 Depth=3
	s_or_b32 exec_lo, exec_lo, s72
.LBB6_10647:                            ;   in Loop: Header=BB6_9788 Depth=3
	s_delay_alu instid0(SALU_CYCLE_1)
	s_or_b32 exec_lo, exec_lo, s43
.LBB6_10648:                            ;   in Loop: Header=BB6_9788 Depth=3
	s_delay_alu instid0(SALU_CYCLE_1) | instskip(NEXT) | instid1(VALU_DEP_1)
	s_or_b32 exec_lo, exec_lo, s42
	v_dual_mul_f32 v18, v19, v20 :: v_dual_mov_b32 v23, v21
	v_mov_b32_e32 v13, v21
                                        ; implicit-def: $vgpr71
	s_mov_b32 s13, exec_lo
	s_delay_alu instid0(VALU_DEP_2) | instskip(SKIP_2) | instid1(VALU_DEP_3)
	v_and_b32_e32 v22, 0x7f800000, v18
	v_and_b32_e32 v12, 0x7fffff, v18
	v_lshrrev_b32_e32 v19, 24, v18
	v_cmpx_ne_u64_e32 0x7f800000, v[22:23]
	s_xor_b32 s42, exec_lo, s13
	s_cbranch_execz .LBB6_10662
; %bb.10649:                            ;   in Loop: Header=BB6_9788 Depth=3
	v_and_b32_e32 v22, 0x7fffffff, v18
	v_mov_b32_e32 v23, v21
	v_and_b32_e32 v20, 0x80, v19
                                        ; implicit-def: $vgpr71
	s_mov_b32 s13, exec_lo
	s_delay_alu instid0(VALU_DEP_2)
	v_cmpx_gt_u64_e32 0x47600001, v[22:23]
	s_xor_b32 s43, exec_lo, s13
	s_cbranch_execz .LBB6_10659
; %bb.10650:                            ;   in Loop: Header=BB6_9788 Depth=3
	v_mov_b32_e32 v71, 0
	s_mov_b32 s72, exec_lo
	v_cmpx_ne_u32_e32 0, v18
	s_cbranch_execz .LBB6_10658
; %bb.10651:                            ;   in Loop: Header=BB6_9788 Depth=3
	v_bfe_u32 v22, v18, 23, 8
	v_or_b32_e32 v19, 0x800000, v12
	s_delay_alu instid0(VALU_DEP_2) | instskip(SKIP_2) | instid1(VALU_DEP_2)
	v_cmp_gt_u32_e64 s13, 0x72, v22
	v_sub_nc_u32_e32 v18, 0x71, v22
	v_cmp_eq_u32_e32 vcc_lo, 0, v22
	v_dual_cndmask_b32 v18, 0, v18, s13 :: v_dual_cndmask_b32 v12, v19, v12, vcc_lo
	s_delay_alu instid0(VALU_DEP_1) | instskip(NEXT) | instid1(VALU_DEP_1)
	v_cndmask_b32_e64 v23, v18, 0x70, vcc_lo
	v_dual_add_nc_u32 v18, 21, v23 :: v_dual_add_nc_u32 v71, 20, v23
	s_delay_alu instid0(VALU_DEP_1) | instskip(NEXT) | instid1(VALU_DEP_2)
	v_lshlrev_b64_e64 v[18:19], v18, -1
	v_lshlrev_b64_e64 v[80:81], v71, 1
	s_delay_alu instid0(VALU_DEP_2) | instskip(SKIP_1) | instid1(VALU_DEP_4)
	v_bfi_b32 v18, v18, 0, v12
	v_lshrrev_b64 v[12:13], v23, v[12:13]
	v_bfi_b32 v19, v19, 0, 0
	s_delay_alu instid0(VALU_DEP_1) | instskip(NEXT) | instid1(VALU_DEP_3)
	v_cmp_eq_u64_e64 s13, v[18:19], v[80:81]
	v_mov_b64_e32 v[18:19], v[12:13]
	s_and_saveexec_b32 s73, s13
; %bb.10652:                            ;   in Loop: Header=BB6_9788 Depth=3
	v_bfe_u32 v18, v12, 21, 1
	v_mov_b32_e32 v19, v21
	s_delay_alu instid0(VALU_DEP_1) | instskip(NEXT) | instid1(VALU_DEP_1)
	v_add_nc_u64_e32 v[18:19], v[12:13], v[18:19]
	v_add_nc_u64_e32 v[18:19], -1, v[18:19]
; %bb.10653:                            ;   in Loop: Header=BB6_9788 Depth=3
	s_or_b32 exec_lo, exec_lo, s73
	v_add_nc_u32_e32 v13, 0xffffff81, v22
	v_lshrrev_b32_e32 v19, 23, v12
	s_mov_b32 s13, exec_lo
	s_delay_alu instid0(VALU_DEP_2) | instskip(NEXT) | instid1(VALU_DEP_1)
	v_cndmask_b32_e64 v13, v13, 0xffffff82, vcc_lo
	v_add3_u32 v22, v23, v13, v19
	v_and_b32_e32 v13, 0x1fffff, v18
                                        ; implicit-def: $vgpr18
	s_delay_alu instid0(VALU_DEP_1) | instskip(SKIP_1) | instid1(VALU_DEP_2)
	v_dual_add_nc_u32 v19, 14, v22 :: v_dual_add_nc_u32 v12, v13, v12
	v_mov_b32_e32 v13, v21
	v_cmpx_ne_u32_e32 0, v19
	s_xor_b32 s13, exec_lo, s13
; %bb.10654:                            ;   in Loop: Header=BB6_9788 Depth=3
	s_delay_alu instid0(VALU_DEP_2) | instskip(SKIP_1) | instid1(VALU_DEP_1)
	v_cmp_lt_u64_e32 vcc_lo, 0xffffff, v[12:13]
	v_add_nc_u32_e32 v18, 15, v22
	v_cndmask_b32_e32 v18, v19, v18, vcc_lo
	v_cndmask_b32_e64 v19, 0, 1, vcc_lo
	s_delay_alu instid0(VALU_DEP_1)
	v_lshrrev_b64 v[12:13], v19, v[12:13]
; %bb.10655:                            ;   in Loop: Header=BB6_9788 Depth=3
	s_and_not1_saveexec_b32 s13, s13
; %bb.10656:                            ;   in Loop: Header=BB6_9788 Depth=3
	s_delay_alu instid0(VALU_DEP_1)
	v_bfe_u32 v18, v12, 23, 1
; %bb.10657:                            ;   in Loop: Header=BB6_9788 Depth=3
	s_or_b32 exec_lo, exec_lo, s13
	s_delay_alu instid0(VALU_DEP_2) | instskip(NEXT) | instid1(VALU_DEP_2)
	v_lshrrev_b64 v[12:13], 21, v[12:13]
	v_cmp_gt_i32_e32 vcc_lo, 32, v18
	v_min_i32_e32 v19, 31, v18
	v_cmp_eq_u32_e64 s13, 0, v18
	s_delay_alu instid0(VALU_DEP_2) | instskip(SKIP_1) | instid1(VALU_DEP_2)
	v_dual_cndmask_b32 v13, 0, v13, vcc_lo :: v_dual_lshlrev_b32 v19, 2, v19
	v_cndmask_b32_e32 v12, 3, v12, vcc_lo
	v_and_b32_e32 v19, 0xfc, v19
	s_delay_alu instid0(VALU_DEP_2) | instskip(NEXT) | instid1(VALU_DEP_2)
	v_cmp_eq_u64_e32 vcc_lo, 0, v[12:13]
	v_and_or_b32 v12, v12, 3, v19
	s_and_b32 s13, s13, vcc_lo
	s_delay_alu instid0(VALU_DEP_1) | instid1(SALU_CYCLE_1)
	v_cndmask_b32_e64 v12, v12, 0, s13
	s_delay_alu instid0(VALU_DEP_1)
	v_or_b32_e32 v71, v12, v20
.LBB6_10658:                            ;   in Loop: Header=BB6_9788 Depth=3
	s_or_b32 exec_lo, exec_lo, s72
                                        ; implicit-def: $vgpr20
.LBB6_10659:                            ;   in Loop: Header=BB6_9788 Depth=3
	s_and_not1_saveexec_b32 s13, s43
; %bb.10660:                            ;   in Loop: Header=BB6_9788 Depth=3
	v_or_b32_e32 v71, 0x7b, v20
; %bb.10661:                            ;   in Loop: Header=BB6_9788 Depth=3
	s_or_b32 exec_lo, exec_lo, s13
                                        ; implicit-def: $vgpr18
                                        ; implicit-def: $vgpr12_vgpr13
                                        ; implicit-def: $vgpr19
.LBB6_10662:                            ;   in Loop: Header=BB6_9788 Depth=3
	s_and_not1_saveexec_b32 s13, s42
	s_cbranch_execz .LBB6_10668
; %bb.10663:                            ;   in Loop: Header=BB6_9788 Depth=3
	s_mov_b32 s42, exec_lo
                                        ; implicit-def: $vgpr71
	v_cmpx_ne_u64_e32 0, v[12:13]
	s_xor_b32 s42, exec_lo, s42
; %bb.10664:                            ;   in Loop: Header=BB6_9788 Depth=3
	v_or_b32_e32 v71, 0x7f, v19
                                        ; implicit-def: $vgpr18
; %bb.10665:                            ;   in Loop: Header=BB6_9788 Depth=3
	s_and_not1_saveexec_b32 s42, s42
; %bb.10666:                            ;   in Loop: Header=BB6_9788 Depth=3
	v_cmp_lt_i32_e32 vcc_lo, -1, v18
	v_mov_b32_e32 v12, 0x7c
	s_delay_alu instid0(VALU_DEP_1)
	v_cndmask_b32_e32 v71, 0xfc, v12, vcc_lo
; %bb.10667:                            ;   in Loop: Header=BB6_9788 Depth=3
	s_or_b32 exec_lo, exec_lo, s42
.LBB6_10668:                            ;   in Loop: Header=BB6_9788 Depth=3
	s_delay_alu instid0(SALU_CYCLE_1) | instskip(SKIP_3) | instid1(VALU_DEP_2)
	s_or_b32 exec_lo, exec_lo, s13
	v_dual_mov_b32 v13, 0 :: v_dual_lshrrev_b32 v12, 16, v33
	v_mov_b32_e32 v18, 0
	s_mov_b32 s42, exec_lo
	v_and_b32_e32 v19, 0xff, v12
	s_delay_alu instid0(VALU_DEP_1)
	v_cmpx_ne_u16_e32 0, v19
	s_cbranch_execz .LBB6_10678
; %bb.10669:                            ;   in Loop: Header=BB6_9788 Depth=3
	v_bfrev_b32_e32 v18, 1
	s_mov_b32 s43, exec_lo
	v_cmpx_ne_u16_e32 0x80, v19
	s_cbranch_execz .LBB6_10677
; %bb.10670:                            ;   in Loop: Header=BB6_9788 Depth=3
	v_and_b32_e32 v18, 0x7c0000, v33
	v_bfe_u32 v19, v33, 16, 2
	s_delay_alu instid0(VALU_DEP_2) | instskip(SKIP_1) | instid1(SALU_CYCLE_1)
	v_cmp_ne_u32_e32 vcc_lo, 0x7c0000, v18
                                        ; implicit-def: $vgpr18
	s_and_saveexec_b32 s13, vcc_lo
	s_xor_b32 s13, exec_lo, s13
	s_cbranch_execz .LBB6_10674
; %bb.10671:                            ;   in Loop: Header=BB6_9788 Depth=3
	v_bfe_u32 v18, v33, 18, 5
	s_mov_b32 s72, exec_lo
	s_delay_alu instid0(VALU_DEP_1)
	v_cmpx_eq_u32_e32 0, v18
; %bb.10672:                            ;   in Loop: Header=BB6_9788 Depth=3
	v_clz_i32_u32_e32 v18, v19
	s_delay_alu instid0(VALU_DEP_1) | instskip(NEXT) | instid1(VALU_DEP_1)
	v_min_u32_e32 v18, 32, v18
	v_subrev_nc_u32_e32 v19, 29, v18
	v_sub_nc_u32_e32 v18, 30, v18
	s_delay_alu instid0(VALU_DEP_2) | instskip(NEXT) | instid1(VALU_DEP_1)
	v_lshlrev_b64_e32 v[22:23], v19, v[12:13]
	v_and_b32_e32 v19, 3, v22
; %bb.10673:                            ;   in Loop: Header=BB6_9788 Depth=3
	s_or_b32 exec_lo, exec_lo, s72
	v_lshlrev_b32_e32 v12, 24, v12
	s_delay_alu instid0(VALU_DEP_1) | instskip(NEXT) | instid1(VALU_DEP_1)
	v_and_b32_e32 v12, 0x80000000, v12
	v_lshl_add_u32 v12, v18, 23, v12
	s_delay_alu instid0(VALU_DEP_1) | instskip(NEXT) | instid1(VALU_DEP_1)
	v_lshl_or_b32 v12, v19, 21, v12
                                        ; implicit-def: $vgpr19
	v_add_nc_u32_e32 v18, 0x38000000, v12
                                        ; implicit-def: $vgpr12
.LBB6_10674:                            ;   in Loop: Header=BB6_9788 Depth=3
	s_and_not1_saveexec_b32 s72, s13
; %bb.10675:                            ;   in Loop: Header=BB6_9788 Depth=3
	v_bfe_i32 v12, v12, 0, 8
	v_cmp_eq_u32_e32 vcc_lo, 0, v19
	s_delay_alu instid0(VALU_DEP_2) | instskip(SKIP_1) | instid1(VALU_DEP_1)
	v_cmp_lt_i16_e64 s13, -1, v12
	v_mov_b32_e32 v12, 0x7f800000
	v_cndmask_b32_e64 v12, 0xff800000, v12, s13
	s_delay_alu instid0(VALU_DEP_1)
	v_cndmask_b32_e32 v18, 0x7f800001, v12, vcc_lo
; %bb.10676:                            ;   in Loop: Header=BB6_9788 Depth=3
	s_or_b32 exec_lo, exec_lo, s72
.LBB6_10677:                            ;   in Loop: Header=BB6_9788 Depth=3
	s_delay_alu instid0(SALU_CYCLE_1)
	s_or_b32 exec_lo, exec_lo, s43
.LBB6_10678:                            ;   in Loop: Header=BB6_9788 Depth=3
	s_delay_alu instid0(SALU_CYCLE_1) | instskip(SKIP_2) | instid1(VALU_DEP_1)
	s_or_b32 exec_lo, exec_lo, s42
	v_lshrrev_b32_e32 v12, 16, v25
	s_mov_b32 s42, exec_lo
	v_and_b32_e32 v19, 0xff, v12
	s_delay_alu instid0(VALU_DEP_1)
	v_cmpx_ne_u16_e32 0, v19
	s_cbranch_execz .LBB6_10688
; %bb.10679:                            ;   in Loop: Header=BB6_9788 Depth=3
	v_bfrev_b32_e32 v13, 1
	s_mov_b32 s43, exec_lo
	v_cmpx_ne_u16_e32 0x80, v19
	s_cbranch_execz .LBB6_10687
; %bb.10680:                            ;   in Loop: Header=BB6_9788 Depth=3
	v_and_b32_e32 v13, 0x7c0000, v25
	v_bfe_u32 v19, v25, 16, 2
	s_delay_alu instid0(VALU_DEP_2) | instskip(SKIP_1) | instid1(SALU_CYCLE_1)
	v_cmp_ne_u32_e32 vcc_lo, 0x7c0000, v13
                                        ; implicit-def: $vgpr13
	s_and_saveexec_b32 s13, vcc_lo
	s_xor_b32 s13, exec_lo, s13
	s_cbranch_execz .LBB6_10684
; %bb.10681:                            ;   in Loop: Header=BB6_9788 Depth=3
	v_bfe_u32 v13, v25, 18, 5
	s_mov_b32 s72, exec_lo
	s_delay_alu instid0(VALU_DEP_1)
	v_cmpx_eq_u32_e32 0, v13
; %bb.10682:                            ;   in Loop: Header=BB6_9788 Depth=3
	v_clz_i32_u32_e32 v13, v19
	s_delay_alu instid0(VALU_DEP_1) | instskip(NEXT) | instid1(VALU_DEP_1)
	v_min_u32_e32 v13, 32, v13
	v_subrev_nc_u32_e32 v19, 29, v13
	s_delay_alu instid0(VALU_DEP_1) | instskip(NEXT) | instid1(VALU_DEP_1)
	v_lshlrev_b64_e32 v[22:23], v19, v[12:13]
	v_dual_sub_nc_u32 v13, 30, v13 :: v_dual_bitop2_b32 v19, 3, v22 bitop3:0x40
; %bb.10683:                            ;   in Loop: Header=BB6_9788 Depth=3
	s_or_b32 exec_lo, exec_lo, s72
	v_lshlrev_b32_e32 v12, 24, v12
	s_delay_alu instid0(VALU_DEP_1) | instskip(NEXT) | instid1(VALU_DEP_1)
	v_and_b32_e32 v12, 0x80000000, v12
	v_lshl_add_u32 v12, v13, 23, v12
	s_delay_alu instid0(VALU_DEP_1) | instskip(NEXT) | instid1(VALU_DEP_1)
	v_lshl_or_b32 v12, v19, 21, v12
                                        ; implicit-def: $vgpr19
	v_add_nc_u32_e32 v13, 0x38000000, v12
                                        ; implicit-def: $vgpr12
.LBB6_10684:                            ;   in Loop: Header=BB6_9788 Depth=3
	s_and_not1_saveexec_b32 s72, s13
; %bb.10685:                            ;   in Loop: Header=BB6_9788 Depth=3
	v_bfe_i32 v12, v12, 0, 8
	v_cmp_eq_u32_e32 vcc_lo, 0, v19
	s_delay_alu instid0(VALU_DEP_2) | instskip(SKIP_1) | instid1(VALU_DEP_1)
	v_cmp_lt_i16_e64 s13, -1, v12
	v_mov_b32_e32 v12, 0x7f800000
	v_cndmask_b32_e64 v12, 0xff800000, v12, s13
	s_delay_alu instid0(VALU_DEP_1)
	v_cndmask_b32_e32 v13, 0x7f800001, v12, vcc_lo
; %bb.10686:                            ;   in Loop: Header=BB6_9788 Depth=3
	s_or_b32 exec_lo, exec_lo, s72
.LBB6_10687:                            ;   in Loop: Header=BB6_9788 Depth=3
	s_delay_alu instid0(SALU_CYCLE_1)
	s_or_b32 exec_lo, exec_lo, s43
.LBB6_10688:                            ;   in Loop: Header=BB6_9788 Depth=3
	s_delay_alu instid0(SALU_CYCLE_1) | instskip(NEXT) | instid1(VALU_DEP_1)
	s_or_b32 exec_lo, exec_lo, s42
	v_dual_mul_f32 v18, v18, v13 :: v_dual_mov_b32 v23, v21
	v_mov_b32_e32 v13, v21
                                        ; implicit-def: $vgpr80
	s_mov_b32 s13, exec_lo
	s_delay_alu instid0(VALU_DEP_2) | instskip(SKIP_2) | instid1(VALU_DEP_3)
	v_and_b32_e32 v22, 0x7f800000, v18
	v_and_b32_e32 v12, 0x7fffff, v18
	v_lshrrev_b32_e32 v19, 24, v18
	v_cmpx_ne_u64_e32 0x7f800000, v[22:23]
	s_xor_b32 s42, exec_lo, s13
	s_cbranch_execz .LBB6_10702
; %bb.10689:                            ;   in Loop: Header=BB6_9788 Depth=3
	v_and_b32_e32 v22, 0x7fffffff, v18
	v_mov_b32_e32 v23, v21
	v_and_b32_e32 v20, 0x80, v19
                                        ; implicit-def: $vgpr80
	s_mov_b32 s13, exec_lo
	s_delay_alu instid0(VALU_DEP_2)
	v_cmpx_gt_u64_e32 0x47600001, v[22:23]
	s_xor_b32 s43, exec_lo, s13
	s_cbranch_execz .LBB6_10699
; %bb.10690:                            ;   in Loop: Header=BB6_9788 Depth=3
	v_mov_b32_e32 v80, 0
	s_mov_b32 s72, exec_lo
	v_cmpx_ne_u32_e32 0, v18
	s_cbranch_execz .LBB6_10698
; %bb.10691:                            ;   in Loop: Header=BB6_9788 Depth=3
	v_bfe_u32 v22, v18, 23, 8
	v_or_b32_e32 v19, 0x800000, v12
	s_delay_alu instid0(VALU_DEP_2) | instskip(SKIP_2) | instid1(VALU_DEP_2)
	v_cmp_gt_u32_e64 s13, 0x72, v22
	v_sub_nc_u32_e32 v18, 0x71, v22
	v_cmp_eq_u32_e32 vcc_lo, 0, v22
	v_dual_cndmask_b32 v18, 0, v18, s13 :: v_dual_cndmask_b32 v12, v19, v12, vcc_lo
	s_delay_alu instid0(VALU_DEP_1) | instskip(NEXT) | instid1(VALU_DEP_1)
	v_cndmask_b32_e64 v23, v18, 0x70, vcc_lo
	v_dual_add_nc_u32 v18, 21, v23 :: v_dual_add_nc_u32 v80, 20, v23
	s_delay_alu instid0(VALU_DEP_1) | instskip(NEXT) | instid1(VALU_DEP_2)
	v_lshlrev_b64_e64 v[18:19], v18, -1
	v_lshlrev_b64_e64 v[80:81], v80, 1
	s_delay_alu instid0(VALU_DEP_2) | instskip(SKIP_1) | instid1(VALU_DEP_4)
	v_bfi_b32 v18, v18, 0, v12
	v_lshrrev_b64 v[12:13], v23, v[12:13]
	v_bfi_b32 v19, v19, 0, 0
	s_delay_alu instid0(VALU_DEP_1) | instskip(NEXT) | instid1(VALU_DEP_3)
	v_cmp_eq_u64_e64 s13, v[18:19], v[80:81]
	v_mov_b64_e32 v[18:19], v[12:13]
	s_and_saveexec_b32 s73, s13
; %bb.10692:                            ;   in Loop: Header=BB6_9788 Depth=3
	v_bfe_u32 v18, v12, 21, 1
	v_mov_b32_e32 v19, v21
	s_delay_alu instid0(VALU_DEP_1) | instskip(NEXT) | instid1(VALU_DEP_1)
	v_add_nc_u64_e32 v[18:19], v[12:13], v[18:19]
	v_add_nc_u64_e32 v[18:19], -1, v[18:19]
; %bb.10693:                            ;   in Loop: Header=BB6_9788 Depth=3
	s_or_b32 exec_lo, exec_lo, s73
	v_add_nc_u32_e32 v13, 0xffffff81, v22
	v_lshrrev_b32_e32 v19, 23, v12
	s_mov_b32 s13, exec_lo
	s_delay_alu instid0(VALU_DEP_2) | instskip(NEXT) | instid1(VALU_DEP_1)
	v_cndmask_b32_e64 v13, v13, 0xffffff82, vcc_lo
	v_add3_u32 v22, v23, v13, v19
	v_and_b32_e32 v13, 0x1fffff, v18
                                        ; implicit-def: $vgpr18
	s_delay_alu instid0(VALU_DEP_1) | instskip(SKIP_1) | instid1(VALU_DEP_2)
	v_dual_add_nc_u32 v19, 14, v22 :: v_dual_add_nc_u32 v12, v13, v12
	v_mov_b32_e32 v13, v21
	v_cmpx_ne_u32_e32 0, v19
	s_xor_b32 s13, exec_lo, s13
; %bb.10694:                            ;   in Loop: Header=BB6_9788 Depth=3
	s_delay_alu instid0(VALU_DEP_2) | instskip(SKIP_1) | instid1(VALU_DEP_1)
	v_cmp_lt_u64_e32 vcc_lo, 0xffffff, v[12:13]
	v_add_nc_u32_e32 v18, 15, v22
	v_cndmask_b32_e32 v18, v19, v18, vcc_lo
	v_cndmask_b32_e64 v19, 0, 1, vcc_lo
	s_delay_alu instid0(VALU_DEP_1)
	v_lshrrev_b64 v[12:13], v19, v[12:13]
; %bb.10695:                            ;   in Loop: Header=BB6_9788 Depth=3
	s_and_not1_saveexec_b32 s13, s13
; %bb.10696:                            ;   in Loop: Header=BB6_9788 Depth=3
	s_delay_alu instid0(VALU_DEP_1)
	v_bfe_u32 v18, v12, 23, 1
; %bb.10697:                            ;   in Loop: Header=BB6_9788 Depth=3
	s_or_b32 exec_lo, exec_lo, s13
	s_delay_alu instid0(VALU_DEP_2) | instskip(NEXT) | instid1(VALU_DEP_2)
	v_lshrrev_b64 v[12:13], 21, v[12:13]
	v_cmp_gt_i32_e32 vcc_lo, 32, v18
	v_min_i32_e32 v19, 31, v18
	v_cmp_eq_u32_e64 s13, 0, v18
	s_delay_alu instid0(VALU_DEP_2) | instskip(SKIP_1) | instid1(VALU_DEP_2)
	v_dual_cndmask_b32 v13, 0, v13, vcc_lo :: v_dual_lshlrev_b32 v19, 2, v19
	v_cndmask_b32_e32 v12, 3, v12, vcc_lo
	v_and_b32_e32 v19, 0xfc, v19
	s_delay_alu instid0(VALU_DEP_2) | instskip(NEXT) | instid1(VALU_DEP_2)
	v_cmp_eq_u64_e32 vcc_lo, 0, v[12:13]
	v_and_or_b32 v12, v12, 3, v19
	s_and_b32 s13, s13, vcc_lo
	s_delay_alu instid0(VALU_DEP_1) | instid1(SALU_CYCLE_1)
	v_cndmask_b32_e64 v12, v12, 0, s13
	s_delay_alu instid0(VALU_DEP_1)
	v_or_b32_e32 v80, v12, v20
.LBB6_10698:                            ;   in Loop: Header=BB6_9788 Depth=3
	s_or_b32 exec_lo, exec_lo, s72
                                        ; implicit-def: $vgpr20
.LBB6_10699:                            ;   in Loop: Header=BB6_9788 Depth=3
	s_and_not1_saveexec_b32 s13, s43
; %bb.10700:                            ;   in Loop: Header=BB6_9788 Depth=3
	v_or_b32_e32 v80, 0x7b, v20
; %bb.10701:                            ;   in Loop: Header=BB6_9788 Depth=3
	s_or_b32 exec_lo, exec_lo, s13
                                        ; implicit-def: $vgpr18
                                        ; implicit-def: $vgpr12_vgpr13
                                        ; implicit-def: $vgpr19
.LBB6_10702:                            ;   in Loop: Header=BB6_9788 Depth=3
	s_and_not1_saveexec_b32 s13, s42
	s_cbranch_execz .LBB6_10708
; %bb.10703:                            ;   in Loop: Header=BB6_9788 Depth=3
	s_mov_b32 s42, exec_lo
                                        ; implicit-def: $vgpr80
	v_cmpx_ne_u64_e32 0, v[12:13]
	s_xor_b32 s42, exec_lo, s42
; %bb.10704:                            ;   in Loop: Header=BB6_9788 Depth=3
	v_or_b32_e32 v80, 0x7f, v19
                                        ; implicit-def: $vgpr18
; %bb.10705:                            ;   in Loop: Header=BB6_9788 Depth=3
	s_and_not1_saveexec_b32 s42, s42
; %bb.10706:                            ;   in Loop: Header=BB6_9788 Depth=3
	v_cmp_lt_i32_e32 vcc_lo, -1, v18
	v_mov_b32_e32 v12, 0x7c
	s_delay_alu instid0(VALU_DEP_1)
	v_cndmask_b32_e32 v80, 0xfc, v12, vcc_lo
; %bb.10707:                            ;   in Loop: Header=BB6_9788 Depth=3
	s_or_b32 exec_lo, exec_lo, s42
.LBB6_10708:                            ;   in Loop: Header=BB6_9788 Depth=3
	s_delay_alu instid0(SALU_CYCLE_1)
	s_or_b32 exec_lo, exec_lo, s13
	v_dual_mov_b32 v13, 0 :: v_dual_mov_b32 v18, 0
	s_mov_b32 s42, exec_lo
	v_cmpx_lt_u64_e64 s[22:23], v[32:33]
	s_cbranch_execz .LBB6_10718
; %bb.10709:                            ;   in Loop: Header=BB6_9788 Depth=3
	v_lshrrev_b32_e32 v12, 24, v33
	v_bfrev_b32_e32 v18, 1
	s_mov_b32 s43, exec_lo
	s_delay_alu instid0(VALU_DEP_2)
	v_cmpx_ne_u32_e32 0x80, v12
	s_cbranch_execz .LBB6_10717
; %bb.10710:                            ;   in Loop: Header=BB6_9788 Depth=3
	v_and_b32_e32 v18, 0x7c000000, v33
	v_bfe_u32 v19, v33, 24, 2
	s_delay_alu instid0(VALU_DEP_2) | instskip(SKIP_1) | instid1(SALU_CYCLE_1)
	v_cmp_ne_u32_e32 vcc_lo, 0x7c000000, v18
                                        ; implicit-def: $vgpr18
	s_and_saveexec_b32 s13, vcc_lo
	s_xor_b32 s13, exec_lo, s13
	s_cbranch_execz .LBB6_10714
; %bb.10711:                            ;   in Loop: Header=BB6_9788 Depth=3
	v_bfe_u32 v18, v33, 26, 5
	s_mov_b32 s72, exec_lo
	s_delay_alu instid0(VALU_DEP_1)
	v_cmpx_eq_u32_e32 0, v18
; %bb.10712:                            ;   in Loop: Header=BB6_9788 Depth=3
	v_clz_i32_u32_e32 v18, v19
	s_delay_alu instid0(VALU_DEP_1) | instskip(NEXT) | instid1(VALU_DEP_1)
	v_min_u32_e32 v18, 32, v18
	v_subrev_nc_u32_e32 v19, 29, v18
	v_sub_nc_u32_e32 v18, 30, v18
	s_delay_alu instid0(VALU_DEP_2) | instskip(NEXT) | instid1(VALU_DEP_1)
	v_lshlrev_b64_e32 v[22:23], v19, v[12:13]
	v_and_b32_e32 v19, 3, v22
; %bb.10713:                            ;   in Loop: Header=BB6_9788 Depth=3
	s_or_b32 exec_lo, exec_lo, s72
	v_and_b32_e32 v12, 0x80000000, v33
	s_delay_alu instid0(VALU_DEP_1) | instskip(NEXT) | instid1(VALU_DEP_1)
	v_lshl_add_u32 v12, v18, 23, v12
	v_lshl_or_b32 v12, v19, 21, v12
                                        ; implicit-def: $vgpr19
	s_delay_alu instid0(VALU_DEP_1)
	v_add_nc_u32_e32 v18, 0x38000000, v12
.LBB6_10714:                            ;   in Loop: Header=BB6_9788 Depth=3
	s_and_not1_saveexec_b32 s72, s13
; %bb.10715:                            ;   in Loop: Header=BB6_9788 Depth=3
	v_cmp_lt_i64_e64 s13, -1, v[32:33]
	v_mov_b32_e32 v12, 0x7f800000
	v_cmp_eq_u32_e32 vcc_lo, 0, v19
	s_delay_alu instid0(VALU_DEP_2) | instskip(NEXT) | instid1(VALU_DEP_1)
	v_cndmask_b32_e64 v12, 0xff800000, v12, s13
	v_cndmask_b32_e32 v18, 0x7f800001, v12, vcc_lo
; %bb.10716:                            ;   in Loop: Header=BB6_9788 Depth=3
	s_or_b32 exec_lo, exec_lo, s72
.LBB6_10717:                            ;   in Loop: Header=BB6_9788 Depth=3
	s_delay_alu instid0(SALU_CYCLE_1)
	s_or_b32 exec_lo, exec_lo, s43
.LBB6_10718:                            ;   in Loop: Header=BB6_9788 Depth=3
	s_delay_alu instid0(SALU_CYCLE_1) | instskip(NEXT) | instid1(SALU_CYCLE_1)
	s_or_b32 exec_lo, exec_lo, s42
	s_mov_b32 s42, exec_lo
	v_cmpx_lt_u64_e64 s[22:23], v[24:25]
	s_cbranch_execz .LBB6_10728
; %bb.10719:                            ;   in Loop: Header=BB6_9788 Depth=3
	v_lshrrev_b32_e32 v12, 24, v25
	v_bfrev_b32_e32 v13, 1
	s_mov_b32 s43, exec_lo
	s_delay_alu instid0(VALU_DEP_2)
	v_cmpx_ne_u32_e32 0x80, v12
	s_cbranch_execz .LBB6_10727
; %bb.10720:                            ;   in Loop: Header=BB6_9788 Depth=3
	v_and_b32_e32 v13, 0x7c000000, v25
	v_bfe_u32 v19, v25, 24, 2
	s_delay_alu instid0(VALU_DEP_2) | instskip(SKIP_1) | instid1(SALU_CYCLE_1)
	v_cmp_ne_u32_e32 vcc_lo, 0x7c000000, v13
                                        ; implicit-def: $vgpr13
	s_and_saveexec_b32 s13, vcc_lo
	s_xor_b32 s13, exec_lo, s13
	s_cbranch_execz .LBB6_10724
; %bb.10721:                            ;   in Loop: Header=BB6_9788 Depth=3
	v_bfe_u32 v13, v25, 26, 5
	s_mov_b32 s72, exec_lo
	s_delay_alu instid0(VALU_DEP_1)
	v_cmpx_eq_u32_e32 0, v13
; %bb.10722:                            ;   in Loop: Header=BB6_9788 Depth=3
	v_clz_i32_u32_e32 v13, v19
	s_delay_alu instid0(VALU_DEP_1) | instskip(NEXT) | instid1(VALU_DEP_1)
	v_min_u32_e32 v19, 32, v13
	v_subrev_nc_u32_e32 v13, 29, v19
	s_delay_alu instid0(VALU_DEP_1) | instskip(NEXT) | instid1(VALU_DEP_1)
	v_lshlrev_b64_e32 v[12:13], v13, v[12:13]
	v_dual_sub_nc_u32 v13, 30, v19 :: v_dual_bitop2_b32 v19, 3, v12 bitop3:0x40
; %bb.10723:                            ;   in Loop: Header=BB6_9788 Depth=3
	s_or_b32 exec_lo, exec_lo, s72
	v_and_b32_e32 v12, 0x80000000, v25
	s_delay_alu instid0(VALU_DEP_1) | instskip(NEXT) | instid1(VALU_DEP_1)
	v_lshl_add_u32 v12, v13, 23, v12
	v_lshl_or_b32 v12, v19, 21, v12
                                        ; implicit-def: $vgpr19
	s_delay_alu instid0(VALU_DEP_1)
	v_add_nc_u32_e32 v13, 0x38000000, v12
.LBB6_10724:                            ;   in Loop: Header=BB6_9788 Depth=3
	s_and_not1_saveexec_b32 s72, s13
; %bb.10725:                            ;   in Loop: Header=BB6_9788 Depth=3
	v_cmp_lt_i64_e64 s13, -1, v[24:25]
	v_mov_b32_e32 v12, 0x7f800000
	v_cmp_eq_u32_e32 vcc_lo, 0, v19
	s_delay_alu instid0(VALU_DEP_2) | instskip(NEXT) | instid1(VALU_DEP_1)
	v_cndmask_b32_e64 v12, 0xff800000, v12, s13
	v_cndmask_b32_e32 v13, 0x7f800001, v12, vcc_lo
; %bb.10726:                            ;   in Loop: Header=BB6_9788 Depth=3
	s_or_b32 exec_lo, exec_lo, s72
.LBB6_10727:                            ;   in Loop: Header=BB6_9788 Depth=3
	s_delay_alu instid0(SALU_CYCLE_1)
	s_or_b32 exec_lo, exec_lo, s43
.LBB6_10728:                            ;   in Loop: Header=BB6_9788 Depth=3
	s_delay_alu instid0(SALU_CYCLE_1) | instskip(NEXT) | instid1(VALU_DEP_1)
	s_or_b32 exec_lo, exec_lo, s42
	v_dual_mul_f32 v18, v18, v13 :: v_dual_mov_b32 v23, v21
	v_mov_b32_e32 v13, v21
                                        ; implicit-def: $vgpr24
	s_mov_b32 s13, exec_lo
	s_delay_alu instid0(VALU_DEP_2) | instskip(SKIP_2) | instid1(VALU_DEP_3)
	v_and_b32_e32 v22, 0x7f800000, v18
	v_and_b32_e32 v12, 0x7fffff, v18
	v_lshrrev_b32_e32 v19, 24, v18
	v_cmpx_ne_u64_e32 0x7f800000, v[22:23]
	s_xor_b32 s42, exec_lo, s13
	s_cbranch_execz .LBB6_10742
; %bb.10729:                            ;   in Loop: Header=BB6_9788 Depth=3
	v_and_b32_e32 v22, 0x7fffffff, v18
	v_mov_b32_e32 v23, v21
	v_and_b32_e32 v20, 0x80, v19
                                        ; implicit-def: $vgpr24
	s_mov_b32 s13, exec_lo
	s_delay_alu instid0(VALU_DEP_2)
	v_cmpx_gt_u64_e32 0x47600001, v[22:23]
	s_xor_b32 s43, exec_lo, s13
	s_cbranch_execz .LBB6_10739
; %bb.10730:                            ;   in Loop: Header=BB6_9788 Depth=3
	v_mov_b32_e32 v24, 0
	s_mov_b32 s72, exec_lo
	v_cmpx_ne_u32_e32 0, v18
	s_cbranch_execz .LBB6_10738
; %bb.10731:                            ;   in Loop: Header=BB6_9788 Depth=3
	v_bfe_u32 v22, v18, 23, 8
	v_or_b32_e32 v19, 0x800000, v12
	s_delay_alu instid0(VALU_DEP_2) | instskip(SKIP_2) | instid1(VALU_DEP_2)
	v_cmp_gt_u32_e64 s13, 0x72, v22
	v_sub_nc_u32_e32 v18, 0x71, v22
	v_cmp_eq_u32_e32 vcc_lo, 0, v22
	v_dual_cndmask_b32 v18, 0, v18, s13 :: v_dual_cndmask_b32 v12, v19, v12, vcc_lo
	s_delay_alu instid0(VALU_DEP_1) | instskip(NEXT) | instid1(VALU_DEP_1)
	v_cndmask_b32_e64 v23, v18, 0x70, vcc_lo
	v_dual_add_nc_u32 v18, 21, v23 :: v_dual_add_nc_u32 v24, 20, v23
	s_delay_alu instid0(VALU_DEP_1) | instskip(NEXT) | instid1(VALU_DEP_2)
	v_lshlrev_b64_e64 v[18:19], v18, -1
	v_lshlrev_b64_e64 v[24:25], v24, 1
	s_delay_alu instid0(VALU_DEP_2) | instskip(SKIP_1) | instid1(VALU_DEP_4)
	v_bfi_b32 v18, v18, 0, v12
	v_lshrrev_b64 v[12:13], v23, v[12:13]
	v_bfi_b32 v19, v19, 0, 0
	s_delay_alu instid0(VALU_DEP_1) | instskip(NEXT) | instid1(VALU_DEP_3)
	v_cmp_eq_u64_e64 s13, v[18:19], v[24:25]
	v_mov_b64_e32 v[18:19], v[12:13]
	s_and_saveexec_b32 s73, s13
; %bb.10732:                            ;   in Loop: Header=BB6_9788 Depth=3
	v_bfe_u32 v18, v12, 21, 1
	v_mov_b32_e32 v19, v21
	s_delay_alu instid0(VALU_DEP_1) | instskip(NEXT) | instid1(VALU_DEP_1)
	v_add_nc_u64_e32 v[18:19], v[12:13], v[18:19]
	v_add_nc_u64_e32 v[18:19], -1, v[18:19]
; %bb.10733:                            ;   in Loop: Header=BB6_9788 Depth=3
	s_or_b32 exec_lo, exec_lo, s73
	v_add_nc_u32_e32 v13, 0xffffff81, v22
	v_lshrrev_b32_e32 v19, 23, v12
	s_mov_b32 s13, exec_lo
	s_delay_alu instid0(VALU_DEP_2) | instskip(NEXT) | instid1(VALU_DEP_1)
	v_cndmask_b32_e64 v13, v13, 0xffffff82, vcc_lo
	v_add3_u32 v22, v23, v13, v19
	v_and_b32_e32 v13, 0x1fffff, v18
                                        ; implicit-def: $vgpr18
	s_delay_alu instid0(VALU_DEP_1) | instskip(SKIP_1) | instid1(VALU_DEP_2)
	v_dual_add_nc_u32 v19, 14, v22 :: v_dual_add_nc_u32 v12, v13, v12
	v_mov_b32_e32 v13, v21
	v_cmpx_ne_u32_e32 0, v19
	s_xor_b32 s13, exec_lo, s13
; %bb.10734:                            ;   in Loop: Header=BB6_9788 Depth=3
	s_delay_alu instid0(VALU_DEP_2) | instskip(SKIP_1) | instid1(VALU_DEP_1)
	v_cmp_lt_u64_e32 vcc_lo, 0xffffff, v[12:13]
	v_add_nc_u32_e32 v18, 15, v22
	v_cndmask_b32_e32 v18, v19, v18, vcc_lo
	v_cndmask_b32_e64 v19, 0, 1, vcc_lo
	s_delay_alu instid0(VALU_DEP_1)
	v_lshrrev_b64 v[12:13], v19, v[12:13]
; %bb.10735:                            ;   in Loop: Header=BB6_9788 Depth=3
	s_and_not1_saveexec_b32 s13, s13
; %bb.10736:                            ;   in Loop: Header=BB6_9788 Depth=3
	s_delay_alu instid0(VALU_DEP_1)
	v_bfe_u32 v18, v12, 23, 1
; %bb.10737:                            ;   in Loop: Header=BB6_9788 Depth=3
	s_or_b32 exec_lo, exec_lo, s13
	s_delay_alu instid0(VALU_DEP_2) | instskip(NEXT) | instid1(VALU_DEP_2)
	v_lshrrev_b64 v[12:13], 21, v[12:13]
	v_cmp_gt_i32_e32 vcc_lo, 32, v18
	v_min_i32_e32 v19, 31, v18
	v_cmp_eq_u32_e64 s13, 0, v18
	s_delay_alu instid0(VALU_DEP_2) | instskip(SKIP_1) | instid1(VALU_DEP_2)
	v_dual_cndmask_b32 v13, 0, v13, vcc_lo :: v_dual_lshlrev_b32 v19, 2, v19
	v_cndmask_b32_e32 v12, 3, v12, vcc_lo
	v_and_b32_e32 v19, 0xfc, v19
	s_delay_alu instid0(VALU_DEP_2) | instskip(NEXT) | instid1(VALU_DEP_2)
	v_cmp_eq_u64_e32 vcc_lo, 0, v[12:13]
	v_and_or_b32 v12, v12, 3, v19
	s_and_b32 s13, s13, vcc_lo
	s_delay_alu instid0(VALU_DEP_1) | instid1(SALU_CYCLE_1)
	v_cndmask_b32_e64 v12, v12, 0, s13
	s_delay_alu instid0(VALU_DEP_1)
	v_or_b32_e32 v24, v12, v20
.LBB6_10738:                            ;   in Loop: Header=BB6_9788 Depth=3
	s_or_b32 exec_lo, exec_lo, s72
                                        ; implicit-def: $vgpr20
.LBB6_10739:                            ;   in Loop: Header=BB6_9788 Depth=3
	s_and_not1_saveexec_b32 s13, s43
; %bb.10740:                            ;   in Loop: Header=BB6_9788 Depth=3
	v_or_b32_e32 v24, 0x7b, v20
; %bb.10741:                            ;   in Loop: Header=BB6_9788 Depth=3
	s_or_b32 exec_lo, exec_lo, s13
                                        ; implicit-def: $vgpr18
                                        ; implicit-def: $vgpr12_vgpr13
                                        ; implicit-def: $vgpr19
.LBB6_10742:                            ;   in Loop: Header=BB6_9788 Depth=3
	s_and_not1_saveexec_b32 s13, s42
	s_cbranch_execz .LBB6_10748
; %bb.10743:                            ;   in Loop: Header=BB6_9788 Depth=3
	s_mov_b32 s42, exec_lo
                                        ; implicit-def: $vgpr24
	v_cmpx_ne_u64_e32 0, v[12:13]
	s_xor_b32 s42, exec_lo, s42
; %bb.10744:                            ;   in Loop: Header=BB6_9788 Depth=3
	v_or_b32_e32 v24, 0x7f, v19
                                        ; implicit-def: $vgpr18
; %bb.10745:                            ;   in Loop: Header=BB6_9788 Depth=3
	s_and_not1_saveexec_b32 s42, s42
; %bb.10746:                            ;   in Loop: Header=BB6_9788 Depth=3
	v_cmp_lt_i32_e32 vcc_lo, -1, v18
	v_mov_b32_e32 v12, 0x7c
	s_delay_alu instid0(VALU_DEP_1)
	v_cndmask_b32_e32 v24, 0xfc, v12, vcc_lo
; %bb.10747:                            ;   in Loop: Header=BB6_9788 Depth=3
	s_or_b32 exec_lo, exec_lo, s42
.LBB6_10748:                            ;   in Loop: Header=BB6_9788 Depth=3
	s_delay_alu instid0(SALU_CYCLE_1) | instskip(SKIP_2) | instid1(VALU_DEP_2)
	s_or_b32 exec_lo, exec_lo, s13
	v_and_b32_e32 v13, 0xff, v34
	v_mov_b32_e32 v12, 0
	v_cmp_ne_u16_e32 vcc_lo, 0, v13
	v_mov_b32_e32 v13, 0
	s_and_saveexec_b32 s42, vcc_lo
	s_cbranch_execz .LBB6_10758
; %bb.10749:                            ;   in Loop: Header=BB6_9788 Depth=3
	v_bfe_i32 v19, v34, 0, 8
	v_bfrev_b32_e32 v13, 1
	s_mov_b32 s43, exec_lo
	s_delay_alu instid0(VALU_DEP_2)
	v_cmpx_ne_u16_e32 0xff80, v19
	s_cbranch_execz .LBB6_10757
; %bb.10750:                            ;   in Loop: Header=BB6_9788 Depth=3
	v_and_b32_e32 v13, 0x7c, v34
	v_and_b32_e32 v18, 3, v34
	s_delay_alu instid0(VALU_DEP_2) | instskip(SKIP_1) | instid1(SALU_CYCLE_1)
	v_cmp_ne_u32_e32 vcc_lo, 0x7c, v13
                                        ; implicit-def: $vgpr13
	s_and_saveexec_b32 s13, vcc_lo
	s_xor_b32 s13, exec_lo, s13
	s_cbranch_execz .LBB6_10754
; %bb.10751:                            ;   in Loop: Header=BB6_9788 Depth=3
	v_bfe_u32 v13, v34, 2, 5
	s_mov_b32 s72, exec_lo
	s_delay_alu instid0(VALU_DEP_1)
	v_cmpx_eq_u32_e32 0, v13
; %bb.10752:                            ;   in Loop: Header=BB6_9788 Depth=3
	v_clz_i32_u32_e32 v13, v18
	s_delay_alu instid0(VALU_DEP_1) | instskip(NEXT) | instid1(VALU_DEP_1)
	v_min_u32_e32 v13, 32, v13
	v_subrev_nc_u32_e32 v18, 29, v13
	s_delay_alu instid0(VALU_DEP_1) | instskip(NEXT) | instid1(VALU_DEP_1)
	v_lshlrev_b64_e32 v[18:19], v18, v[34:35]
	v_dual_sub_nc_u32 v13, 30, v13 :: v_dual_bitop2_b32 v18, 3, v18 bitop3:0x40
; %bb.10753:                            ;   in Loop: Header=BB6_9788 Depth=3
	s_or_b32 exec_lo, exec_lo, s72
	v_lshlrev_b32_e32 v19, 24, v34
	s_delay_alu instid0(VALU_DEP_1) | instskip(NEXT) | instid1(VALU_DEP_1)
	v_and_b32_e32 v19, 0x80000000, v19
	v_lshl_add_u32 v13, v13, 23, v19
                                        ; implicit-def: $vgpr19
	s_delay_alu instid0(VALU_DEP_1) | instskip(NEXT) | instid1(VALU_DEP_1)
	v_lshl_or_b32 v13, v18, 21, v13
                                        ; implicit-def: $vgpr18
	v_add_nc_u32_e32 v13, 0x38000000, v13
.LBB6_10754:                            ;   in Loop: Header=BB6_9788 Depth=3
	s_and_not1_saveexec_b32 s72, s13
; %bb.10755:                            ;   in Loop: Header=BB6_9788 Depth=3
	v_cmp_lt_i16_e64 s13, -1, v19
	v_mov_b32_e32 v13, 0x7f800000
	v_cmp_eq_u32_e32 vcc_lo, 0, v18
	s_delay_alu instid0(VALU_DEP_2) | instskip(NEXT) | instid1(VALU_DEP_1)
	v_cndmask_b32_e64 v13, 0xff800000, v13, s13
	v_cndmask_b32_e32 v13, 0x7f800001, v13, vcc_lo
; %bb.10756:                            ;   in Loop: Header=BB6_9788 Depth=3
	s_or_b32 exec_lo, exec_lo, s72
.LBB6_10757:                            ;   in Loop: Header=BB6_9788 Depth=3
	s_delay_alu instid0(SALU_CYCLE_1)
	s_or_b32 exec_lo, exec_lo, s43
.LBB6_10758:                            ;   in Loop: Header=BB6_9788 Depth=3
	s_delay_alu instid0(SALU_CYCLE_1) | instskip(SKIP_2) | instid1(VALU_DEP_1)
	s_or_b32 exec_lo, exec_lo, s42
	v_and_b32_e32 v18, 0xff, v26
	s_mov_b32 s42, exec_lo
	v_cmpx_ne_u16_e32 0, v18
	s_cbranch_execz .LBB6_10768
; %bb.10759:                            ;   in Loop: Header=BB6_9788 Depth=3
	v_bfe_i32 v19, v26, 0, 8
	v_bfrev_b32_e32 v12, 1
	s_mov_b32 s43, exec_lo
	s_delay_alu instid0(VALU_DEP_2)
	v_cmpx_ne_u16_e32 0xff80, v19
	s_cbranch_execz .LBB6_10767
; %bb.10760:                            ;   in Loop: Header=BB6_9788 Depth=3
	v_and_b32_e32 v12, 0x7c, v26
	v_and_b32_e32 v18, 3, v26
	s_delay_alu instid0(VALU_DEP_2) | instskip(SKIP_1) | instid1(SALU_CYCLE_1)
	v_cmp_ne_u32_e32 vcc_lo, 0x7c, v12
                                        ; implicit-def: $vgpr12
	s_and_saveexec_b32 s13, vcc_lo
	s_xor_b32 s13, exec_lo, s13
	s_cbranch_execz .LBB6_10764
; %bb.10761:                            ;   in Loop: Header=BB6_9788 Depth=3
	v_bfe_u32 v12, v26, 2, 5
	s_mov_b32 s72, exec_lo
	s_delay_alu instid0(VALU_DEP_1)
	v_cmpx_eq_u32_e32 0, v12
; %bb.10762:                            ;   in Loop: Header=BB6_9788 Depth=3
	v_clz_i32_u32_e32 v12, v18
	s_delay_alu instid0(VALU_DEP_1) | instskip(NEXT) | instid1(VALU_DEP_1)
	v_min_u32_e32 v12, 32, v12
	v_subrev_nc_u32_e32 v18, 29, v12
	s_delay_alu instid0(VALU_DEP_1) | instskip(NEXT) | instid1(VALU_DEP_1)
	v_lshlrev_b64_e32 v[18:19], v18, v[26:27]
	v_dual_sub_nc_u32 v12, 30, v12 :: v_dual_bitop2_b32 v18, 3, v18 bitop3:0x40
; %bb.10763:                            ;   in Loop: Header=BB6_9788 Depth=3
	s_or_b32 exec_lo, exec_lo, s72
	v_lshlrev_b32_e32 v19, 24, v26
	s_delay_alu instid0(VALU_DEP_1) | instskip(NEXT) | instid1(VALU_DEP_1)
	v_and_b32_e32 v19, 0x80000000, v19
	v_lshl_add_u32 v12, v12, 23, v19
                                        ; implicit-def: $vgpr19
	s_delay_alu instid0(VALU_DEP_1) | instskip(NEXT) | instid1(VALU_DEP_1)
	v_lshl_or_b32 v12, v18, 21, v12
                                        ; implicit-def: $vgpr18
	v_add_nc_u32_e32 v12, 0x38000000, v12
.LBB6_10764:                            ;   in Loop: Header=BB6_9788 Depth=3
	s_and_not1_saveexec_b32 s72, s13
; %bb.10765:                            ;   in Loop: Header=BB6_9788 Depth=3
	v_cmp_lt_i16_e64 s13, -1, v19
	v_mov_b32_e32 v12, 0x7f800000
	v_cmp_eq_u32_e32 vcc_lo, 0, v18
	s_delay_alu instid0(VALU_DEP_2) | instskip(NEXT) | instid1(VALU_DEP_1)
	v_cndmask_b32_e64 v12, 0xff800000, v12, s13
	v_cndmask_b32_e32 v12, 0x7f800001, v12, vcc_lo
; %bb.10766:                            ;   in Loop: Header=BB6_9788 Depth=3
	s_or_b32 exec_lo, exec_lo, s72
.LBB6_10767:                            ;   in Loop: Header=BB6_9788 Depth=3
	s_delay_alu instid0(SALU_CYCLE_1)
	s_or_b32 exec_lo, exec_lo, s43
.LBB6_10768:                            ;   in Loop: Header=BB6_9788 Depth=3
	s_delay_alu instid0(SALU_CYCLE_1) | instskip(NEXT) | instid1(VALU_DEP_1)
	s_or_b32 exec_lo, exec_lo, s42
	v_mul_f32_e32 v18, v13, v12
	v_dual_mov_b32 v23, v21 :: v_dual_mov_b32 v13, v21
                                        ; implicit-def: $vgpr25
	s_mov_b32 s13, exec_lo
	s_delay_alu instid0(VALU_DEP_2) | instskip(SKIP_2) | instid1(VALU_DEP_3)
	v_and_b32_e32 v22, 0x7f800000, v18
	v_and_b32_e32 v12, 0x7fffff, v18
	v_lshrrev_b32_e32 v19, 24, v18
	v_cmpx_ne_u64_e32 0x7f800000, v[22:23]
	s_xor_b32 s42, exec_lo, s13
	s_cbranch_execz .LBB6_10782
; %bb.10769:                            ;   in Loop: Header=BB6_9788 Depth=3
	v_and_b32_e32 v22, 0x7fffffff, v18
	v_mov_b32_e32 v23, v21
	v_and_b32_e32 v20, 0x80, v19
                                        ; implicit-def: $vgpr25
	s_mov_b32 s13, exec_lo
	s_delay_alu instid0(VALU_DEP_2)
	v_cmpx_gt_u64_e32 0x47600001, v[22:23]
	s_xor_b32 s43, exec_lo, s13
	s_cbranch_execz .LBB6_10779
; %bb.10770:                            ;   in Loop: Header=BB6_9788 Depth=3
	v_mov_b32_e32 v25, 0
	s_mov_b32 s72, exec_lo
	v_cmpx_ne_u32_e32 0, v18
	s_cbranch_execz .LBB6_10778
; %bb.10771:                            ;   in Loop: Header=BB6_9788 Depth=3
	v_bfe_u32 v22, v18, 23, 8
	v_or_b32_e32 v19, 0x800000, v12
	s_delay_alu instid0(VALU_DEP_2) | instskip(SKIP_2) | instid1(VALU_DEP_2)
	v_cmp_gt_u32_e64 s13, 0x72, v22
	v_sub_nc_u32_e32 v18, 0x71, v22
	v_cmp_eq_u32_e32 vcc_lo, 0, v22
	v_dual_cndmask_b32 v18, 0, v18, s13 :: v_dual_cndmask_b32 v12, v19, v12, vcc_lo
	s_delay_alu instid0(VALU_DEP_1) | instskip(NEXT) | instid1(VALU_DEP_1)
	v_cndmask_b32_e64 v23, v18, 0x70, vcc_lo
	v_dual_add_nc_u32 v18, 21, v23 :: v_dual_add_nc_u32 v25, 20, v23
	s_delay_alu instid0(VALU_DEP_1) | instskip(NEXT) | instid1(VALU_DEP_2)
	v_lshlrev_b64_e64 v[18:19], v18, -1
	v_lshlrev_b64_e64 v[32:33], v25, 1
	s_delay_alu instid0(VALU_DEP_2) | instskip(SKIP_1) | instid1(VALU_DEP_4)
	v_bfi_b32 v18, v18, 0, v12
	v_lshrrev_b64 v[12:13], v23, v[12:13]
	v_bfi_b32 v19, v19, 0, 0
	s_delay_alu instid0(VALU_DEP_1) | instskip(NEXT) | instid1(VALU_DEP_3)
	v_cmp_eq_u64_e64 s13, v[18:19], v[32:33]
	v_mov_b64_e32 v[18:19], v[12:13]
	s_and_saveexec_b32 s73, s13
; %bb.10772:                            ;   in Loop: Header=BB6_9788 Depth=3
	v_bfe_u32 v18, v12, 21, 1
	v_mov_b32_e32 v19, v21
	s_delay_alu instid0(VALU_DEP_1) | instskip(NEXT) | instid1(VALU_DEP_1)
	v_add_nc_u64_e32 v[18:19], v[12:13], v[18:19]
	v_add_nc_u64_e32 v[18:19], -1, v[18:19]
; %bb.10773:                            ;   in Loop: Header=BB6_9788 Depth=3
	s_or_b32 exec_lo, exec_lo, s73
	v_add_nc_u32_e32 v13, 0xffffff81, v22
	v_lshrrev_b32_e32 v19, 23, v12
	s_mov_b32 s13, exec_lo
	s_delay_alu instid0(VALU_DEP_2) | instskip(NEXT) | instid1(VALU_DEP_1)
	v_cndmask_b32_e64 v13, v13, 0xffffff82, vcc_lo
	v_add3_u32 v22, v23, v13, v19
	v_and_b32_e32 v13, 0x1fffff, v18
                                        ; implicit-def: $vgpr18
	s_delay_alu instid0(VALU_DEP_1) | instskip(SKIP_1) | instid1(VALU_DEP_2)
	v_dual_add_nc_u32 v19, 14, v22 :: v_dual_add_nc_u32 v12, v13, v12
	v_mov_b32_e32 v13, v21
	v_cmpx_ne_u32_e32 0, v19
	s_xor_b32 s13, exec_lo, s13
; %bb.10774:                            ;   in Loop: Header=BB6_9788 Depth=3
	s_delay_alu instid0(VALU_DEP_2) | instskip(SKIP_1) | instid1(VALU_DEP_1)
	v_cmp_lt_u64_e32 vcc_lo, 0xffffff, v[12:13]
	v_add_nc_u32_e32 v18, 15, v22
	v_cndmask_b32_e32 v18, v19, v18, vcc_lo
	v_cndmask_b32_e64 v19, 0, 1, vcc_lo
	s_delay_alu instid0(VALU_DEP_1)
	v_lshrrev_b64 v[12:13], v19, v[12:13]
; %bb.10775:                            ;   in Loop: Header=BB6_9788 Depth=3
	s_and_not1_saveexec_b32 s13, s13
; %bb.10776:                            ;   in Loop: Header=BB6_9788 Depth=3
	s_delay_alu instid0(VALU_DEP_1)
	v_bfe_u32 v18, v12, 23, 1
; %bb.10777:                            ;   in Loop: Header=BB6_9788 Depth=3
	s_or_b32 exec_lo, exec_lo, s13
	s_delay_alu instid0(VALU_DEP_2) | instskip(NEXT) | instid1(VALU_DEP_2)
	v_lshrrev_b64 v[12:13], 21, v[12:13]
	v_cmp_gt_i32_e32 vcc_lo, 32, v18
	v_min_i32_e32 v19, 31, v18
	v_cmp_eq_u32_e64 s13, 0, v18
	s_delay_alu instid0(VALU_DEP_2) | instskip(SKIP_1) | instid1(VALU_DEP_2)
	v_dual_cndmask_b32 v13, 0, v13, vcc_lo :: v_dual_lshlrev_b32 v19, 2, v19
	v_cndmask_b32_e32 v12, 3, v12, vcc_lo
	v_and_b32_e32 v19, 0xfc, v19
	s_delay_alu instid0(VALU_DEP_2) | instskip(NEXT) | instid1(VALU_DEP_2)
	v_cmp_eq_u64_e32 vcc_lo, 0, v[12:13]
	v_and_or_b32 v12, v12, 3, v19
	s_and_b32 s13, s13, vcc_lo
	s_delay_alu instid0(VALU_DEP_1) | instid1(SALU_CYCLE_1)
	v_cndmask_b32_e64 v12, v12, 0, s13
	s_delay_alu instid0(VALU_DEP_1)
	v_or_b32_e32 v25, v12, v20
.LBB6_10778:                            ;   in Loop: Header=BB6_9788 Depth=3
	s_or_b32 exec_lo, exec_lo, s72
                                        ; implicit-def: $vgpr20
.LBB6_10779:                            ;   in Loop: Header=BB6_9788 Depth=3
	s_and_not1_saveexec_b32 s13, s43
; %bb.10780:                            ;   in Loop: Header=BB6_9788 Depth=3
	v_or_b32_e32 v25, 0x7b, v20
; %bb.10781:                            ;   in Loop: Header=BB6_9788 Depth=3
	s_or_b32 exec_lo, exec_lo, s13
                                        ; implicit-def: $vgpr18
                                        ; implicit-def: $vgpr12_vgpr13
                                        ; implicit-def: $vgpr19
.LBB6_10782:                            ;   in Loop: Header=BB6_9788 Depth=3
	s_and_not1_saveexec_b32 s13, s42
	s_cbranch_execz .LBB6_10788
; %bb.10783:                            ;   in Loop: Header=BB6_9788 Depth=3
	s_mov_b32 s42, exec_lo
                                        ; implicit-def: $vgpr25
	v_cmpx_ne_u64_e32 0, v[12:13]
	s_xor_b32 s42, exec_lo, s42
; %bb.10784:                            ;   in Loop: Header=BB6_9788 Depth=3
	v_or_b32_e32 v25, 0x7f, v19
                                        ; implicit-def: $vgpr18
; %bb.10785:                            ;   in Loop: Header=BB6_9788 Depth=3
	s_and_not1_saveexec_b32 s42, s42
; %bb.10786:                            ;   in Loop: Header=BB6_9788 Depth=3
	v_cmp_lt_i32_e32 vcc_lo, -1, v18
	v_mov_b32_e32 v12, 0x7c
	s_delay_alu instid0(VALU_DEP_1)
	v_cndmask_b32_e32 v25, 0xfc, v12, vcc_lo
; %bb.10787:                            ;   in Loop: Header=BB6_9788 Depth=3
	s_or_b32 exec_lo, exec_lo, s42
.LBB6_10788:                            ;   in Loop: Header=BB6_9788 Depth=3
	s_delay_alu instid0(SALU_CYCLE_1) | instskip(SKIP_3) | instid1(VALU_DEP_2)
	s_or_b32 exec_lo, exec_lo, s13
	v_lshrrev_b16 v12, 8, v34
	v_dual_mov_b32 v18, 0 :: v_dual_mov_b32 v19, 0
	s_mov_b32 s42, exec_lo
	v_cmpx_ne_u16_e32 0, v12
	s_cbranch_execz .LBB6_10798
; %bb.10789:                            ;   in Loop: Header=BB6_9788 Depth=3
	v_bfrev_b32_e32 v19, 1
	s_mov_b32 s43, exec_lo
	v_cmpx_ne_u16_e32 0x80, v12
	s_cbranch_execz .LBB6_10797
; %bb.10790:                            ;   in Loop: Header=BB6_9788 Depth=3
	v_and_b32_e32 v20, 0xffff, v12
	s_delay_alu instid0(VALU_DEP_1) | instskip(SKIP_1) | instid1(VALU_DEP_2)
	v_and_b32_e32 v19, 0x7c, v20
	v_and_b32_e32 v13, 3, v20
	v_cmp_ne_u32_e32 vcc_lo, 0x7c, v19
                                        ; implicit-def: $vgpr19
	s_and_saveexec_b32 s13, vcc_lo
	s_delay_alu instid0(SALU_CYCLE_1)
	s_xor_b32 s13, exec_lo, s13
	s_cbranch_execz .LBB6_10794
; %bb.10791:                            ;   in Loop: Header=BB6_9788 Depth=3
	v_bfe_u32 v19, v20, 2, 5
	s_mov_b32 s72, exec_lo
	s_delay_alu instid0(VALU_DEP_1)
	v_cmpx_eq_u32_e32 0, v19
	s_cbranch_execz .LBB6_10793
; %bb.10792:                            ;   in Loop: Header=BB6_9788 Depth=3
	v_clz_i32_u32_e32 v13, v13
	s_delay_alu instid0(VALU_DEP_1) | instskip(SKIP_1) | instid1(VALU_DEP_2)
	v_min_u32_e32 v19, 32, v13
	v_mov_b32_e32 v13, v21
	v_subrev_nc_u32_e32 v20, 29, v19
	v_sub_nc_u32_e32 v19, 30, v19
	s_delay_alu instid0(VALU_DEP_2) | instskip(NEXT) | instid1(VALU_DEP_1)
	v_lshlrev_b64_e32 v[12:13], v20, v[12:13]
	v_and_b32_e32 v13, 3, v12
.LBB6_10793:                            ;   in Loop: Header=BB6_9788 Depth=3
	s_or_b32 exec_lo, exec_lo, s72
	v_lshlrev_b32_e32 v12, 16, v34
	s_delay_alu instid0(VALU_DEP_1) | instskip(NEXT) | instid1(VALU_DEP_1)
	v_and_b32_e32 v12, 0x80000000, v12
	v_lshl_add_u32 v12, v19, 23, v12
	s_delay_alu instid0(VALU_DEP_1) | instskip(NEXT) | instid1(VALU_DEP_1)
	v_lshl_or_b32 v12, v13, 21, v12
                                        ; implicit-def: $vgpr13
	v_add_nc_u32_e32 v19, 0x38000000, v12
.LBB6_10794:                            ;   in Loop: Header=BB6_9788 Depth=3
	s_and_not1_saveexec_b32 s72, s13
; %bb.10795:                            ;   in Loop: Header=BB6_9788 Depth=3
	v_cmp_lt_i16_e64 s13, -1, v34
	v_mov_b32_e32 v12, 0x7f800000
	v_cmp_eq_u32_e32 vcc_lo, 0, v13
	s_delay_alu instid0(VALU_DEP_2) | instskip(NEXT) | instid1(VALU_DEP_1)
	v_cndmask_b32_e64 v12, 0xff800000, v12, s13
	v_cndmask_b32_e32 v19, 0x7f800001, v12, vcc_lo
; %bb.10796:                            ;   in Loop: Header=BB6_9788 Depth=3
	s_or_b32 exec_lo, exec_lo, s72
.LBB6_10797:                            ;   in Loop: Header=BB6_9788 Depth=3
	s_delay_alu instid0(SALU_CYCLE_1)
	s_or_b32 exec_lo, exec_lo, s43
.LBB6_10798:                            ;   in Loop: Header=BB6_9788 Depth=3
	s_delay_alu instid0(SALU_CYCLE_1) | instskip(SKIP_2) | instid1(VALU_DEP_1)
	s_or_b32 exec_lo, exec_lo, s42
	v_lshrrev_b16 v12, 8, v26
	s_mov_b32 s42, exec_lo
	v_cmpx_ne_u16_e32 0, v12
	s_cbranch_execz .LBB6_10808
; %bb.10799:                            ;   in Loop: Header=BB6_9788 Depth=3
	v_bfrev_b32_e32 v18, 1
	s_mov_b32 s43, exec_lo
	v_cmpx_ne_u16_e32 0x80, v12
	s_cbranch_execz .LBB6_10807
; %bb.10800:                            ;   in Loop: Header=BB6_9788 Depth=3
	v_and_b32_e32 v20, 0xffff, v12
	s_delay_alu instid0(VALU_DEP_1) | instskip(SKIP_1) | instid1(VALU_DEP_2)
	v_and_b32_e32 v18, 0x7c, v20
	v_and_b32_e32 v13, 3, v20
	v_cmp_ne_u32_e32 vcc_lo, 0x7c, v18
                                        ; implicit-def: $vgpr18
	s_and_saveexec_b32 s13, vcc_lo
	s_delay_alu instid0(SALU_CYCLE_1)
	s_xor_b32 s13, exec_lo, s13
	s_cbranch_execz .LBB6_10804
; %bb.10801:                            ;   in Loop: Header=BB6_9788 Depth=3
	v_bfe_u32 v18, v20, 2, 5
	s_mov_b32 s72, exec_lo
	s_delay_alu instid0(VALU_DEP_1)
	v_cmpx_eq_u32_e32 0, v18
	s_cbranch_execz .LBB6_10803
; %bb.10802:                            ;   in Loop: Header=BB6_9788 Depth=3
	v_clz_i32_u32_e32 v13, v13
	s_delay_alu instid0(VALU_DEP_1) | instskip(SKIP_1) | instid1(VALU_DEP_2)
	v_min_u32_e32 v18, 32, v13
	v_mov_b32_e32 v13, v21
	v_subrev_nc_u32_e32 v20, 29, v18
	v_sub_nc_u32_e32 v18, 30, v18
	s_delay_alu instid0(VALU_DEP_2) | instskip(NEXT) | instid1(VALU_DEP_1)
	v_lshlrev_b64_e32 v[12:13], v20, v[12:13]
	v_and_b32_e32 v13, 3, v12
.LBB6_10803:                            ;   in Loop: Header=BB6_9788 Depth=3
	s_or_b32 exec_lo, exec_lo, s72
	v_lshlrev_b32_e32 v12, 16, v26
	s_delay_alu instid0(VALU_DEP_1) | instskip(NEXT) | instid1(VALU_DEP_1)
	v_and_b32_e32 v12, 0x80000000, v12
	v_lshl_add_u32 v12, v18, 23, v12
	s_delay_alu instid0(VALU_DEP_1) | instskip(NEXT) | instid1(VALU_DEP_1)
	v_lshl_or_b32 v12, v13, 21, v12
                                        ; implicit-def: $vgpr13
	v_add_nc_u32_e32 v18, 0x38000000, v12
.LBB6_10804:                            ;   in Loop: Header=BB6_9788 Depth=3
	s_and_not1_saveexec_b32 s72, s13
; %bb.10805:                            ;   in Loop: Header=BB6_9788 Depth=3
	v_cmp_lt_i16_e64 s13, -1, v26
	v_mov_b32_e32 v12, 0x7f800000
	v_cmp_eq_u32_e32 vcc_lo, 0, v13
	s_delay_alu instid0(VALU_DEP_2) | instskip(NEXT) | instid1(VALU_DEP_1)
	v_cndmask_b32_e64 v12, 0xff800000, v12, s13
	v_cndmask_b32_e32 v18, 0x7f800001, v12, vcc_lo
; %bb.10806:                            ;   in Loop: Header=BB6_9788 Depth=3
	s_or_b32 exec_lo, exec_lo, s72
.LBB6_10807:                            ;   in Loop: Header=BB6_9788 Depth=3
	s_delay_alu instid0(SALU_CYCLE_1)
	s_or_b32 exec_lo, exec_lo, s43
.LBB6_10808:                            ;   in Loop: Header=BB6_9788 Depth=3
	s_delay_alu instid0(SALU_CYCLE_1) | instskip(NEXT) | instid1(VALU_DEP_1)
	s_or_b32 exec_lo, exec_lo, s42
	v_dual_mul_f32 v18, v19, v18 :: v_dual_mov_b32 v23, v21
	v_mov_b32_e32 v13, v21
                                        ; implicit-def: $vgpr32
	s_mov_b32 s13, exec_lo
	s_delay_alu instid0(VALU_DEP_2) | instskip(SKIP_2) | instid1(VALU_DEP_3)
	v_and_b32_e32 v22, 0x7f800000, v18
	v_and_b32_e32 v12, 0x7fffff, v18
	v_lshrrev_b32_e32 v19, 24, v18
	v_cmpx_ne_u64_e32 0x7f800000, v[22:23]
	s_xor_b32 s42, exec_lo, s13
	s_cbranch_execz .LBB6_10822
; %bb.10809:                            ;   in Loop: Header=BB6_9788 Depth=3
	v_and_b32_e32 v22, 0x7fffffff, v18
	v_mov_b32_e32 v23, v21
	v_and_b32_e32 v20, 0x80, v19
                                        ; implicit-def: $vgpr32
	s_mov_b32 s13, exec_lo
	s_delay_alu instid0(VALU_DEP_2)
	v_cmpx_gt_u64_e32 0x47600001, v[22:23]
	s_xor_b32 s43, exec_lo, s13
	s_cbranch_execz .LBB6_10819
; %bb.10810:                            ;   in Loop: Header=BB6_9788 Depth=3
	v_mov_b32_e32 v32, 0
	s_mov_b32 s72, exec_lo
	v_cmpx_ne_u32_e32 0, v18
	s_cbranch_execz .LBB6_10818
; %bb.10811:                            ;   in Loop: Header=BB6_9788 Depth=3
	v_bfe_u32 v22, v18, 23, 8
	v_or_b32_e32 v19, 0x800000, v12
	s_delay_alu instid0(VALU_DEP_2) | instskip(SKIP_2) | instid1(VALU_DEP_2)
	v_cmp_gt_u32_e64 s13, 0x72, v22
	v_sub_nc_u32_e32 v18, 0x71, v22
	v_cmp_eq_u32_e32 vcc_lo, 0, v22
	v_dual_cndmask_b32 v18, 0, v18, s13 :: v_dual_cndmask_b32 v12, v19, v12, vcc_lo
	s_delay_alu instid0(VALU_DEP_1) | instskip(NEXT) | instid1(VALU_DEP_1)
	v_cndmask_b32_e64 v23, v18, 0x70, vcc_lo
	v_dual_add_nc_u32 v18, 21, v23 :: v_dual_add_nc_u32 v32, 20, v23
	s_delay_alu instid0(VALU_DEP_1) | instskip(NEXT) | instid1(VALU_DEP_2)
	v_lshlrev_b64_e64 v[18:19], v18, -1
	v_lshlrev_b64_e64 v[32:33], v32, 1
	s_delay_alu instid0(VALU_DEP_2) | instskip(SKIP_1) | instid1(VALU_DEP_4)
	v_bfi_b32 v18, v18, 0, v12
	v_lshrrev_b64 v[12:13], v23, v[12:13]
	v_bfi_b32 v19, v19, 0, 0
	s_delay_alu instid0(VALU_DEP_1) | instskip(NEXT) | instid1(VALU_DEP_3)
	v_cmp_eq_u64_e64 s13, v[18:19], v[32:33]
	v_mov_b64_e32 v[18:19], v[12:13]
	s_and_saveexec_b32 s73, s13
; %bb.10812:                            ;   in Loop: Header=BB6_9788 Depth=3
	v_bfe_u32 v18, v12, 21, 1
	v_mov_b32_e32 v19, v21
	s_delay_alu instid0(VALU_DEP_1) | instskip(NEXT) | instid1(VALU_DEP_1)
	v_add_nc_u64_e32 v[18:19], v[12:13], v[18:19]
	v_add_nc_u64_e32 v[18:19], -1, v[18:19]
; %bb.10813:                            ;   in Loop: Header=BB6_9788 Depth=3
	s_or_b32 exec_lo, exec_lo, s73
	v_add_nc_u32_e32 v13, 0xffffff81, v22
	v_lshrrev_b32_e32 v19, 23, v12
	s_mov_b32 s13, exec_lo
	s_delay_alu instid0(VALU_DEP_2) | instskip(NEXT) | instid1(VALU_DEP_1)
	v_cndmask_b32_e64 v13, v13, 0xffffff82, vcc_lo
	v_add3_u32 v22, v23, v13, v19
	v_and_b32_e32 v13, 0x1fffff, v18
                                        ; implicit-def: $vgpr18
	s_delay_alu instid0(VALU_DEP_1) | instskip(SKIP_1) | instid1(VALU_DEP_2)
	v_dual_add_nc_u32 v19, 14, v22 :: v_dual_add_nc_u32 v12, v13, v12
	v_mov_b32_e32 v13, v21
	v_cmpx_ne_u32_e32 0, v19
	s_xor_b32 s13, exec_lo, s13
; %bb.10814:                            ;   in Loop: Header=BB6_9788 Depth=3
	s_delay_alu instid0(VALU_DEP_2) | instskip(SKIP_1) | instid1(VALU_DEP_1)
	v_cmp_lt_u64_e32 vcc_lo, 0xffffff, v[12:13]
	v_add_nc_u32_e32 v18, 15, v22
	v_cndmask_b32_e32 v18, v19, v18, vcc_lo
	v_cndmask_b32_e64 v19, 0, 1, vcc_lo
	s_delay_alu instid0(VALU_DEP_1)
	v_lshrrev_b64 v[12:13], v19, v[12:13]
; %bb.10815:                            ;   in Loop: Header=BB6_9788 Depth=3
	s_and_not1_saveexec_b32 s13, s13
; %bb.10816:                            ;   in Loop: Header=BB6_9788 Depth=3
	s_delay_alu instid0(VALU_DEP_1)
	v_bfe_u32 v18, v12, 23, 1
; %bb.10817:                            ;   in Loop: Header=BB6_9788 Depth=3
	s_or_b32 exec_lo, exec_lo, s13
	s_delay_alu instid0(VALU_DEP_2) | instskip(NEXT) | instid1(VALU_DEP_2)
	v_lshrrev_b64 v[12:13], 21, v[12:13]
	v_cmp_gt_i32_e32 vcc_lo, 32, v18
	v_min_i32_e32 v19, 31, v18
	v_cmp_eq_u32_e64 s13, 0, v18
	s_delay_alu instid0(VALU_DEP_2) | instskip(SKIP_1) | instid1(VALU_DEP_2)
	v_dual_cndmask_b32 v13, 0, v13, vcc_lo :: v_dual_lshlrev_b32 v19, 2, v19
	v_cndmask_b32_e32 v12, 3, v12, vcc_lo
	v_and_b32_e32 v19, 0xfc, v19
	s_delay_alu instid0(VALU_DEP_2) | instskip(NEXT) | instid1(VALU_DEP_2)
	v_cmp_eq_u64_e32 vcc_lo, 0, v[12:13]
	v_and_or_b32 v12, v12, 3, v19
	s_and_b32 s13, s13, vcc_lo
	s_delay_alu instid0(VALU_DEP_1) | instid1(SALU_CYCLE_1)
	v_cndmask_b32_e64 v12, v12, 0, s13
	s_delay_alu instid0(VALU_DEP_1)
	v_or_b32_e32 v32, v12, v20
.LBB6_10818:                            ;   in Loop: Header=BB6_9788 Depth=3
	s_or_b32 exec_lo, exec_lo, s72
                                        ; implicit-def: $vgpr20
.LBB6_10819:                            ;   in Loop: Header=BB6_9788 Depth=3
	s_and_not1_saveexec_b32 s13, s43
; %bb.10820:                            ;   in Loop: Header=BB6_9788 Depth=3
	v_or_b32_e32 v32, 0x7b, v20
; %bb.10821:                            ;   in Loop: Header=BB6_9788 Depth=3
	s_or_b32 exec_lo, exec_lo, s13
                                        ; implicit-def: $vgpr18
                                        ; implicit-def: $vgpr12_vgpr13
                                        ; implicit-def: $vgpr19
.LBB6_10822:                            ;   in Loop: Header=BB6_9788 Depth=3
	s_and_not1_saveexec_b32 s13, s42
	s_cbranch_execz .LBB6_10828
; %bb.10823:                            ;   in Loop: Header=BB6_9788 Depth=3
	s_mov_b32 s42, exec_lo
                                        ; implicit-def: $vgpr32
	v_cmpx_ne_u64_e32 0, v[12:13]
	s_xor_b32 s42, exec_lo, s42
; %bb.10824:                            ;   in Loop: Header=BB6_9788 Depth=3
	v_or_b32_e32 v32, 0x7f, v19
                                        ; implicit-def: $vgpr18
; %bb.10825:                            ;   in Loop: Header=BB6_9788 Depth=3
	s_and_not1_saveexec_b32 s42, s42
; %bb.10826:                            ;   in Loop: Header=BB6_9788 Depth=3
	v_cmp_lt_i32_e32 vcc_lo, -1, v18
	v_mov_b32_e32 v12, 0x7c
	s_delay_alu instid0(VALU_DEP_1)
	v_cndmask_b32_e32 v32, 0xfc, v12, vcc_lo
; %bb.10827:                            ;   in Loop: Header=BB6_9788 Depth=3
	s_or_b32 exec_lo, exec_lo, s42
.LBB6_10828:                            ;   in Loop: Header=BB6_9788 Depth=3
	s_delay_alu instid0(SALU_CYCLE_1) | instskip(SKIP_3) | instid1(VALU_DEP_2)
	s_or_b32 exec_lo, exec_lo, s13
	v_dual_mov_b32 v13, 0 :: v_dual_lshrrev_b32 v12, 16, v34
	v_mov_b32_e32 v18, 0
	s_mov_b32 s42, exec_lo
	v_and_b32_e32 v19, 0xff, v12
	s_delay_alu instid0(VALU_DEP_1)
	v_cmpx_ne_u16_e32 0, v19
	s_cbranch_execz .LBB6_10838
; %bb.10829:                            ;   in Loop: Header=BB6_9788 Depth=3
	v_bfrev_b32_e32 v18, 1
	s_mov_b32 s43, exec_lo
	v_cmpx_ne_u16_e32 0x80, v19
	s_cbranch_execz .LBB6_10837
; %bb.10830:                            ;   in Loop: Header=BB6_9788 Depth=3
	v_and_b32_e32 v18, 0x7c0000, v34
	v_bfe_u32 v19, v34, 16, 2
	s_delay_alu instid0(VALU_DEP_2) | instskip(SKIP_1) | instid1(SALU_CYCLE_1)
	v_cmp_ne_u32_e32 vcc_lo, 0x7c0000, v18
                                        ; implicit-def: $vgpr18
	s_and_saveexec_b32 s13, vcc_lo
	s_xor_b32 s13, exec_lo, s13
	s_cbranch_execz .LBB6_10834
; %bb.10831:                            ;   in Loop: Header=BB6_9788 Depth=3
	v_bfe_u32 v18, v34, 18, 5
	s_mov_b32 s72, exec_lo
	s_delay_alu instid0(VALU_DEP_1)
	v_cmpx_eq_u32_e32 0, v18
; %bb.10832:                            ;   in Loop: Header=BB6_9788 Depth=3
	v_clz_i32_u32_e32 v18, v19
	s_delay_alu instid0(VALU_DEP_1) | instskip(NEXT) | instid1(VALU_DEP_1)
	v_min_u32_e32 v18, 32, v18
	v_subrev_nc_u32_e32 v19, 29, v18
	v_sub_nc_u32_e32 v18, 30, v18
	s_delay_alu instid0(VALU_DEP_2) | instskip(NEXT) | instid1(VALU_DEP_1)
	v_lshlrev_b64_e32 v[22:23], v19, v[12:13]
	v_and_b32_e32 v19, 3, v22
; %bb.10833:                            ;   in Loop: Header=BB6_9788 Depth=3
	s_or_b32 exec_lo, exec_lo, s72
	v_lshlrev_b32_e32 v12, 24, v12
	s_delay_alu instid0(VALU_DEP_1) | instskip(NEXT) | instid1(VALU_DEP_1)
	v_and_b32_e32 v12, 0x80000000, v12
	v_lshl_add_u32 v12, v18, 23, v12
	s_delay_alu instid0(VALU_DEP_1) | instskip(NEXT) | instid1(VALU_DEP_1)
	v_lshl_or_b32 v12, v19, 21, v12
                                        ; implicit-def: $vgpr19
	v_add_nc_u32_e32 v18, 0x38000000, v12
                                        ; implicit-def: $vgpr12
.LBB6_10834:                            ;   in Loop: Header=BB6_9788 Depth=3
	s_and_not1_saveexec_b32 s72, s13
; %bb.10835:                            ;   in Loop: Header=BB6_9788 Depth=3
	v_bfe_i32 v12, v12, 0, 8
	v_cmp_eq_u32_e32 vcc_lo, 0, v19
	s_delay_alu instid0(VALU_DEP_2) | instskip(SKIP_1) | instid1(VALU_DEP_1)
	v_cmp_lt_i16_e64 s13, -1, v12
	v_mov_b32_e32 v12, 0x7f800000
	v_cndmask_b32_e64 v12, 0xff800000, v12, s13
	s_delay_alu instid0(VALU_DEP_1)
	v_cndmask_b32_e32 v18, 0x7f800001, v12, vcc_lo
; %bb.10836:                            ;   in Loop: Header=BB6_9788 Depth=3
	s_or_b32 exec_lo, exec_lo, s72
.LBB6_10837:                            ;   in Loop: Header=BB6_9788 Depth=3
	s_delay_alu instid0(SALU_CYCLE_1)
	s_or_b32 exec_lo, exec_lo, s43
.LBB6_10838:                            ;   in Loop: Header=BB6_9788 Depth=3
	s_delay_alu instid0(SALU_CYCLE_1) | instskip(SKIP_2) | instid1(VALU_DEP_1)
	s_or_b32 exec_lo, exec_lo, s42
	v_lshrrev_b32_e32 v12, 16, v26
	s_mov_b32 s42, exec_lo
	v_and_b32_e32 v19, 0xff, v12
	s_delay_alu instid0(VALU_DEP_1)
	v_cmpx_ne_u16_e32 0, v19
	s_cbranch_execz .LBB6_10848
; %bb.10839:                            ;   in Loop: Header=BB6_9788 Depth=3
	v_bfrev_b32_e32 v13, 1
	s_mov_b32 s43, exec_lo
	v_cmpx_ne_u16_e32 0x80, v19
	s_cbranch_execz .LBB6_10847
; %bb.10840:                            ;   in Loop: Header=BB6_9788 Depth=3
	v_and_b32_e32 v13, 0x7c0000, v26
	v_bfe_u32 v19, v26, 16, 2
	s_delay_alu instid0(VALU_DEP_2) | instskip(SKIP_1) | instid1(SALU_CYCLE_1)
	v_cmp_ne_u32_e32 vcc_lo, 0x7c0000, v13
                                        ; implicit-def: $vgpr13
	s_and_saveexec_b32 s13, vcc_lo
	s_xor_b32 s13, exec_lo, s13
	s_cbranch_execz .LBB6_10844
; %bb.10841:                            ;   in Loop: Header=BB6_9788 Depth=3
	v_bfe_u32 v13, v26, 18, 5
	s_mov_b32 s72, exec_lo
	s_delay_alu instid0(VALU_DEP_1)
	v_cmpx_eq_u32_e32 0, v13
; %bb.10842:                            ;   in Loop: Header=BB6_9788 Depth=3
	v_clz_i32_u32_e32 v13, v19
	s_delay_alu instid0(VALU_DEP_1) | instskip(NEXT) | instid1(VALU_DEP_1)
	v_min_u32_e32 v13, 32, v13
	v_subrev_nc_u32_e32 v19, 29, v13
	s_delay_alu instid0(VALU_DEP_1) | instskip(NEXT) | instid1(VALU_DEP_1)
	v_lshlrev_b64_e32 v[22:23], v19, v[12:13]
	v_dual_sub_nc_u32 v13, 30, v13 :: v_dual_bitop2_b32 v19, 3, v22 bitop3:0x40
; %bb.10843:                            ;   in Loop: Header=BB6_9788 Depth=3
	s_or_b32 exec_lo, exec_lo, s72
	v_lshlrev_b32_e32 v12, 24, v12
	s_delay_alu instid0(VALU_DEP_1) | instskip(NEXT) | instid1(VALU_DEP_1)
	v_and_b32_e32 v12, 0x80000000, v12
	v_lshl_add_u32 v12, v13, 23, v12
	s_delay_alu instid0(VALU_DEP_1) | instskip(NEXT) | instid1(VALU_DEP_1)
	v_lshl_or_b32 v12, v19, 21, v12
                                        ; implicit-def: $vgpr19
	v_add_nc_u32_e32 v13, 0x38000000, v12
                                        ; implicit-def: $vgpr12
.LBB6_10844:                            ;   in Loop: Header=BB6_9788 Depth=3
	s_and_not1_saveexec_b32 s72, s13
; %bb.10845:                            ;   in Loop: Header=BB6_9788 Depth=3
	v_bfe_i32 v12, v12, 0, 8
	v_cmp_eq_u32_e32 vcc_lo, 0, v19
	s_delay_alu instid0(VALU_DEP_2) | instskip(SKIP_1) | instid1(VALU_DEP_1)
	v_cmp_lt_i16_e64 s13, -1, v12
	v_mov_b32_e32 v12, 0x7f800000
	v_cndmask_b32_e64 v12, 0xff800000, v12, s13
	s_delay_alu instid0(VALU_DEP_1)
	v_cndmask_b32_e32 v13, 0x7f800001, v12, vcc_lo
; %bb.10846:                            ;   in Loop: Header=BB6_9788 Depth=3
	s_or_b32 exec_lo, exec_lo, s72
.LBB6_10847:                            ;   in Loop: Header=BB6_9788 Depth=3
	s_delay_alu instid0(SALU_CYCLE_1)
	s_or_b32 exec_lo, exec_lo, s43
.LBB6_10848:                            ;   in Loop: Header=BB6_9788 Depth=3
	s_delay_alu instid0(SALU_CYCLE_1) | instskip(NEXT) | instid1(VALU_DEP_1)
	s_or_b32 exec_lo, exec_lo, s42
	v_dual_mul_f32 v18, v18, v13 :: v_dual_mov_b32 v23, v21
	v_mov_b32_e32 v13, v21
                                        ; implicit-def: $vgpr33
	s_mov_b32 s13, exec_lo
	s_delay_alu instid0(VALU_DEP_2) | instskip(SKIP_2) | instid1(VALU_DEP_3)
	v_and_b32_e32 v22, 0x7f800000, v18
	v_and_b32_e32 v12, 0x7fffff, v18
	v_lshrrev_b32_e32 v19, 24, v18
	v_cmpx_ne_u64_e32 0x7f800000, v[22:23]
	s_xor_b32 s42, exec_lo, s13
	s_cbranch_execz .LBB6_10862
; %bb.10849:                            ;   in Loop: Header=BB6_9788 Depth=3
	v_and_b32_e32 v22, 0x7fffffff, v18
	v_mov_b32_e32 v23, v21
	v_and_b32_e32 v20, 0x80, v19
                                        ; implicit-def: $vgpr33
	s_mov_b32 s13, exec_lo
	s_delay_alu instid0(VALU_DEP_2)
	v_cmpx_gt_u64_e32 0x47600001, v[22:23]
	s_xor_b32 s43, exec_lo, s13
	s_cbranch_execz .LBB6_10859
; %bb.10850:                            ;   in Loop: Header=BB6_9788 Depth=3
	v_mov_b32_e32 v33, 0
	s_mov_b32 s72, exec_lo
	v_cmpx_ne_u32_e32 0, v18
	s_cbranch_execz .LBB6_10858
; %bb.10851:                            ;   in Loop: Header=BB6_9788 Depth=3
	v_bfe_u32 v22, v18, 23, 8
	v_or_b32_e32 v19, 0x800000, v12
	s_delay_alu instid0(VALU_DEP_2) | instskip(SKIP_2) | instid1(VALU_DEP_2)
	v_cmp_gt_u32_e64 s13, 0x72, v22
	v_sub_nc_u32_e32 v18, 0x71, v22
	v_cmp_eq_u32_e32 vcc_lo, 0, v22
	v_dual_cndmask_b32 v18, 0, v18, s13 :: v_dual_cndmask_b32 v12, v19, v12, vcc_lo
	s_delay_alu instid0(VALU_DEP_1) | instskip(NEXT) | instid1(VALU_DEP_1)
	v_cndmask_b32_e64 v23, v18, 0x70, vcc_lo
	v_dual_add_nc_u32 v18, 21, v23 :: v_dual_add_nc_u32 v33, 20, v23
	s_delay_alu instid0(VALU_DEP_1) | instskip(NEXT) | instid1(VALU_DEP_2)
	v_lshlrev_b64_e64 v[18:19], v18, -1
	v_lshlrev_b64_e64 v[82:83], v33, 1
	s_delay_alu instid0(VALU_DEP_2) | instskip(SKIP_1) | instid1(VALU_DEP_4)
	v_bfi_b32 v18, v18, 0, v12
	v_lshrrev_b64 v[12:13], v23, v[12:13]
	v_bfi_b32 v19, v19, 0, 0
	s_delay_alu instid0(VALU_DEP_1) | instskip(NEXT) | instid1(VALU_DEP_3)
	v_cmp_eq_u64_e64 s13, v[18:19], v[82:83]
	v_mov_b64_e32 v[18:19], v[12:13]
	s_and_saveexec_b32 s73, s13
; %bb.10852:                            ;   in Loop: Header=BB6_9788 Depth=3
	v_bfe_u32 v18, v12, 21, 1
	v_mov_b32_e32 v19, v21
	s_delay_alu instid0(VALU_DEP_1) | instskip(NEXT) | instid1(VALU_DEP_1)
	v_add_nc_u64_e32 v[18:19], v[12:13], v[18:19]
	v_add_nc_u64_e32 v[18:19], -1, v[18:19]
; %bb.10853:                            ;   in Loop: Header=BB6_9788 Depth=3
	s_or_b32 exec_lo, exec_lo, s73
	v_add_nc_u32_e32 v13, 0xffffff81, v22
	v_lshrrev_b32_e32 v19, 23, v12
	s_mov_b32 s13, exec_lo
	s_delay_alu instid0(VALU_DEP_2) | instskip(NEXT) | instid1(VALU_DEP_1)
	v_cndmask_b32_e64 v13, v13, 0xffffff82, vcc_lo
	v_add3_u32 v22, v23, v13, v19
	v_and_b32_e32 v13, 0x1fffff, v18
                                        ; implicit-def: $vgpr18
	s_delay_alu instid0(VALU_DEP_1) | instskip(SKIP_1) | instid1(VALU_DEP_2)
	v_dual_add_nc_u32 v19, 14, v22 :: v_dual_add_nc_u32 v12, v13, v12
	v_mov_b32_e32 v13, v21
	v_cmpx_ne_u32_e32 0, v19
	s_xor_b32 s13, exec_lo, s13
; %bb.10854:                            ;   in Loop: Header=BB6_9788 Depth=3
	s_delay_alu instid0(VALU_DEP_2) | instskip(SKIP_1) | instid1(VALU_DEP_1)
	v_cmp_lt_u64_e32 vcc_lo, 0xffffff, v[12:13]
	v_add_nc_u32_e32 v18, 15, v22
	v_cndmask_b32_e32 v18, v19, v18, vcc_lo
	v_cndmask_b32_e64 v19, 0, 1, vcc_lo
	s_delay_alu instid0(VALU_DEP_1)
	v_lshrrev_b64 v[12:13], v19, v[12:13]
; %bb.10855:                            ;   in Loop: Header=BB6_9788 Depth=3
	s_and_not1_saveexec_b32 s13, s13
; %bb.10856:                            ;   in Loop: Header=BB6_9788 Depth=3
	s_delay_alu instid0(VALU_DEP_1)
	v_bfe_u32 v18, v12, 23, 1
; %bb.10857:                            ;   in Loop: Header=BB6_9788 Depth=3
	s_or_b32 exec_lo, exec_lo, s13
	s_delay_alu instid0(VALU_DEP_2) | instskip(NEXT) | instid1(VALU_DEP_2)
	v_lshrrev_b64 v[12:13], 21, v[12:13]
	v_cmp_gt_i32_e32 vcc_lo, 32, v18
	v_min_i32_e32 v19, 31, v18
	v_cmp_eq_u32_e64 s13, 0, v18
	s_delay_alu instid0(VALU_DEP_2) | instskip(SKIP_1) | instid1(VALU_DEP_2)
	v_dual_cndmask_b32 v13, 0, v13, vcc_lo :: v_dual_lshlrev_b32 v19, 2, v19
	v_cndmask_b32_e32 v12, 3, v12, vcc_lo
	v_and_b32_e32 v19, 0xfc, v19
	s_delay_alu instid0(VALU_DEP_2) | instskip(NEXT) | instid1(VALU_DEP_2)
	v_cmp_eq_u64_e32 vcc_lo, 0, v[12:13]
	v_and_or_b32 v12, v12, 3, v19
	s_and_b32 s13, s13, vcc_lo
	s_delay_alu instid0(VALU_DEP_1) | instid1(SALU_CYCLE_1)
	v_cndmask_b32_e64 v12, v12, 0, s13
	s_delay_alu instid0(VALU_DEP_1)
	v_or_b32_e32 v33, v12, v20
.LBB6_10858:                            ;   in Loop: Header=BB6_9788 Depth=3
	s_or_b32 exec_lo, exec_lo, s72
                                        ; implicit-def: $vgpr20
.LBB6_10859:                            ;   in Loop: Header=BB6_9788 Depth=3
	s_and_not1_saveexec_b32 s13, s43
; %bb.10860:                            ;   in Loop: Header=BB6_9788 Depth=3
	v_or_b32_e32 v33, 0x7b, v20
; %bb.10861:                            ;   in Loop: Header=BB6_9788 Depth=3
	s_or_b32 exec_lo, exec_lo, s13
                                        ; implicit-def: $vgpr18
                                        ; implicit-def: $vgpr12_vgpr13
                                        ; implicit-def: $vgpr19
.LBB6_10862:                            ;   in Loop: Header=BB6_9788 Depth=3
	s_and_not1_saveexec_b32 s13, s42
	s_cbranch_execz .LBB6_10868
; %bb.10863:                            ;   in Loop: Header=BB6_9788 Depth=3
	s_mov_b32 s42, exec_lo
                                        ; implicit-def: $vgpr33
	v_cmpx_ne_u64_e32 0, v[12:13]
	s_xor_b32 s42, exec_lo, s42
; %bb.10864:                            ;   in Loop: Header=BB6_9788 Depth=3
	v_or_b32_e32 v33, 0x7f, v19
                                        ; implicit-def: $vgpr18
; %bb.10865:                            ;   in Loop: Header=BB6_9788 Depth=3
	s_and_not1_saveexec_b32 s42, s42
; %bb.10866:                            ;   in Loop: Header=BB6_9788 Depth=3
	v_cmp_lt_i32_e32 vcc_lo, -1, v18
	v_mov_b32_e32 v12, 0x7c
	s_delay_alu instid0(VALU_DEP_1)
	v_cndmask_b32_e32 v33, 0xfc, v12, vcc_lo
; %bb.10867:                            ;   in Loop: Header=BB6_9788 Depth=3
	s_or_b32 exec_lo, exec_lo, s42
.LBB6_10868:                            ;   in Loop: Header=BB6_9788 Depth=3
	s_delay_alu instid0(SALU_CYCLE_1)
	s_or_b32 exec_lo, exec_lo, s13
	v_dual_mov_b32 v13, 0 :: v_dual_mov_b32 v18, 0
	s_mov_b32 s42, exec_lo
	v_cmpx_lt_u32_e32 0xffffff, v34
	s_cbranch_execz .LBB6_10878
; %bb.10869:                            ;   in Loop: Header=BB6_9788 Depth=3
	v_lshrrev_b32_e32 v12, 24, v34
	v_bfrev_b32_e32 v18, 1
	s_mov_b32 s43, exec_lo
	s_delay_alu instid0(VALU_DEP_2)
	v_cmpx_ne_u32_e32 0x80, v12
	s_cbranch_execz .LBB6_10877
; %bb.10870:                            ;   in Loop: Header=BB6_9788 Depth=3
	v_and_b32_e32 v18, 0x7c000000, v34
	v_bfe_u32 v19, v34, 24, 2
	s_delay_alu instid0(VALU_DEP_2) | instskip(SKIP_1) | instid1(SALU_CYCLE_1)
	v_cmp_ne_u32_e32 vcc_lo, 0x7c000000, v18
                                        ; implicit-def: $vgpr18
	s_and_saveexec_b32 s13, vcc_lo
	s_xor_b32 s13, exec_lo, s13
	s_cbranch_execz .LBB6_10874
; %bb.10871:                            ;   in Loop: Header=BB6_9788 Depth=3
	v_bfe_u32 v18, v34, 26, 5
	s_mov_b32 s72, exec_lo
	s_delay_alu instid0(VALU_DEP_1)
	v_cmpx_eq_u32_e32 0, v18
; %bb.10872:                            ;   in Loop: Header=BB6_9788 Depth=3
	v_clz_i32_u32_e32 v18, v19
	s_delay_alu instid0(VALU_DEP_1) | instskip(NEXT) | instid1(VALU_DEP_1)
	v_min_u32_e32 v18, 32, v18
	v_subrev_nc_u32_e32 v19, 29, v18
	v_sub_nc_u32_e32 v18, 30, v18
	s_delay_alu instid0(VALU_DEP_2) | instskip(NEXT) | instid1(VALU_DEP_1)
	v_lshlrev_b64_e32 v[22:23], v19, v[12:13]
	v_and_b32_e32 v19, 3, v22
; %bb.10873:                            ;   in Loop: Header=BB6_9788 Depth=3
	s_or_b32 exec_lo, exec_lo, s72
	v_and_b32_e32 v12, 0x80000000, v34
	s_delay_alu instid0(VALU_DEP_1) | instskip(NEXT) | instid1(VALU_DEP_1)
	v_lshl_add_u32 v12, v18, 23, v12
	v_lshl_or_b32 v12, v19, 21, v12
                                        ; implicit-def: $vgpr19
	s_delay_alu instid0(VALU_DEP_1)
	v_add_nc_u32_e32 v18, 0x38000000, v12
.LBB6_10874:                            ;   in Loop: Header=BB6_9788 Depth=3
	s_and_not1_saveexec_b32 s72, s13
; %bb.10875:                            ;   in Loop: Header=BB6_9788 Depth=3
	v_cmp_lt_i32_e64 s13, -1, v34
	v_mov_b32_e32 v12, 0x7f800000
	v_cmp_eq_u32_e32 vcc_lo, 0, v19
	s_delay_alu instid0(VALU_DEP_2) | instskip(NEXT) | instid1(VALU_DEP_1)
	v_cndmask_b32_e64 v12, 0xff800000, v12, s13
	v_cndmask_b32_e32 v18, 0x7f800001, v12, vcc_lo
; %bb.10876:                            ;   in Loop: Header=BB6_9788 Depth=3
	s_or_b32 exec_lo, exec_lo, s72
.LBB6_10877:                            ;   in Loop: Header=BB6_9788 Depth=3
	s_delay_alu instid0(SALU_CYCLE_1)
	s_or_b32 exec_lo, exec_lo, s43
.LBB6_10878:                            ;   in Loop: Header=BB6_9788 Depth=3
	s_delay_alu instid0(SALU_CYCLE_1) | instskip(NEXT) | instid1(SALU_CYCLE_1)
	s_or_b32 exec_lo, exec_lo, s42
	s_mov_b32 s42, exec_lo
	v_cmpx_lt_u32_e32 0xffffff, v26
	s_cbranch_execz .LBB6_10888
; %bb.10879:                            ;   in Loop: Header=BB6_9788 Depth=3
	v_lshrrev_b32_e32 v12, 24, v26
	v_bfrev_b32_e32 v13, 1
	s_mov_b32 s43, exec_lo
	s_delay_alu instid0(VALU_DEP_2)
	v_cmpx_ne_u32_e32 0x80, v12
	s_cbranch_execz .LBB6_10887
; %bb.10880:                            ;   in Loop: Header=BB6_9788 Depth=3
	v_and_b32_e32 v13, 0x7c000000, v26
	v_bfe_u32 v19, v26, 24, 2
	s_delay_alu instid0(VALU_DEP_2) | instskip(SKIP_1) | instid1(SALU_CYCLE_1)
	v_cmp_ne_u32_e32 vcc_lo, 0x7c000000, v13
                                        ; implicit-def: $vgpr13
	s_and_saveexec_b32 s13, vcc_lo
	s_xor_b32 s13, exec_lo, s13
	s_cbranch_execz .LBB6_10884
; %bb.10881:                            ;   in Loop: Header=BB6_9788 Depth=3
	v_bfe_u32 v13, v26, 26, 5
	s_mov_b32 s72, exec_lo
	s_delay_alu instid0(VALU_DEP_1)
	v_cmpx_eq_u32_e32 0, v13
; %bb.10882:                            ;   in Loop: Header=BB6_9788 Depth=3
	v_clz_i32_u32_e32 v13, v19
	s_delay_alu instid0(VALU_DEP_1) | instskip(NEXT) | instid1(VALU_DEP_1)
	v_min_u32_e32 v19, 32, v13
	v_subrev_nc_u32_e32 v13, 29, v19
	s_delay_alu instid0(VALU_DEP_1) | instskip(NEXT) | instid1(VALU_DEP_1)
	v_lshlrev_b64_e32 v[12:13], v13, v[12:13]
	v_dual_sub_nc_u32 v13, 30, v19 :: v_dual_bitop2_b32 v19, 3, v12 bitop3:0x40
; %bb.10883:                            ;   in Loop: Header=BB6_9788 Depth=3
	s_or_b32 exec_lo, exec_lo, s72
	v_and_b32_e32 v12, 0x80000000, v26
	s_delay_alu instid0(VALU_DEP_1) | instskip(NEXT) | instid1(VALU_DEP_1)
	v_lshl_add_u32 v12, v13, 23, v12
	v_lshl_or_b32 v12, v19, 21, v12
                                        ; implicit-def: $vgpr19
	s_delay_alu instid0(VALU_DEP_1)
	v_add_nc_u32_e32 v13, 0x38000000, v12
.LBB6_10884:                            ;   in Loop: Header=BB6_9788 Depth=3
	s_and_not1_saveexec_b32 s72, s13
; %bb.10885:                            ;   in Loop: Header=BB6_9788 Depth=3
	v_cmp_lt_i32_e64 s13, -1, v26
	v_mov_b32_e32 v12, 0x7f800000
	v_cmp_eq_u32_e32 vcc_lo, 0, v19
	s_delay_alu instid0(VALU_DEP_2) | instskip(NEXT) | instid1(VALU_DEP_1)
	v_cndmask_b32_e64 v12, 0xff800000, v12, s13
	v_cndmask_b32_e32 v13, 0x7f800001, v12, vcc_lo
; %bb.10886:                            ;   in Loop: Header=BB6_9788 Depth=3
	s_or_b32 exec_lo, exec_lo, s72
.LBB6_10887:                            ;   in Loop: Header=BB6_9788 Depth=3
	s_delay_alu instid0(SALU_CYCLE_1)
	s_or_b32 exec_lo, exec_lo, s43
.LBB6_10888:                            ;   in Loop: Header=BB6_9788 Depth=3
	s_delay_alu instid0(SALU_CYCLE_1) | instskip(NEXT) | instid1(VALU_DEP_1)
	s_or_b32 exec_lo, exec_lo, s42
	v_dual_mul_f32 v18, v18, v13 :: v_dual_mov_b32 v23, v21
	v_mov_b32_e32 v13, v21
                                        ; implicit-def: $vgpr81
	s_mov_b32 s13, exec_lo
	s_delay_alu instid0(VALU_DEP_2) | instskip(SKIP_2) | instid1(VALU_DEP_3)
	v_and_b32_e32 v22, 0x7f800000, v18
	v_and_b32_e32 v12, 0x7fffff, v18
	v_lshrrev_b32_e32 v19, 24, v18
	v_cmpx_ne_u64_e32 0x7f800000, v[22:23]
	s_xor_b32 s42, exec_lo, s13
	s_cbranch_execz .LBB6_10902
; %bb.10889:                            ;   in Loop: Header=BB6_9788 Depth=3
	v_and_b32_e32 v22, 0x7fffffff, v18
	v_mov_b32_e32 v23, v21
	v_and_b32_e32 v20, 0x80, v19
                                        ; implicit-def: $vgpr81
	s_mov_b32 s13, exec_lo
	s_delay_alu instid0(VALU_DEP_2)
	v_cmpx_gt_u64_e32 0x47600001, v[22:23]
	s_xor_b32 s43, exec_lo, s13
	s_cbranch_execz .LBB6_10899
; %bb.10890:                            ;   in Loop: Header=BB6_9788 Depth=3
	v_mov_b32_e32 v81, 0
	s_mov_b32 s72, exec_lo
	v_cmpx_ne_u32_e32 0, v18
	s_cbranch_execz .LBB6_10898
; %bb.10891:                            ;   in Loop: Header=BB6_9788 Depth=3
	v_bfe_u32 v22, v18, 23, 8
	v_or_b32_e32 v19, 0x800000, v12
	s_delay_alu instid0(VALU_DEP_2) | instskip(SKIP_2) | instid1(VALU_DEP_2)
	v_cmp_gt_u32_e64 s13, 0x72, v22
	v_sub_nc_u32_e32 v18, 0x71, v22
	v_cmp_eq_u32_e32 vcc_lo, 0, v22
	v_dual_cndmask_b32 v18, 0, v18, s13 :: v_dual_cndmask_b32 v12, v19, v12, vcc_lo
	s_delay_alu instid0(VALU_DEP_1) | instskip(NEXT) | instid1(VALU_DEP_1)
	v_cndmask_b32_e64 v23, v18, 0x70, vcc_lo
	v_dual_add_nc_u32 v18, 21, v23 :: v_dual_add_nc_u32 v81, 20, v23
	s_delay_alu instid0(VALU_DEP_1) | instskip(NEXT) | instid1(VALU_DEP_2)
	v_lshlrev_b64_e64 v[18:19], v18, -1
	v_lshlrev_b64_e64 v[82:83], v81, 1
	s_delay_alu instid0(VALU_DEP_2) | instskip(SKIP_1) | instid1(VALU_DEP_4)
	v_bfi_b32 v18, v18, 0, v12
	v_lshrrev_b64 v[12:13], v23, v[12:13]
	v_bfi_b32 v19, v19, 0, 0
	s_delay_alu instid0(VALU_DEP_1) | instskip(NEXT) | instid1(VALU_DEP_3)
	v_cmp_eq_u64_e64 s13, v[18:19], v[82:83]
	v_mov_b64_e32 v[18:19], v[12:13]
	s_and_saveexec_b32 s73, s13
; %bb.10892:                            ;   in Loop: Header=BB6_9788 Depth=3
	v_bfe_u32 v18, v12, 21, 1
	v_mov_b32_e32 v19, v21
	s_delay_alu instid0(VALU_DEP_1) | instskip(NEXT) | instid1(VALU_DEP_1)
	v_add_nc_u64_e32 v[18:19], v[12:13], v[18:19]
	v_add_nc_u64_e32 v[18:19], -1, v[18:19]
; %bb.10893:                            ;   in Loop: Header=BB6_9788 Depth=3
	s_or_b32 exec_lo, exec_lo, s73
	v_add_nc_u32_e32 v13, 0xffffff81, v22
	v_lshrrev_b32_e32 v19, 23, v12
	s_mov_b32 s13, exec_lo
	s_delay_alu instid0(VALU_DEP_2) | instskip(NEXT) | instid1(VALU_DEP_1)
	v_cndmask_b32_e64 v13, v13, 0xffffff82, vcc_lo
	v_add3_u32 v22, v23, v13, v19
	v_and_b32_e32 v13, 0x1fffff, v18
                                        ; implicit-def: $vgpr18
	s_delay_alu instid0(VALU_DEP_1) | instskip(SKIP_1) | instid1(VALU_DEP_2)
	v_dual_add_nc_u32 v19, 14, v22 :: v_dual_add_nc_u32 v12, v13, v12
	v_mov_b32_e32 v13, v21
	v_cmpx_ne_u32_e32 0, v19
	s_xor_b32 s13, exec_lo, s13
; %bb.10894:                            ;   in Loop: Header=BB6_9788 Depth=3
	s_delay_alu instid0(VALU_DEP_2) | instskip(SKIP_1) | instid1(VALU_DEP_1)
	v_cmp_lt_u64_e32 vcc_lo, 0xffffff, v[12:13]
	v_add_nc_u32_e32 v18, 15, v22
	v_cndmask_b32_e32 v18, v19, v18, vcc_lo
	v_cndmask_b32_e64 v19, 0, 1, vcc_lo
	s_delay_alu instid0(VALU_DEP_1)
	v_lshrrev_b64 v[12:13], v19, v[12:13]
; %bb.10895:                            ;   in Loop: Header=BB6_9788 Depth=3
	s_and_not1_saveexec_b32 s13, s13
; %bb.10896:                            ;   in Loop: Header=BB6_9788 Depth=3
	s_delay_alu instid0(VALU_DEP_1)
	v_bfe_u32 v18, v12, 23, 1
; %bb.10897:                            ;   in Loop: Header=BB6_9788 Depth=3
	s_or_b32 exec_lo, exec_lo, s13
	s_delay_alu instid0(VALU_DEP_2) | instskip(NEXT) | instid1(VALU_DEP_2)
	v_lshrrev_b64 v[12:13], 21, v[12:13]
	v_cmp_gt_i32_e32 vcc_lo, 32, v18
	v_min_i32_e32 v19, 31, v18
	v_cmp_eq_u32_e64 s13, 0, v18
	s_delay_alu instid0(VALU_DEP_2) | instskip(SKIP_1) | instid1(VALU_DEP_2)
	v_dual_cndmask_b32 v13, 0, v13, vcc_lo :: v_dual_lshlrev_b32 v19, 2, v19
	v_cndmask_b32_e32 v12, 3, v12, vcc_lo
	v_and_b32_e32 v19, 0xfc, v19
	s_delay_alu instid0(VALU_DEP_2) | instskip(NEXT) | instid1(VALU_DEP_2)
	v_cmp_eq_u64_e32 vcc_lo, 0, v[12:13]
	v_and_or_b32 v12, v12, 3, v19
	s_and_b32 s13, s13, vcc_lo
	s_delay_alu instid0(VALU_DEP_1) | instid1(SALU_CYCLE_1)
	v_cndmask_b32_e64 v12, v12, 0, s13
	s_delay_alu instid0(VALU_DEP_1)
	v_or_b32_e32 v81, v12, v20
.LBB6_10898:                            ;   in Loop: Header=BB6_9788 Depth=3
	s_or_b32 exec_lo, exec_lo, s72
                                        ; implicit-def: $vgpr20
.LBB6_10899:                            ;   in Loop: Header=BB6_9788 Depth=3
	s_and_not1_saveexec_b32 s13, s43
; %bb.10900:                            ;   in Loop: Header=BB6_9788 Depth=3
	v_or_b32_e32 v81, 0x7b, v20
; %bb.10901:                            ;   in Loop: Header=BB6_9788 Depth=3
	s_or_b32 exec_lo, exec_lo, s13
                                        ; implicit-def: $vgpr18
                                        ; implicit-def: $vgpr12_vgpr13
                                        ; implicit-def: $vgpr19
.LBB6_10902:                            ;   in Loop: Header=BB6_9788 Depth=3
	s_and_not1_saveexec_b32 s13, s42
	s_cbranch_execz .LBB6_10908
; %bb.10903:                            ;   in Loop: Header=BB6_9788 Depth=3
	s_mov_b32 s42, exec_lo
                                        ; implicit-def: $vgpr81
	v_cmpx_ne_u64_e32 0, v[12:13]
	s_xor_b32 s42, exec_lo, s42
; %bb.10904:                            ;   in Loop: Header=BB6_9788 Depth=3
	v_or_b32_e32 v81, 0x7f, v19
                                        ; implicit-def: $vgpr18
; %bb.10905:                            ;   in Loop: Header=BB6_9788 Depth=3
	s_and_not1_saveexec_b32 s42, s42
; %bb.10906:                            ;   in Loop: Header=BB6_9788 Depth=3
	v_cmp_lt_i32_e32 vcc_lo, -1, v18
	v_mov_b32_e32 v12, 0x7c
	s_delay_alu instid0(VALU_DEP_1)
	v_cndmask_b32_e32 v81, 0xfc, v12, vcc_lo
; %bb.10907:                            ;   in Loop: Header=BB6_9788 Depth=3
	s_or_b32 exec_lo, exec_lo, s42
.LBB6_10908:                            ;   in Loop: Header=BB6_9788 Depth=3
	s_delay_alu instid0(SALU_CYCLE_1) | instskip(SKIP_4) | instid1(VALU_DEP_3)
	s_or_b32 exec_lo, exec_lo, s13
	v_and_b32_e32 v20, 0xff, v35
	v_dual_mov_b32 v12, v35 :: v_dual_mov_b32 v13, v21
	v_dual_mov_b32 v19, 0 :: v_dual_mov_b32 v18, 0
	s_mov_b32 s42, exec_lo
	v_cmpx_ne_u16_e32 0, v20
	s_cbranch_execz .LBB6_10918
; %bb.10909:                            ;   in Loop: Header=BB6_9788 Depth=3
	v_bfrev_b32_e32 v18, 1
	s_mov_b32 s43, exec_lo
	v_cmpx_ne_u16_e32 0x80, v20
	s_cbranch_execz .LBB6_10917
; %bb.10910:                            ;   in Loop: Header=BB6_9788 Depth=3
	v_and_b32_e32 v18, 0x7c, v35
	v_and_b32_e32 v20, 3, v35
	s_delay_alu instid0(VALU_DEP_2) | instskip(SKIP_1) | instid1(SALU_CYCLE_1)
	v_cmp_ne_u32_e32 vcc_lo, 0x7c, v18
                                        ; implicit-def: $vgpr18
	s_and_saveexec_b32 s13, vcc_lo
	s_xor_b32 s13, exec_lo, s13
	s_cbranch_execz .LBB6_10914
; %bb.10911:                            ;   in Loop: Header=BB6_9788 Depth=3
	v_bfe_u32 v18, v35, 2, 5
	s_mov_b32 s72, exec_lo
	s_delay_alu instid0(VALU_DEP_1)
	v_cmpx_eq_u32_e32 0, v18
; %bb.10912:                            ;   in Loop: Header=BB6_9788 Depth=3
	v_clz_i32_u32_e32 v18, v20
	s_delay_alu instid0(VALU_DEP_1) | instskip(NEXT) | instid1(VALU_DEP_1)
	v_min_u32_e32 v18, 32, v18
	v_subrev_nc_u32_e32 v20, 29, v18
	v_sub_nc_u32_e32 v18, 30, v18
	s_delay_alu instid0(VALU_DEP_2) | instskip(NEXT) | instid1(VALU_DEP_1)
	v_lshlrev_b64_e32 v[22:23], v20, v[12:13]
	v_and_b32_e32 v20, 3, v22
; %bb.10913:                            ;   in Loop: Header=BB6_9788 Depth=3
	s_or_b32 exec_lo, exec_lo, s72
	v_lshlrev_b32_e32 v13, 24, v35
	s_delay_alu instid0(VALU_DEP_1) | instskip(NEXT) | instid1(VALU_DEP_1)
	v_and_b32_e32 v13, 0x80000000, v13
	v_lshl_add_u32 v13, v18, 23, v13
	s_delay_alu instid0(VALU_DEP_1) | instskip(NEXT) | instid1(VALU_DEP_1)
	v_lshl_or_b32 v13, v20, 21, v13
                                        ; implicit-def: $vgpr20
	v_add_nc_u32_e32 v18, 0x38000000, v13
.LBB6_10914:                            ;   in Loop: Header=BB6_9788 Depth=3
	s_and_not1_saveexec_b32 s72, s13
; %bb.10915:                            ;   in Loop: Header=BB6_9788 Depth=3
	v_bfe_i32 v13, v35, 0, 8
	v_cmp_eq_u32_e32 vcc_lo, 0, v20
	s_delay_alu instid0(VALU_DEP_2) | instskip(SKIP_1) | instid1(VALU_DEP_1)
	v_cmp_lt_i16_e64 s13, -1, v13
	v_mov_b32_e32 v13, 0x7f800000
	v_cndmask_b32_e64 v13, 0xff800000, v13, s13
	s_delay_alu instid0(VALU_DEP_1)
	v_cndmask_b32_e32 v18, 0x7f800001, v13, vcc_lo
; %bb.10916:                            ;   in Loop: Header=BB6_9788 Depth=3
	s_or_b32 exec_lo, exec_lo, s72
.LBB6_10917:                            ;   in Loop: Header=BB6_9788 Depth=3
	s_delay_alu instid0(SALU_CYCLE_1)
	s_or_b32 exec_lo, exec_lo, s43
.LBB6_10918:                            ;   in Loop: Header=BB6_9788 Depth=3
	s_delay_alu instid0(SALU_CYCLE_1) | instskip(SKIP_2) | instid1(VALU_DEP_1)
	s_or_b32 exec_lo, exec_lo, s42
	v_and_b32_e32 v13, 0xff, v27
	s_mov_b32 s42, exec_lo
	v_cmpx_ne_u16_e32 0, v13
	s_cbranch_execz .LBB6_10928
; %bb.10919:                            ;   in Loop: Header=BB6_9788 Depth=3
	v_bfrev_b32_e32 v19, 1
	s_mov_b32 s43, exec_lo
	v_cmpx_ne_u16_e32 0x80, v13
	s_cbranch_execz .LBB6_10927
; %bb.10920:                            ;   in Loop: Header=BB6_9788 Depth=3
	v_and_b32_e32 v19, 0x7c, v27
	v_and_b32_e32 v13, 3, v27
	s_delay_alu instid0(VALU_DEP_2) | instskip(SKIP_1) | instid1(SALU_CYCLE_1)
	v_cmp_ne_u32_e32 vcc_lo, 0x7c, v19
                                        ; implicit-def: $vgpr19
	s_and_saveexec_b32 s13, vcc_lo
	s_xor_b32 s13, exec_lo, s13
	s_cbranch_execz .LBB6_10924
; %bb.10921:                            ;   in Loop: Header=BB6_9788 Depth=3
	v_bfe_u32 v19, v27, 2, 5
	s_mov_b32 s72, exec_lo
	s_delay_alu instid0(VALU_DEP_1)
	v_cmpx_eq_u32_e32 0, v19
; %bb.10922:                            ;   in Loop: Header=BB6_9788 Depth=3
	v_clz_i32_u32_e32 v13, v13
	v_dual_mov_b32 v22, v27 :: v_dual_mov_b32 v23, v21
	s_delay_alu instid0(VALU_DEP_2) | instskip(NEXT) | instid1(VALU_DEP_1)
	v_min_u32_e32 v13, 32, v13
	v_subrev_nc_u32_e32 v19, 29, v13
	s_delay_alu instid0(VALU_DEP_1) | instskip(NEXT) | instid1(VALU_DEP_1)
	v_lshlrev_b64_e32 v[22:23], v19, v[22:23]
	v_dual_sub_nc_u32 v19, 30, v13 :: v_dual_bitop2_b32 v13, 3, v22 bitop3:0x40
; %bb.10923:                            ;   in Loop: Header=BB6_9788 Depth=3
	s_or_b32 exec_lo, exec_lo, s72
	v_lshlrev_b32_e32 v20, 24, v27
	s_delay_alu instid0(VALU_DEP_1) | instskip(NEXT) | instid1(VALU_DEP_1)
	v_and_b32_e32 v20, 0x80000000, v20
	v_lshl_add_u32 v19, v19, 23, v20
	s_delay_alu instid0(VALU_DEP_1) | instskip(NEXT) | instid1(VALU_DEP_1)
	v_lshl_or_b32 v13, v13, 21, v19
	v_add_nc_u32_e32 v19, 0x38000000, v13
                                        ; implicit-def: $vgpr13
.LBB6_10924:                            ;   in Loop: Header=BB6_9788 Depth=3
	s_and_not1_saveexec_b32 s72, s13
; %bb.10925:                            ;   in Loop: Header=BB6_9788 Depth=3
	v_bfe_i32 v19, v27, 0, 8
	v_cmp_eq_u32_e32 vcc_lo, 0, v13
	v_mov_b32_e32 v13, 0x7f800000
	s_delay_alu instid0(VALU_DEP_3) | instskip(NEXT) | instid1(VALU_DEP_1)
	v_cmp_lt_i16_e64 s13, -1, v19
	v_cndmask_b32_e64 v13, 0xff800000, v13, s13
	s_delay_alu instid0(VALU_DEP_1)
	v_cndmask_b32_e32 v19, 0x7f800001, v13, vcc_lo
; %bb.10926:                            ;   in Loop: Header=BB6_9788 Depth=3
	s_or_b32 exec_lo, exec_lo, s72
.LBB6_10927:                            ;   in Loop: Header=BB6_9788 Depth=3
	s_delay_alu instid0(SALU_CYCLE_1)
	s_or_b32 exec_lo, exec_lo, s43
.LBB6_10928:                            ;   in Loop: Header=BB6_9788 Depth=3
	s_delay_alu instid0(SALU_CYCLE_1) | instskip(NEXT) | instid1(VALU_DEP_1)
	s_or_b32 exec_lo, exec_lo, s42
	v_dual_mul_f32 v20, v18, v19 :: v_dual_mov_b32 v23, v21
	v_mov_b32_e32 v19, v21
                                        ; implicit-def: $vgpr82
	s_mov_b32 s13, exec_lo
	s_delay_alu instid0(VALU_DEP_2) | instskip(SKIP_2) | instid1(VALU_DEP_3)
	v_and_b32_e32 v22, 0x7f800000, v20
	v_and_b32_e32 v18, 0x7fffff, v20
	v_lshrrev_b32_e32 v13, 24, v20
	v_cmpx_ne_u64_e32 0x7f800000, v[22:23]
	s_xor_b32 s42, exec_lo, s13
	s_cbranch_execz .LBB6_10942
; %bb.10929:                            ;   in Loop: Header=BB6_9788 Depth=3
	v_and_b32_e32 v22, 0x7fffffff, v20
	v_mov_b32_e32 v23, v21
	v_and_b32_e32 v13, 0x80, v13
                                        ; implicit-def: $vgpr82
	s_mov_b32 s13, exec_lo
	s_delay_alu instid0(VALU_DEP_2)
	v_cmpx_gt_u64_e32 0x47600001, v[22:23]
	s_xor_b32 s43, exec_lo, s13
	s_cbranch_execz .LBB6_10939
; %bb.10930:                            ;   in Loop: Header=BB6_9788 Depth=3
	v_mov_b32_e32 v82, 0
	s_mov_b32 s72, exec_lo
	v_cmpx_ne_u32_e32 0, v20
	s_cbranch_execz .LBB6_10938
; %bb.10931:                            ;   in Loop: Header=BB6_9788 Depth=3
	v_bfe_u32 v20, v20, 23, 8
	v_or_b32_e32 v23, 0x800000, v18
	s_delay_alu instid0(VALU_DEP_2) | instskip(SKIP_2) | instid1(VALU_DEP_2)
	v_cmp_gt_u32_e64 s13, 0x72, v20
	v_sub_nc_u32_e32 v22, 0x71, v20
	v_cmp_eq_u32_e32 vcc_lo, 0, v20
	v_cndmask_b32_e64 v22, 0, v22, s13
	v_cndmask_b32_e32 v18, v23, v18, vcc_lo
	s_delay_alu instid0(VALU_DEP_2) | instskip(NEXT) | instid1(VALU_DEP_1)
	v_cndmask_b32_e64 v82, v22, 0x70, vcc_lo
	v_dual_add_nc_u32 v22, 21, v82 :: v_dual_add_nc_u32 v83, 20, v82
	s_delay_alu instid0(VALU_DEP_1) | instskip(NEXT) | instid1(VALU_DEP_2)
	v_lshlrev_b64_e64 v[22:23], v22, -1
	v_lshlrev_b64_e64 v[84:85], v83, 1
	s_delay_alu instid0(VALU_DEP_2) | instskip(SKIP_1) | instid1(VALU_DEP_4)
	v_bfi_b32 v22, v22, 0, v18
	v_lshrrev_b64 v[18:19], v82, v[18:19]
	v_bfi_b32 v23, v23, 0, 0
	s_delay_alu instid0(VALU_DEP_1) | instskip(NEXT) | instid1(VALU_DEP_3)
	v_cmp_eq_u64_e64 s13, v[22:23], v[84:85]
	v_mov_b64_e32 v[22:23], v[18:19]
	s_and_saveexec_b32 s73, s13
; %bb.10932:                            ;   in Loop: Header=BB6_9788 Depth=3
	v_bfe_u32 v22, v18, 21, 1
	v_mov_b32_e32 v23, v21
	s_delay_alu instid0(VALU_DEP_1) | instskip(NEXT) | instid1(VALU_DEP_1)
	v_add_nc_u64_e32 v[22:23], v[18:19], v[22:23]
	v_add_nc_u64_e32 v[22:23], -1, v[22:23]
; %bb.10933:                            ;   in Loop: Header=BB6_9788 Depth=3
	s_or_b32 exec_lo, exec_lo, s73
	v_add_nc_u32_e32 v19, 0xffffff81, v20
	v_lshrrev_b32_e32 v20, 23, v18
	s_mov_b32 s13, exec_lo
	s_delay_alu instid0(VALU_DEP_2) | instskip(NEXT) | instid1(VALU_DEP_1)
	v_cndmask_b32_e64 v19, v19, 0xffffff82, vcc_lo
	v_add3_u32 v23, v82, v19, v20
	v_and_b32_e32 v19, 0x1fffff, v22
                                        ; implicit-def: $vgpr20
	s_delay_alu instid0(VALU_DEP_1) | instskip(SKIP_1) | instid1(VALU_DEP_2)
	v_dual_add_nc_u32 v22, 14, v23 :: v_dual_add_nc_u32 v18, v19, v18
	v_mov_b32_e32 v19, v21
	v_cmpx_ne_u32_e32 0, v22
	s_xor_b32 s13, exec_lo, s13
; %bb.10934:                            ;   in Loop: Header=BB6_9788 Depth=3
	s_delay_alu instid0(VALU_DEP_2) | instskip(SKIP_1) | instid1(VALU_DEP_1)
	v_cmp_lt_u64_e32 vcc_lo, 0xffffff, v[18:19]
	v_add_nc_u32_e32 v20, 15, v23
	v_cndmask_b32_e32 v20, v22, v20, vcc_lo
	v_cndmask_b32_e64 v22, 0, 1, vcc_lo
	s_delay_alu instid0(VALU_DEP_1)
	v_lshrrev_b64 v[18:19], v22, v[18:19]
; %bb.10935:                            ;   in Loop: Header=BB6_9788 Depth=3
	s_and_not1_saveexec_b32 s13, s13
; %bb.10936:                            ;   in Loop: Header=BB6_9788 Depth=3
	s_delay_alu instid0(VALU_DEP_1)
	v_bfe_u32 v20, v18, 23, 1
; %bb.10937:                            ;   in Loop: Header=BB6_9788 Depth=3
	s_or_b32 exec_lo, exec_lo, s13
	s_delay_alu instid0(VALU_DEP_2) | instskip(NEXT) | instid1(VALU_DEP_2)
	v_lshrrev_b64 v[18:19], 21, v[18:19]
	v_cmp_gt_i32_e32 vcc_lo, 32, v20
	v_min_i32_e32 v22, 31, v20
	v_cmp_eq_u32_e64 s13, 0, v20
	s_delay_alu instid0(VALU_DEP_2) | instskip(SKIP_1) | instid1(VALU_DEP_2)
	v_dual_cndmask_b32 v19, 0, v19 :: v_dual_lshlrev_b32 v22, 2, v22
	v_cndmask_b32_e32 v18, 3, v18, vcc_lo
	v_and_b32_e32 v22, 0xfc, v22
	s_delay_alu instid0(VALU_DEP_2) | instskip(NEXT) | instid1(VALU_DEP_2)
	v_cmp_eq_u64_e32 vcc_lo, 0, v[18:19]
	v_and_or_b32 v18, v18, 3, v22
	s_and_b32 s13, s13, vcc_lo
	s_delay_alu instid0(VALU_DEP_1) | instid1(SALU_CYCLE_1)
	v_cndmask_b32_e64 v18, v18, 0, s13
	s_delay_alu instid0(VALU_DEP_1)
	v_or_b32_e32 v82, v18, v13
.LBB6_10938:                            ;   in Loop: Header=BB6_9788 Depth=3
	s_or_b32 exec_lo, exec_lo, s72
                                        ; implicit-def: $vgpr13
.LBB6_10939:                            ;   in Loop: Header=BB6_9788 Depth=3
	s_and_not1_saveexec_b32 s13, s43
; %bb.10940:                            ;   in Loop: Header=BB6_9788 Depth=3
	v_or_b32_e32 v82, 0x7b, v13
; %bb.10941:                            ;   in Loop: Header=BB6_9788 Depth=3
	s_or_b32 exec_lo, exec_lo, s13
                                        ; implicit-def: $vgpr20
                                        ; implicit-def: $vgpr18_vgpr19
                                        ; implicit-def: $vgpr13
.LBB6_10942:                            ;   in Loop: Header=BB6_9788 Depth=3
	s_and_not1_saveexec_b32 s13, s42
	s_cbranch_execz .LBB6_10948
; %bb.10943:                            ;   in Loop: Header=BB6_9788 Depth=3
	s_mov_b32 s42, exec_lo
                                        ; implicit-def: $vgpr82
	v_cmpx_ne_u64_e32 0, v[18:19]
	s_xor_b32 s42, exec_lo, s42
; %bb.10944:                            ;   in Loop: Header=BB6_9788 Depth=3
	v_or_b32_e32 v82, 0x7f, v13
                                        ; implicit-def: $vgpr20
; %bb.10945:                            ;   in Loop: Header=BB6_9788 Depth=3
	s_and_not1_saveexec_b32 s42, s42
; %bb.10946:                            ;   in Loop: Header=BB6_9788 Depth=3
	v_cmp_lt_i32_e32 vcc_lo, -1, v20
	v_mov_b32_e32 v13, 0x7c
	s_delay_alu instid0(VALU_DEP_1)
	v_cndmask_b32_e32 v82, 0xfc, v13, vcc_lo
; %bb.10947:                            ;   in Loop: Header=BB6_9788 Depth=3
	s_or_b32 exec_lo, exec_lo, s42
.LBB6_10948:                            ;   in Loop: Header=BB6_9788 Depth=3
	s_delay_alu instid0(SALU_CYCLE_1) | instskip(SKIP_3) | instid1(VALU_DEP_2)
	s_or_b32 exec_lo, exec_lo, s13
	v_lshrrev_b16 v18, 8, v12
	v_dual_mov_b32 v20, 0 :: v_dual_mov_b32 v19, 0
	s_mov_b32 s42, exec_lo
	v_cmpx_ne_u16_e32 0, v18
	s_cbranch_execz .LBB6_10958
; %bb.10949:                            ;   in Loop: Header=BB6_9788 Depth=3
	v_bfrev_b32_e32 v19, 1
	s_mov_b32 s43, exec_lo
	v_cmpx_ne_u16_e32 0x80, v18
	s_cbranch_execz .LBB6_10957
; %bb.10950:                            ;   in Loop: Header=BB6_9788 Depth=3
	v_and_b32_e32 v13, 0xffff, v18
	s_delay_alu instid0(VALU_DEP_1) | instskip(SKIP_1) | instid1(VALU_DEP_2)
	v_and_b32_e32 v19, 0x7c, v13
	v_and_b32_e32 v22, 3, v13
	v_cmp_ne_u32_e32 vcc_lo, 0x7c, v19
                                        ; implicit-def: $vgpr19
	s_and_saveexec_b32 s13, vcc_lo
	s_delay_alu instid0(SALU_CYCLE_1)
	s_xor_b32 s13, exec_lo, s13
	s_cbranch_execz .LBB6_10954
; %bb.10951:                            ;   in Loop: Header=BB6_9788 Depth=3
	v_bfe_u32 v13, v13, 2, 5
	s_mov_b32 s72, exec_lo
	s_delay_alu instid0(VALU_DEP_1)
	v_cmpx_eq_u32_e32 0, v13
	s_cbranch_execz .LBB6_10953
; %bb.10952:                            ;   in Loop: Header=BB6_9788 Depth=3
	v_clz_i32_u32_e32 v13, v22
	s_delay_alu instid0(VALU_DEP_1) | instskip(SKIP_1) | instid1(VALU_DEP_2)
	v_min_u32_e32 v13, 32, v13
	v_mov_b32_e32 v19, v21
	v_subrev_nc_u32_e32 v22, 29, v13
	v_sub_nc_u32_e32 v13, 30, v13
	s_delay_alu instid0(VALU_DEP_2) | instskip(NEXT) | instid1(VALU_DEP_1)
	v_lshlrev_b64_e32 v[18:19], v22, v[18:19]
	v_and_b32_e32 v22, 3, v18
.LBB6_10953:                            ;   in Loop: Header=BB6_9788 Depth=3
	s_or_b32 exec_lo, exec_lo, s72
	v_lshlrev_b32_e32 v12, 16, v12
	s_delay_alu instid0(VALU_DEP_1) | instskip(NEXT) | instid1(VALU_DEP_1)
	v_and_b32_e32 v12, 0x80000000, v12
	v_lshl_add_u32 v12, v13, 23, v12
	s_delay_alu instid0(VALU_DEP_1) | instskip(NEXT) | instid1(VALU_DEP_1)
	v_lshl_or_b32 v12, v22, 21, v12
                                        ; implicit-def: $vgpr22
	v_add_nc_u32_e32 v19, 0x38000000, v12
                                        ; implicit-def: $vgpr12_vgpr13
.LBB6_10954:                            ;   in Loop: Header=BB6_9788 Depth=3
	s_and_not1_saveexec_b32 s72, s13
; %bb.10955:                            ;   in Loop: Header=BB6_9788 Depth=3
	v_cmp_lt_i16_e64 s13, -1, v12
	v_mov_b32_e32 v12, 0x7f800000
	v_cmp_eq_u32_e32 vcc_lo, 0, v22
	s_delay_alu instid0(VALU_DEP_2) | instskip(NEXT) | instid1(VALU_DEP_1)
	v_cndmask_b32_e64 v12, 0xff800000, v12, s13
	v_cndmask_b32_e32 v19, 0x7f800001, v12, vcc_lo
; %bb.10956:                            ;   in Loop: Header=BB6_9788 Depth=3
	s_or_b32 exec_lo, exec_lo, s72
.LBB6_10957:                            ;   in Loop: Header=BB6_9788 Depth=3
	s_delay_alu instid0(SALU_CYCLE_1)
	s_or_b32 exec_lo, exec_lo, s43
.LBB6_10958:                            ;   in Loop: Header=BB6_9788 Depth=3
	s_delay_alu instid0(SALU_CYCLE_1) | instskip(SKIP_2) | instid1(VALU_DEP_1)
	s_or_b32 exec_lo, exec_lo, s42
	v_lshrrev_b16 v12, 8, v27
	s_mov_b32 s42, exec_lo
	v_cmpx_ne_u16_e32 0, v12
	s_cbranch_execz .LBB6_10968
; %bb.10959:                            ;   in Loop: Header=BB6_9788 Depth=3
	v_bfrev_b32_e32 v20, 1
	s_mov_b32 s43, exec_lo
	v_cmpx_ne_u16_e32 0x80, v12
	s_cbranch_execz .LBB6_10967
; %bb.10960:                            ;   in Loop: Header=BB6_9788 Depth=3
	v_and_b32_e32 v18, 0xffff, v12
	s_delay_alu instid0(VALU_DEP_1) | instskip(SKIP_1) | instid1(VALU_DEP_2)
	v_and_b32_e32 v20, 0x7c, v18
	v_and_b32_e32 v13, 3, v18
	v_cmp_ne_u32_e32 vcc_lo, 0x7c, v20
                                        ; implicit-def: $vgpr20
	s_and_saveexec_b32 s13, vcc_lo
	s_delay_alu instid0(SALU_CYCLE_1)
	s_xor_b32 s13, exec_lo, s13
	s_cbranch_execz .LBB6_10964
; %bb.10961:                            ;   in Loop: Header=BB6_9788 Depth=3
	v_bfe_u32 v18, v18, 2, 5
	s_mov_b32 s72, exec_lo
	s_delay_alu instid0(VALU_DEP_1)
	v_cmpx_eq_u32_e32 0, v18
	s_cbranch_execz .LBB6_10963
; %bb.10962:                            ;   in Loop: Header=BB6_9788 Depth=3
	v_clz_i32_u32_e32 v13, v13
	s_delay_alu instid0(VALU_DEP_1) | instskip(SKIP_1) | instid1(VALU_DEP_2)
	v_min_u32_e32 v18, 32, v13
	v_mov_b32_e32 v13, v21
	v_subrev_nc_u32_e32 v20, 29, v18
	v_sub_nc_u32_e32 v18, 30, v18
	s_delay_alu instid0(VALU_DEP_2) | instskip(NEXT) | instid1(VALU_DEP_1)
	v_lshlrev_b64_e32 v[12:13], v20, v[12:13]
	v_and_b32_e32 v13, 3, v12
.LBB6_10963:                            ;   in Loop: Header=BB6_9788 Depth=3
	s_or_b32 exec_lo, exec_lo, s72
	v_lshlrev_b32_e32 v12, 16, v27
	s_delay_alu instid0(VALU_DEP_1) | instskip(NEXT) | instid1(VALU_DEP_1)
	v_and_b32_e32 v12, 0x80000000, v12
	v_lshl_add_u32 v12, v18, 23, v12
	s_delay_alu instid0(VALU_DEP_1) | instskip(NEXT) | instid1(VALU_DEP_1)
	v_lshl_or_b32 v12, v13, 21, v12
                                        ; implicit-def: $vgpr13
	v_add_nc_u32_e32 v20, 0x38000000, v12
.LBB6_10964:                            ;   in Loop: Header=BB6_9788 Depth=3
	s_and_not1_saveexec_b32 s72, s13
; %bb.10965:                            ;   in Loop: Header=BB6_9788 Depth=3
	v_cmp_lt_i16_e64 s13, -1, v27
	v_mov_b32_e32 v12, 0x7f800000
	v_cmp_eq_u32_e32 vcc_lo, 0, v13
	s_delay_alu instid0(VALU_DEP_2) | instskip(NEXT) | instid1(VALU_DEP_1)
	v_cndmask_b32_e64 v12, 0xff800000, v12, s13
	v_cndmask_b32_e32 v20, 0x7f800001, v12, vcc_lo
; %bb.10966:                            ;   in Loop: Header=BB6_9788 Depth=3
	s_or_b32 exec_lo, exec_lo, s72
.LBB6_10967:                            ;   in Loop: Header=BB6_9788 Depth=3
	s_delay_alu instid0(SALU_CYCLE_1)
	s_or_b32 exec_lo, exec_lo, s43
.LBB6_10968:                            ;   in Loop: Header=BB6_9788 Depth=3
	s_delay_alu instid0(SALU_CYCLE_1) | instskip(NEXT) | instid1(VALU_DEP_1)
	s_or_b32 exec_lo, exec_lo, s42
	v_dual_mul_f32 v18, v19, v20 :: v_dual_mov_b32 v23, v21
	v_mov_b32_e32 v13, v21
                                        ; implicit-def: $vgpr83
	s_mov_b32 s13, exec_lo
	s_delay_alu instid0(VALU_DEP_2) | instskip(SKIP_2) | instid1(VALU_DEP_3)
	v_and_b32_e32 v22, 0x7f800000, v18
	v_and_b32_e32 v12, 0x7fffff, v18
	v_lshrrev_b32_e32 v19, 24, v18
	v_cmpx_ne_u64_e32 0x7f800000, v[22:23]
	s_xor_b32 s42, exec_lo, s13
	s_cbranch_execz .LBB6_10982
; %bb.10969:                            ;   in Loop: Header=BB6_9788 Depth=3
	v_and_b32_e32 v22, 0x7fffffff, v18
	v_mov_b32_e32 v23, v21
	v_and_b32_e32 v20, 0x80, v19
                                        ; implicit-def: $vgpr83
	s_mov_b32 s13, exec_lo
	s_delay_alu instid0(VALU_DEP_2)
	v_cmpx_gt_u64_e32 0x47600001, v[22:23]
	s_xor_b32 s43, exec_lo, s13
	s_cbranch_execz .LBB6_10979
; %bb.10970:                            ;   in Loop: Header=BB6_9788 Depth=3
	v_mov_b32_e32 v83, 0
	s_mov_b32 s72, exec_lo
	v_cmpx_ne_u32_e32 0, v18
	s_cbranch_execz .LBB6_10978
; %bb.10971:                            ;   in Loop: Header=BB6_9788 Depth=3
	v_bfe_u32 v22, v18, 23, 8
	v_or_b32_e32 v19, 0x800000, v12
	s_delay_alu instid0(VALU_DEP_2) | instskip(SKIP_2) | instid1(VALU_DEP_2)
	v_cmp_gt_u32_e64 s13, 0x72, v22
	v_sub_nc_u32_e32 v18, 0x71, v22
	v_cmp_eq_u32_e32 vcc_lo, 0, v22
	v_dual_cndmask_b32 v18, 0, v18, s13 :: v_dual_cndmask_b32 v12, v19, v12, vcc_lo
	s_delay_alu instid0(VALU_DEP_1) | instskip(NEXT) | instid1(VALU_DEP_1)
	v_cndmask_b32_e64 v23, v18, 0x70, vcc_lo
	v_dual_add_nc_u32 v18, 21, v23 :: v_dual_add_nc_u32 v83, 20, v23
	s_delay_alu instid0(VALU_DEP_1) | instskip(NEXT) | instid1(VALU_DEP_2)
	v_lshlrev_b64_e64 v[18:19], v18, -1
	v_lshlrev_b64_e64 v[84:85], v83, 1
	s_delay_alu instid0(VALU_DEP_2) | instskip(SKIP_1) | instid1(VALU_DEP_4)
	v_bfi_b32 v18, v18, 0, v12
	v_lshrrev_b64 v[12:13], v23, v[12:13]
	v_bfi_b32 v19, v19, 0, 0
	s_delay_alu instid0(VALU_DEP_1) | instskip(NEXT) | instid1(VALU_DEP_3)
	v_cmp_eq_u64_e64 s13, v[18:19], v[84:85]
	v_mov_b64_e32 v[18:19], v[12:13]
	s_and_saveexec_b32 s73, s13
; %bb.10972:                            ;   in Loop: Header=BB6_9788 Depth=3
	v_bfe_u32 v18, v12, 21, 1
	v_mov_b32_e32 v19, v21
	s_delay_alu instid0(VALU_DEP_1) | instskip(NEXT) | instid1(VALU_DEP_1)
	v_add_nc_u64_e32 v[18:19], v[12:13], v[18:19]
	v_add_nc_u64_e32 v[18:19], -1, v[18:19]
; %bb.10973:                            ;   in Loop: Header=BB6_9788 Depth=3
	s_or_b32 exec_lo, exec_lo, s73
	v_add_nc_u32_e32 v13, 0xffffff81, v22
	v_lshrrev_b32_e32 v19, 23, v12
	s_mov_b32 s13, exec_lo
	s_delay_alu instid0(VALU_DEP_2) | instskip(NEXT) | instid1(VALU_DEP_1)
	v_cndmask_b32_e64 v13, v13, 0xffffff82, vcc_lo
	v_add3_u32 v22, v23, v13, v19
	v_and_b32_e32 v13, 0x1fffff, v18
                                        ; implicit-def: $vgpr18
	s_delay_alu instid0(VALU_DEP_1) | instskip(SKIP_1) | instid1(VALU_DEP_2)
	v_dual_add_nc_u32 v19, 14, v22 :: v_dual_add_nc_u32 v12, v13, v12
	v_mov_b32_e32 v13, v21
	v_cmpx_ne_u32_e32 0, v19
	s_xor_b32 s13, exec_lo, s13
; %bb.10974:                            ;   in Loop: Header=BB6_9788 Depth=3
	s_delay_alu instid0(VALU_DEP_2) | instskip(SKIP_1) | instid1(VALU_DEP_1)
	v_cmp_lt_u64_e32 vcc_lo, 0xffffff, v[12:13]
	v_add_nc_u32_e32 v18, 15, v22
	v_cndmask_b32_e32 v18, v19, v18, vcc_lo
	v_cndmask_b32_e64 v19, 0, 1, vcc_lo
	s_delay_alu instid0(VALU_DEP_1)
	v_lshrrev_b64 v[12:13], v19, v[12:13]
; %bb.10975:                            ;   in Loop: Header=BB6_9788 Depth=3
	s_and_not1_saveexec_b32 s13, s13
; %bb.10976:                            ;   in Loop: Header=BB6_9788 Depth=3
	s_delay_alu instid0(VALU_DEP_1)
	v_bfe_u32 v18, v12, 23, 1
; %bb.10977:                            ;   in Loop: Header=BB6_9788 Depth=3
	s_or_b32 exec_lo, exec_lo, s13
	s_delay_alu instid0(VALU_DEP_2) | instskip(NEXT) | instid1(VALU_DEP_2)
	v_lshrrev_b64 v[12:13], 21, v[12:13]
	v_cmp_gt_i32_e32 vcc_lo, 32, v18
	v_min_i32_e32 v19, 31, v18
	v_cmp_eq_u32_e64 s13, 0, v18
	s_delay_alu instid0(VALU_DEP_2) | instskip(SKIP_1) | instid1(VALU_DEP_2)
	v_dual_cndmask_b32 v13, 0, v13, vcc_lo :: v_dual_lshlrev_b32 v19, 2, v19
	v_cndmask_b32_e32 v12, 3, v12, vcc_lo
	v_and_b32_e32 v19, 0xfc, v19
	s_delay_alu instid0(VALU_DEP_2) | instskip(NEXT) | instid1(VALU_DEP_2)
	v_cmp_eq_u64_e32 vcc_lo, 0, v[12:13]
	v_and_or_b32 v12, v12, 3, v19
	s_and_b32 s13, s13, vcc_lo
	s_delay_alu instid0(VALU_DEP_1) | instid1(SALU_CYCLE_1)
	v_cndmask_b32_e64 v12, v12, 0, s13
	s_delay_alu instid0(VALU_DEP_1)
	v_or_b32_e32 v83, v12, v20
.LBB6_10978:                            ;   in Loop: Header=BB6_9788 Depth=3
	s_or_b32 exec_lo, exec_lo, s72
                                        ; implicit-def: $vgpr20
.LBB6_10979:                            ;   in Loop: Header=BB6_9788 Depth=3
	s_and_not1_saveexec_b32 s13, s43
; %bb.10980:                            ;   in Loop: Header=BB6_9788 Depth=3
	v_or_b32_e32 v83, 0x7b, v20
; %bb.10981:                            ;   in Loop: Header=BB6_9788 Depth=3
	s_or_b32 exec_lo, exec_lo, s13
                                        ; implicit-def: $vgpr18
                                        ; implicit-def: $vgpr12_vgpr13
                                        ; implicit-def: $vgpr19
.LBB6_10982:                            ;   in Loop: Header=BB6_9788 Depth=3
	s_and_not1_saveexec_b32 s13, s42
	s_cbranch_execz .LBB6_10988
; %bb.10983:                            ;   in Loop: Header=BB6_9788 Depth=3
	s_mov_b32 s42, exec_lo
                                        ; implicit-def: $vgpr83
	v_cmpx_ne_u64_e32 0, v[12:13]
	s_xor_b32 s42, exec_lo, s42
; %bb.10984:                            ;   in Loop: Header=BB6_9788 Depth=3
	v_or_b32_e32 v83, 0x7f, v19
                                        ; implicit-def: $vgpr18
; %bb.10985:                            ;   in Loop: Header=BB6_9788 Depth=3
	s_and_not1_saveexec_b32 s42, s42
; %bb.10986:                            ;   in Loop: Header=BB6_9788 Depth=3
	v_cmp_lt_i32_e32 vcc_lo, -1, v18
	v_mov_b32_e32 v12, 0x7c
	s_delay_alu instid0(VALU_DEP_1)
	v_cndmask_b32_e32 v83, 0xfc, v12, vcc_lo
; %bb.10987:                            ;   in Loop: Header=BB6_9788 Depth=3
	s_or_b32 exec_lo, exec_lo, s42
.LBB6_10988:                            ;   in Loop: Header=BB6_9788 Depth=3
	s_delay_alu instid0(SALU_CYCLE_1) | instskip(SKIP_3) | instid1(VALU_DEP_2)
	s_or_b32 exec_lo, exec_lo, s13
	v_dual_mov_b32 v13, 0 :: v_dual_lshrrev_b32 v12, 16, v35
	v_mov_b32_e32 v18, 0
	s_mov_b32 s42, exec_lo
	v_and_b32_e32 v19, 0xff, v12
	s_delay_alu instid0(VALU_DEP_1)
	v_cmpx_ne_u16_e32 0, v19
	s_cbranch_execz .LBB6_10998
; %bb.10989:                            ;   in Loop: Header=BB6_9788 Depth=3
	v_bfrev_b32_e32 v18, 1
	s_mov_b32 s43, exec_lo
	v_cmpx_ne_u16_e32 0x80, v19
	s_cbranch_execz .LBB6_10997
; %bb.10990:                            ;   in Loop: Header=BB6_9788 Depth=3
	v_and_b32_e32 v18, 0x7c0000, v35
	v_bfe_u32 v19, v35, 16, 2
	s_delay_alu instid0(VALU_DEP_2) | instskip(SKIP_1) | instid1(SALU_CYCLE_1)
	v_cmp_ne_u32_e32 vcc_lo, 0x7c0000, v18
                                        ; implicit-def: $vgpr18
	s_and_saveexec_b32 s13, vcc_lo
	s_xor_b32 s13, exec_lo, s13
	s_cbranch_execz .LBB6_10994
; %bb.10991:                            ;   in Loop: Header=BB6_9788 Depth=3
	v_bfe_u32 v18, v35, 18, 5
	s_mov_b32 s72, exec_lo
	s_delay_alu instid0(VALU_DEP_1)
	v_cmpx_eq_u32_e32 0, v18
; %bb.10992:                            ;   in Loop: Header=BB6_9788 Depth=3
	v_clz_i32_u32_e32 v18, v19
	s_delay_alu instid0(VALU_DEP_1) | instskip(NEXT) | instid1(VALU_DEP_1)
	v_min_u32_e32 v18, 32, v18
	v_subrev_nc_u32_e32 v19, 29, v18
	v_sub_nc_u32_e32 v18, 30, v18
	s_delay_alu instid0(VALU_DEP_2) | instskip(NEXT) | instid1(VALU_DEP_1)
	v_lshlrev_b64_e32 v[22:23], v19, v[12:13]
	v_and_b32_e32 v19, 3, v22
; %bb.10993:                            ;   in Loop: Header=BB6_9788 Depth=3
	s_or_b32 exec_lo, exec_lo, s72
	v_lshlrev_b32_e32 v12, 24, v12
	s_delay_alu instid0(VALU_DEP_1) | instskip(NEXT) | instid1(VALU_DEP_1)
	v_and_b32_e32 v12, 0x80000000, v12
	v_lshl_add_u32 v12, v18, 23, v12
	s_delay_alu instid0(VALU_DEP_1) | instskip(NEXT) | instid1(VALU_DEP_1)
	v_lshl_or_b32 v12, v19, 21, v12
                                        ; implicit-def: $vgpr19
	v_add_nc_u32_e32 v18, 0x38000000, v12
                                        ; implicit-def: $vgpr12
.LBB6_10994:                            ;   in Loop: Header=BB6_9788 Depth=3
	s_and_not1_saveexec_b32 s72, s13
; %bb.10995:                            ;   in Loop: Header=BB6_9788 Depth=3
	v_bfe_i32 v12, v12, 0, 8
	v_cmp_eq_u32_e32 vcc_lo, 0, v19
	s_delay_alu instid0(VALU_DEP_2) | instskip(SKIP_1) | instid1(VALU_DEP_1)
	v_cmp_lt_i16_e64 s13, -1, v12
	v_mov_b32_e32 v12, 0x7f800000
	v_cndmask_b32_e64 v12, 0xff800000, v12, s13
	s_delay_alu instid0(VALU_DEP_1)
	v_cndmask_b32_e32 v18, 0x7f800001, v12, vcc_lo
; %bb.10996:                            ;   in Loop: Header=BB6_9788 Depth=3
	s_or_b32 exec_lo, exec_lo, s72
.LBB6_10997:                            ;   in Loop: Header=BB6_9788 Depth=3
	s_delay_alu instid0(SALU_CYCLE_1)
	s_or_b32 exec_lo, exec_lo, s43
.LBB6_10998:                            ;   in Loop: Header=BB6_9788 Depth=3
	s_delay_alu instid0(SALU_CYCLE_1) | instskip(SKIP_2) | instid1(VALU_DEP_1)
	s_or_b32 exec_lo, exec_lo, s42
	v_lshrrev_b32_e32 v12, 16, v27
	s_mov_b32 s42, exec_lo
	v_and_b32_e32 v19, 0xff, v12
	s_delay_alu instid0(VALU_DEP_1)
	v_cmpx_ne_u16_e32 0, v19
	s_cbranch_execz .LBB6_11008
; %bb.10999:                            ;   in Loop: Header=BB6_9788 Depth=3
	v_bfrev_b32_e32 v13, 1
	s_mov_b32 s43, exec_lo
	v_cmpx_ne_u16_e32 0x80, v19
	s_cbranch_execz .LBB6_11007
; %bb.11000:                            ;   in Loop: Header=BB6_9788 Depth=3
	v_and_b32_e32 v13, 0x7c0000, v27
	v_bfe_u32 v19, v27, 16, 2
	s_delay_alu instid0(VALU_DEP_2) | instskip(SKIP_1) | instid1(SALU_CYCLE_1)
	v_cmp_ne_u32_e32 vcc_lo, 0x7c0000, v13
                                        ; implicit-def: $vgpr13
	s_and_saveexec_b32 s13, vcc_lo
	s_xor_b32 s13, exec_lo, s13
	s_cbranch_execz .LBB6_11004
; %bb.11001:                            ;   in Loop: Header=BB6_9788 Depth=3
	v_bfe_u32 v13, v27, 18, 5
	s_mov_b32 s72, exec_lo
	s_delay_alu instid0(VALU_DEP_1)
	v_cmpx_eq_u32_e32 0, v13
; %bb.11002:                            ;   in Loop: Header=BB6_9788 Depth=3
	v_clz_i32_u32_e32 v13, v19
	s_delay_alu instid0(VALU_DEP_1) | instskip(NEXT) | instid1(VALU_DEP_1)
	v_min_u32_e32 v13, 32, v13
	v_subrev_nc_u32_e32 v19, 29, v13
	s_delay_alu instid0(VALU_DEP_1) | instskip(NEXT) | instid1(VALU_DEP_1)
	v_lshlrev_b64_e32 v[22:23], v19, v[12:13]
	v_dual_sub_nc_u32 v13, 30, v13 :: v_dual_bitop2_b32 v19, 3, v22 bitop3:0x40
; %bb.11003:                            ;   in Loop: Header=BB6_9788 Depth=3
	s_or_b32 exec_lo, exec_lo, s72
	v_lshlrev_b32_e32 v12, 24, v12
	s_delay_alu instid0(VALU_DEP_1) | instskip(NEXT) | instid1(VALU_DEP_1)
	v_and_b32_e32 v12, 0x80000000, v12
	v_lshl_add_u32 v12, v13, 23, v12
	s_delay_alu instid0(VALU_DEP_1) | instskip(NEXT) | instid1(VALU_DEP_1)
	v_lshl_or_b32 v12, v19, 21, v12
                                        ; implicit-def: $vgpr19
	v_add_nc_u32_e32 v13, 0x38000000, v12
                                        ; implicit-def: $vgpr12
.LBB6_11004:                            ;   in Loop: Header=BB6_9788 Depth=3
	s_and_not1_saveexec_b32 s72, s13
; %bb.11005:                            ;   in Loop: Header=BB6_9788 Depth=3
	v_bfe_i32 v12, v12, 0, 8
	v_cmp_eq_u32_e32 vcc_lo, 0, v19
	s_delay_alu instid0(VALU_DEP_2) | instskip(SKIP_1) | instid1(VALU_DEP_1)
	v_cmp_lt_i16_e64 s13, -1, v12
	v_mov_b32_e32 v12, 0x7f800000
	v_cndmask_b32_e64 v12, 0xff800000, v12, s13
	s_delay_alu instid0(VALU_DEP_1)
	v_cndmask_b32_e32 v13, 0x7f800001, v12, vcc_lo
; %bb.11006:                            ;   in Loop: Header=BB6_9788 Depth=3
	s_or_b32 exec_lo, exec_lo, s72
.LBB6_11007:                            ;   in Loop: Header=BB6_9788 Depth=3
	s_delay_alu instid0(SALU_CYCLE_1)
	s_or_b32 exec_lo, exec_lo, s43
.LBB6_11008:                            ;   in Loop: Header=BB6_9788 Depth=3
	s_delay_alu instid0(SALU_CYCLE_1) | instskip(NEXT) | instid1(VALU_DEP_1)
	s_or_b32 exec_lo, exec_lo, s42
	v_dual_mul_f32 v18, v18, v13 :: v_dual_mov_b32 v23, v21
	v_mov_b32_e32 v13, v21
                                        ; implicit-def: $vgpr20
	s_mov_b32 s13, exec_lo
	s_delay_alu instid0(VALU_DEP_2) | instskip(SKIP_2) | instid1(VALU_DEP_3)
	v_and_b32_e32 v22, 0x7f800000, v18
	v_and_b32_e32 v12, 0x7fffff, v18
	v_lshrrev_b32_e32 v19, 24, v18
	v_cmpx_ne_u64_e32 0x7f800000, v[22:23]
	s_xor_b32 s42, exec_lo, s13
	s_cbranch_execz .LBB6_11022
; %bb.11009:                            ;   in Loop: Header=BB6_9788 Depth=3
	v_and_b32_e32 v22, 0x7fffffff, v18
	v_mov_b32_e32 v23, v21
                                        ; implicit-def: $vgpr20
	s_delay_alu instid0(VALU_DEP_1) | instskip(SKIP_2) | instid1(SALU_CYCLE_1)
	v_cmp_gt_u64_e32 vcc_lo, 0x47600001, v[22:23]
	v_and_b32_e32 v22, 0x80, v19
	s_and_saveexec_b32 s13, vcc_lo
	s_xor_b32 s43, exec_lo, s13
	s_cbranch_execz .LBB6_11019
; %bb.11010:                            ;   in Loop: Header=BB6_9788 Depth=3
	v_mov_b32_e32 v20, 0
	s_mov_b32 s72, exec_lo
	v_cmpx_ne_u32_e32 0, v18
	s_cbranch_execz .LBB6_11018
; %bb.11011:                            ;   in Loop: Header=BB6_9788 Depth=3
	v_bfe_u32 v20, v18, 23, 8
	v_or_b32_e32 v19, 0x800000, v12
	s_delay_alu instid0(VALU_DEP_2) | instskip(SKIP_2) | instid1(VALU_DEP_2)
	v_cmp_gt_u32_e64 s13, 0x72, v20
	v_sub_nc_u32_e32 v18, 0x71, v20
	v_cmp_eq_u32_e32 vcc_lo, 0, v20
	v_dual_cndmask_b32 v18, 0, v18, s13 :: v_dual_cndmask_b32 v12, v19, v12, vcc_lo
	s_delay_alu instid0(VALU_DEP_1) | instskip(NEXT) | instid1(VALU_DEP_1)
	v_cndmask_b32_e64 v23, v18, 0x70, vcc_lo
	v_dual_add_nc_u32 v18, 21, v23 :: v_dual_add_nc_u32 v84, 20, v23
	s_delay_alu instid0(VALU_DEP_1) | instskip(NEXT) | instid1(VALU_DEP_2)
	v_lshlrev_b64_e64 v[18:19], v18, -1
	v_lshlrev_b64_e64 v[84:85], v84, 1
	s_delay_alu instid0(VALU_DEP_2) | instskip(SKIP_1) | instid1(VALU_DEP_4)
	v_bfi_b32 v18, v18, 0, v12
	v_lshrrev_b64 v[12:13], v23, v[12:13]
	v_bfi_b32 v19, v19, 0, 0
	s_delay_alu instid0(VALU_DEP_1) | instskip(NEXT) | instid1(VALU_DEP_3)
	v_cmp_eq_u64_e64 s13, v[18:19], v[84:85]
	v_mov_b64_e32 v[18:19], v[12:13]
	s_and_saveexec_b32 s73, s13
; %bb.11012:                            ;   in Loop: Header=BB6_9788 Depth=3
	v_bfe_u32 v18, v12, 21, 1
	v_mov_b32_e32 v19, v21
	s_delay_alu instid0(VALU_DEP_1) | instskip(NEXT) | instid1(VALU_DEP_1)
	v_add_nc_u64_e32 v[18:19], v[12:13], v[18:19]
	v_add_nc_u64_e32 v[18:19], -1, v[18:19]
; %bb.11013:                            ;   in Loop: Header=BB6_9788 Depth=3
	s_or_b32 exec_lo, exec_lo, s73
	v_add_nc_u32_e32 v13, 0xffffff81, v20
	v_lshrrev_b32_e32 v19, 23, v12
	s_mov_b32 s13, exec_lo
	s_delay_alu instid0(VALU_DEP_2) | instskip(NEXT) | instid1(VALU_DEP_1)
	v_cndmask_b32_e64 v13, v13, 0xffffff82, vcc_lo
	v_add3_u32 v20, v23, v13, v19
	v_and_b32_e32 v13, 0x1fffff, v18
                                        ; implicit-def: $vgpr18
	s_delay_alu instid0(VALU_DEP_2) | instskip(NEXT) | instid1(VALU_DEP_2)
	v_add_nc_u32_e32 v19, 14, v20
	v_add_nc_u32_e32 v12, v13, v12
	v_mov_b32_e32 v13, v21
	s_delay_alu instid0(VALU_DEP_3)
	v_cmpx_ne_u32_e32 0, v19
	s_xor_b32 s13, exec_lo, s13
; %bb.11014:                            ;   in Loop: Header=BB6_9788 Depth=3
	s_delay_alu instid0(VALU_DEP_2) | instskip(SKIP_1) | instid1(VALU_DEP_1)
	v_cmp_lt_u64_e32 vcc_lo, 0xffffff, v[12:13]
	v_add_nc_u32_e32 v18, 15, v20
	v_cndmask_b32_e32 v18, v19, v18, vcc_lo
	v_cndmask_b32_e64 v19, 0, 1, vcc_lo
	s_delay_alu instid0(VALU_DEP_1)
	v_lshrrev_b64 v[12:13], v19, v[12:13]
; %bb.11015:                            ;   in Loop: Header=BB6_9788 Depth=3
	s_and_not1_saveexec_b32 s13, s13
; %bb.11016:                            ;   in Loop: Header=BB6_9788 Depth=3
	s_delay_alu instid0(VALU_DEP_1)
	v_bfe_u32 v18, v12, 23, 1
; %bb.11017:                            ;   in Loop: Header=BB6_9788 Depth=3
	s_or_b32 exec_lo, exec_lo, s13
	s_delay_alu instid0(VALU_DEP_2) | instskip(NEXT) | instid1(VALU_DEP_2)
	v_lshrrev_b64 v[12:13], 21, v[12:13]
	v_cmp_gt_i32_e32 vcc_lo, 32, v18
	v_min_i32_e32 v19, 31, v18
	v_cmp_eq_u32_e64 s13, 0, v18
	s_delay_alu instid0(VALU_DEP_2) | instskip(SKIP_1) | instid1(VALU_DEP_2)
	v_dual_cndmask_b32 v13, 0, v13, vcc_lo :: v_dual_lshlrev_b32 v19, 2, v19
	v_cndmask_b32_e32 v12, 3, v12, vcc_lo
	v_and_b32_e32 v19, 0xfc, v19
	s_delay_alu instid0(VALU_DEP_2) | instskip(NEXT) | instid1(VALU_DEP_2)
	v_cmp_eq_u64_e32 vcc_lo, 0, v[12:13]
	v_and_or_b32 v12, v12, 3, v19
	s_and_b32 s13, s13, vcc_lo
	s_delay_alu instid0(VALU_DEP_1) | instid1(SALU_CYCLE_1)
	v_cndmask_b32_e64 v12, v12, 0, s13
	s_delay_alu instid0(VALU_DEP_1)
	v_or_b32_e32 v20, v12, v22
.LBB6_11018:                            ;   in Loop: Header=BB6_9788 Depth=3
	s_or_b32 exec_lo, exec_lo, s72
                                        ; implicit-def: $vgpr22
.LBB6_11019:                            ;   in Loop: Header=BB6_9788 Depth=3
	s_and_not1_saveexec_b32 s13, s43
; %bb.11020:                            ;   in Loop: Header=BB6_9788 Depth=3
	v_or_b32_e32 v20, 0x7b, v22
; %bb.11021:                            ;   in Loop: Header=BB6_9788 Depth=3
	s_or_b32 exec_lo, exec_lo, s13
                                        ; implicit-def: $vgpr18
                                        ; implicit-def: $vgpr12_vgpr13
                                        ; implicit-def: $vgpr19
.LBB6_11022:                            ;   in Loop: Header=BB6_9788 Depth=3
	s_and_not1_saveexec_b32 s13, s42
	s_cbranch_execz .LBB6_11028
; %bb.11023:                            ;   in Loop: Header=BB6_9788 Depth=3
	s_mov_b32 s42, exec_lo
                                        ; implicit-def: $vgpr20
	v_cmpx_ne_u64_e32 0, v[12:13]
	s_xor_b32 s42, exec_lo, s42
; %bb.11024:                            ;   in Loop: Header=BB6_9788 Depth=3
	v_or_b32_e32 v20, 0x7f, v19
                                        ; implicit-def: $vgpr18
; %bb.11025:                            ;   in Loop: Header=BB6_9788 Depth=3
	s_and_not1_saveexec_b32 s42, s42
; %bb.11026:                            ;   in Loop: Header=BB6_9788 Depth=3
	v_cmp_lt_i32_e32 vcc_lo, -1, v18
	v_mov_b32_e32 v12, 0x7c
	s_delay_alu instid0(VALU_DEP_1)
	v_cndmask_b32_e32 v20, 0xfc, v12, vcc_lo
; %bb.11027:                            ;   in Loop: Header=BB6_9788 Depth=3
	s_or_b32 exec_lo, exec_lo, s42
.LBB6_11028:                            ;   in Loop: Header=BB6_9788 Depth=3
	s_delay_alu instid0(SALU_CYCLE_1)
	s_or_b32 exec_lo, exec_lo, s13
	v_dual_mov_b32 v13, 0 :: v_dual_mov_b32 v18, 0
	s_mov_b32 s42, exec_lo
	v_cmpx_lt_u64_e64 s[22:23], v[34:35]
	s_cbranch_execz .LBB6_11038
; %bb.11029:                            ;   in Loop: Header=BB6_9788 Depth=3
	v_lshrrev_b32_e32 v12, 24, v35
	v_bfrev_b32_e32 v18, 1
	s_mov_b32 s43, exec_lo
	s_delay_alu instid0(VALU_DEP_2)
	v_cmpx_ne_u32_e32 0x80, v12
	s_cbranch_execz .LBB6_11037
; %bb.11030:                            ;   in Loop: Header=BB6_9788 Depth=3
	v_and_b32_e32 v18, 0x7c000000, v35
	v_bfe_u32 v19, v35, 24, 2
	s_delay_alu instid0(VALU_DEP_2) | instskip(SKIP_1) | instid1(SALU_CYCLE_1)
	v_cmp_ne_u32_e32 vcc_lo, 0x7c000000, v18
                                        ; implicit-def: $vgpr18
	s_and_saveexec_b32 s13, vcc_lo
	s_xor_b32 s13, exec_lo, s13
	s_cbranch_execz .LBB6_11034
; %bb.11031:                            ;   in Loop: Header=BB6_9788 Depth=3
	v_bfe_u32 v18, v35, 26, 5
	s_mov_b32 s72, exec_lo
	s_delay_alu instid0(VALU_DEP_1)
	v_cmpx_eq_u32_e32 0, v18
; %bb.11032:                            ;   in Loop: Header=BB6_9788 Depth=3
	v_clz_i32_u32_e32 v18, v19
	s_delay_alu instid0(VALU_DEP_1) | instskip(NEXT) | instid1(VALU_DEP_1)
	v_min_u32_e32 v18, 32, v18
	v_subrev_nc_u32_e32 v19, 29, v18
	v_sub_nc_u32_e32 v18, 30, v18
	s_delay_alu instid0(VALU_DEP_2) | instskip(NEXT) | instid1(VALU_DEP_1)
	v_lshlrev_b64_e32 v[22:23], v19, v[12:13]
	v_and_b32_e32 v19, 3, v22
; %bb.11033:                            ;   in Loop: Header=BB6_9788 Depth=3
	s_or_b32 exec_lo, exec_lo, s72
	v_and_b32_e32 v12, 0x80000000, v35
                                        ; implicit-def: $vgpr34_vgpr35
	s_delay_alu instid0(VALU_DEP_1) | instskip(NEXT) | instid1(VALU_DEP_1)
	v_lshl_add_u32 v12, v18, 23, v12
	v_lshl_or_b32 v12, v19, 21, v12
                                        ; implicit-def: $vgpr19
	s_delay_alu instid0(VALU_DEP_1)
	v_add_nc_u32_e32 v18, 0x38000000, v12
.LBB6_11034:                            ;   in Loop: Header=BB6_9788 Depth=3
	s_and_not1_saveexec_b32 s72, s13
; %bb.11035:                            ;   in Loop: Header=BB6_9788 Depth=3
	v_cmp_lt_i64_e64 s13, -1, v[34:35]
	v_mov_b32_e32 v12, 0x7f800000
	v_cmp_eq_u32_e32 vcc_lo, 0, v19
	s_delay_alu instid0(VALU_DEP_2) | instskip(NEXT) | instid1(VALU_DEP_1)
	v_cndmask_b32_e64 v12, 0xff800000, v12, s13
	v_cndmask_b32_e32 v18, 0x7f800001, v12, vcc_lo
; %bb.11036:                            ;   in Loop: Header=BB6_9788 Depth=3
	s_or_b32 exec_lo, exec_lo, s72
.LBB6_11037:                            ;   in Loop: Header=BB6_9788 Depth=3
	s_delay_alu instid0(SALU_CYCLE_1)
	s_or_b32 exec_lo, exec_lo, s43
.LBB6_11038:                            ;   in Loop: Header=BB6_9788 Depth=3
	s_delay_alu instid0(SALU_CYCLE_1) | instskip(NEXT) | instid1(SALU_CYCLE_1)
	s_or_b32 exec_lo, exec_lo, s42
	s_mov_b32 s42, exec_lo
	v_cmpx_lt_u64_e64 s[22:23], v[26:27]
	s_cbranch_execz .LBB6_11048
; %bb.11039:                            ;   in Loop: Header=BB6_9788 Depth=3
	v_lshrrev_b32_e32 v12, 24, v27
	v_bfrev_b32_e32 v13, 1
	s_mov_b32 s43, exec_lo
	s_delay_alu instid0(VALU_DEP_2)
	v_cmpx_ne_u32_e32 0x80, v12
	s_cbranch_execz .LBB6_11047
; %bb.11040:                            ;   in Loop: Header=BB6_9788 Depth=3
	v_and_b32_e32 v13, 0x7c000000, v27
	v_bfe_u32 v19, v27, 24, 2
	s_delay_alu instid0(VALU_DEP_2) | instskip(SKIP_1) | instid1(SALU_CYCLE_1)
	v_cmp_ne_u32_e32 vcc_lo, 0x7c000000, v13
                                        ; implicit-def: $vgpr13
	s_and_saveexec_b32 s13, vcc_lo
	s_xor_b32 s13, exec_lo, s13
	s_cbranch_execz .LBB6_11044
; %bb.11041:                            ;   in Loop: Header=BB6_9788 Depth=3
	v_bfe_u32 v13, v27, 26, 5
	s_mov_b32 s72, exec_lo
	s_delay_alu instid0(VALU_DEP_1)
	v_cmpx_eq_u32_e32 0, v13
; %bb.11042:                            ;   in Loop: Header=BB6_9788 Depth=3
	v_clz_i32_u32_e32 v13, v19
	s_delay_alu instid0(VALU_DEP_1) | instskip(NEXT) | instid1(VALU_DEP_1)
	v_min_u32_e32 v19, 32, v13
	v_subrev_nc_u32_e32 v13, 29, v19
	s_delay_alu instid0(VALU_DEP_1) | instskip(NEXT) | instid1(VALU_DEP_1)
	v_lshlrev_b64_e32 v[12:13], v13, v[12:13]
	v_dual_sub_nc_u32 v13, 30, v19 :: v_dual_bitop2_b32 v19, 3, v12 bitop3:0x40
; %bb.11043:                            ;   in Loop: Header=BB6_9788 Depth=3
	s_or_b32 exec_lo, exec_lo, s72
	v_and_b32_e32 v12, 0x80000000, v27
                                        ; implicit-def: $vgpr26_vgpr27
	s_delay_alu instid0(VALU_DEP_1) | instskip(NEXT) | instid1(VALU_DEP_1)
	v_lshl_add_u32 v12, v13, 23, v12
	v_lshl_or_b32 v12, v19, 21, v12
                                        ; implicit-def: $vgpr19
	s_delay_alu instid0(VALU_DEP_1)
	v_add_nc_u32_e32 v13, 0x38000000, v12
.LBB6_11044:                            ;   in Loop: Header=BB6_9788 Depth=3
	s_and_not1_saveexec_b32 s72, s13
; %bb.11045:                            ;   in Loop: Header=BB6_9788 Depth=3
	v_cmp_lt_i64_e64 s13, -1, v[26:27]
	v_mov_b32_e32 v12, 0x7f800000
	v_cmp_eq_u32_e32 vcc_lo, 0, v19
	s_delay_alu instid0(VALU_DEP_2) | instskip(NEXT) | instid1(VALU_DEP_1)
	v_cndmask_b32_e64 v12, 0xff800000, v12, s13
	v_cndmask_b32_e32 v13, 0x7f800001, v12, vcc_lo
; %bb.11046:                            ;   in Loop: Header=BB6_9788 Depth=3
	s_or_b32 exec_lo, exec_lo, s72
.LBB6_11047:                            ;   in Loop: Header=BB6_9788 Depth=3
	s_delay_alu instid0(SALU_CYCLE_1)
	s_or_b32 exec_lo, exec_lo, s43
.LBB6_11048:                            ;   in Loop: Header=BB6_9788 Depth=3
	s_delay_alu instid0(SALU_CYCLE_1) | instskip(NEXT) | instid1(VALU_DEP_1)
	s_or_b32 exec_lo, exec_lo, s42
	v_dual_mul_f32 v18, v18, v13 :: v_dual_mov_b32 v23, v21
	v_mov_b32_e32 v13, v21
                                        ; implicit-def: $vgpr26
	s_mov_b32 s13, exec_lo
	s_delay_alu instid0(VALU_DEP_2) | instskip(SKIP_2) | instid1(VALU_DEP_3)
	v_and_b32_e32 v22, 0x7f800000, v18
	v_and_b32_e32 v12, 0x7fffff, v18
	v_lshrrev_b32_e32 v19, 24, v18
	v_cmpx_ne_u64_e32 0x7f800000, v[22:23]
	s_xor_b32 s42, exec_lo, s13
	s_cbranch_execz .LBB6_11062
; %bb.11049:                            ;   in Loop: Header=BB6_9788 Depth=3
	v_and_b32_e32 v22, 0x7fffffff, v18
	v_mov_b32_e32 v23, v21
                                        ; implicit-def: $vgpr26
	s_delay_alu instid0(VALU_DEP_1) | instskip(SKIP_2) | instid1(SALU_CYCLE_1)
	v_cmp_gt_u64_e32 vcc_lo, 0x47600001, v[22:23]
	v_and_b32_e32 v22, 0x80, v19
	s_and_saveexec_b32 s13, vcc_lo
	s_xor_b32 s43, exec_lo, s13
	s_cbranch_execz .LBB6_11059
; %bb.11050:                            ;   in Loop: Header=BB6_9788 Depth=3
	v_mov_b32_e32 v26, 0
	s_mov_b32 s72, exec_lo
	v_cmpx_ne_u32_e32 0, v18
	s_cbranch_execz .LBB6_11058
; %bb.11051:                            ;   in Loop: Header=BB6_9788 Depth=3
	v_bfe_u32 v23, v18, 23, 8
	v_or_b32_e32 v19, 0x800000, v12
	s_delay_alu instid0(VALU_DEP_2) | instskip(SKIP_2) | instid1(VALU_DEP_2)
	v_cmp_gt_u32_e64 s13, 0x72, v23
	v_sub_nc_u32_e32 v18, 0x71, v23
	v_cmp_eq_u32_e32 vcc_lo, 0, v23
	v_dual_cndmask_b32 v18, 0, v18, s13 :: v_dual_cndmask_b32 v12, v19, v12, vcc_lo
	s_delay_alu instid0(VALU_DEP_1) | instskip(NEXT) | instid1(VALU_DEP_1)
	v_cndmask_b32_e64 v26, v18, 0x70, vcc_lo
	v_dual_add_nc_u32 v18, 21, v26 :: v_dual_add_nc_u32 v27, 20, v26
	s_delay_alu instid0(VALU_DEP_1) | instskip(NEXT) | instid1(VALU_DEP_2)
	v_lshlrev_b64_e64 v[18:19], v18, -1
	v_lshlrev_b64_e64 v[34:35], v27, 1
	s_delay_alu instid0(VALU_DEP_2) | instskip(SKIP_1) | instid1(VALU_DEP_4)
	v_bfi_b32 v18, v18, 0, v12
	v_lshrrev_b64 v[12:13], v26, v[12:13]
	v_bfi_b32 v19, v19, 0, 0
	s_delay_alu instid0(VALU_DEP_1) | instskip(NEXT) | instid1(VALU_DEP_3)
	v_cmp_eq_u64_e64 s13, v[18:19], v[34:35]
	v_mov_b64_e32 v[18:19], v[12:13]
	s_and_saveexec_b32 s73, s13
; %bb.11052:                            ;   in Loop: Header=BB6_9788 Depth=3
	v_bfe_u32 v18, v12, 21, 1
	v_mov_b32_e32 v19, v21
	s_delay_alu instid0(VALU_DEP_1) | instskip(NEXT) | instid1(VALU_DEP_1)
	v_add_nc_u64_e32 v[18:19], v[12:13], v[18:19]
	v_add_nc_u64_e32 v[18:19], -1, v[18:19]
; %bb.11053:                            ;   in Loop: Header=BB6_9788 Depth=3
	s_or_b32 exec_lo, exec_lo, s73
	v_add_nc_u32_e32 v13, 0xffffff81, v23
	v_lshrrev_b32_e32 v19, 23, v12
	s_mov_b32 s13, exec_lo
	s_delay_alu instid0(VALU_DEP_2) | instskip(NEXT) | instid1(VALU_DEP_1)
	v_cndmask_b32_e64 v13, v13, 0xffffff82, vcc_lo
	v_add3_u32 v23, v26, v13, v19
	v_and_b32_e32 v13, 0x1fffff, v18
                                        ; implicit-def: $vgpr18
	s_delay_alu instid0(VALU_DEP_1) | instskip(SKIP_1) | instid1(VALU_DEP_2)
	v_dual_add_nc_u32 v19, 14, v23 :: v_dual_add_nc_u32 v12, v13, v12
	v_mov_b32_e32 v13, v21
	v_cmpx_ne_u32_e32 0, v19
	s_xor_b32 s13, exec_lo, s13
; %bb.11054:                            ;   in Loop: Header=BB6_9788 Depth=3
	s_delay_alu instid0(VALU_DEP_2) | instskip(SKIP_1) | instid1(VALU_DEP_1)
	v_cmp_lt_u64_e32 vcc_lo, 0xffffff, v[12:13]
	v_add_nc_u32_e32 v18, 15, v23
	v_cndmask_b32_e32 v18, v19, v18, vcc_lo
	v_cndmask_b32_e64 v19, 0, 1, vcc_lo
	s_delay_alu instid0(VALU_DEP_1)
	v_lshrrev_b64 v[12:13], v19, v[12:13]
; %bb.11055:                            ;   in Loop: Header=BB6_9788 Depth=3
	s_and_not1_saveexec_b32 s13, s13
; %bb.11056:                            ;   in Loop: Header=BB6_9788 Depth=3
	s_delay_alu instid0(VALU_DEP_1)
	v_bfe_u32 v18, v12, 23, 1
; %bb.11057:                            ;   in Loop: Header=BB6_9788 Depth=3
	s_or_b32 exec_lo, exec_lo, s13
	s_delay_alu instid0(VALU_DEP_2) | instskip(NEXT) | instid1(VALU_DEP_2)
	v_lshrrev_b64 v[12:13], 21, v[12:13]
	v_cmp_gt_i32_e32 vcc_lo, 32, v18
	v_min_i32_e32 v19, 31, v18
	v_cmp_eq_u32_e64 s13, 0, v18
	s_delay_alu instid0(VALU_DEP_2) | instskip(SKIP_1) | instid1(VALU_DEP_2)
	v_dual_cndmask_b32 v13, 0, v13, vcc_lo :: v_dual_lshlrev_b32 v19, 2, v19
	v_cndmask_b32_e32 v12, 3, v12, vcc_lo
	v_and_b32_e32 v19, 0xfc, v19
	s_delay_alu instid0(VALU_DEP_2) | instskip(NEXT) | instid1(VALU_DEP_2)
	v_cmp_eq_u64_e32 vcc_lo, 0, v[12:13]
	v_and_or_b32 v12, v12, 3, v19
	s_and_b32 s13, s13, vcc_lo
	s_delay_alu instid0(VALU_DEP_1) | instid1(SALU_CYCLE_1)
	v_cndmask_b32_e64 v12, v12, 0, s13
	s_delay_alu instid0(VALU_DEP_1)
	v_or_b32_e32 v26, v12, v22
.LBB6_11058:                            ;   in Loop: Header=BB6_9788 Depth=3
	s_or_b32 exec_lo, exec_lo, s72
                                        ; implicit-def: $vgpr22
.LBB6_11059:                            ;   in Loop: Header=BB6_9788 Depth=3
	s_and_not1_saveexec_b32 s13, s43
; %bb.11060:                            ;   in Loop: Header=BB6_9788 Depth=3
	v_or_b32_e32 v26, 0x7b, v22
; %bb.11061:                            ;   in Loop: Header=BB6_9788 Depth=3
	s_or_b32 exec_lo, exec_lo, s13
                                        ; implicit-def: $vgpr18
                                        ; implicit-def: $vgpr12_vgpr13
                                        ; implicit-def: $vgpr19
.LBB6_11062:                            ;   in Loop: Header=BB6_9788 Depth=3
	s_and_not1_saveexec_b32 s13, s42
	s_cbranch_execz .LBB6_11068
; %bb.11063:                            ;   in Loop: Header=BB6_9788 Depth=3
	s_mov_b32 s42, exec_lo
                                        ; implicit-def: $vgpr26
	v_cmpx_ne_u64_e32 0, v[12:13]
	s_xor_b32 s42, exec_lo, s42
; %bb.11064:                            ;   in Loop: Header=BB6_9788 Depth=3
	v_or_b32_e32 v26, 0x7f, v19
                                        ; implicit-def: $vgpr18
; %bb.11065:                            ;   in Loop: Header=BB6_9788 Depth=3
	s_and_not1_saveexec_b32 s42, s42
; %bb.11066:                            ;   in Loop: Header=BB6_9788 Depth=3
	v_cmp_lt_i32_e32 vcc_lo, -1, v18
	v_mov_b32_e32 v12, 0x7c
	s_delay_alu instid0(VALU_DEP_1)
	v_cndmask_b32_e32 v26, 0xfc, v12, vcc_lo
; %bb.11067:                            ;   in Loop: Header=BB6_9788 Depth=3
	s_or_b32 exec_lo, exec_lo, s42
.LBB6_11068:                            ;   in Loop: Header=BB6_9788 Depth=3
	s_delay_alu instid0(SALU_CYCLE_1) | instskip(SKIP_2) | instid1(VALU_DEP_2)
	s_or_b32 exec_lo, exec_lo, s13
	v_and_b32_e32 v13, 0xff, v14
	v_mov_b32_e32 v12, 0
	v_cmp_ne_u16_e32 vcc_lo, 0, v13
	v_mov_b32_e32 v13, 0
	s_and_saveexec_b32 s42, vcc_lo
	s_cbranch_execz .LBB6_11078
; %bb.11069:                            ;   in Loop: Header=BB6_9788 Depth=3
	v_bfe_i32 v19, v14, 0, 8
	v_bfrev_b32_e32 v13, 1
	s_mov_b32 s43, exec_lo
	s_delay_alu instid0(VALU_DEP_2)
	v_cmpx_ne_u16_e32 0xff80, v19
	s_cbranch_execz .LBB6_11077
; %bb.11070:                            ;   in Loop: Header=BB6_9788 Depth=3
	v_and_b32_e32 v13, 0x7c, v14
	v_and_b32_e32 v18, 3, v14
	s_delay_alu instid0(VALU_DEP_2) | instskip(SKIP_1) | instid1(SALU_CYCLE_1)
	v_cmp_ne_u32_e32 vcc_lo, 0x7c, v13
                                        ; implicit-def: $vgpr13
	s_and_saveexec_b32 s13, vcc_lo
	s_xor_b32 s13, exec_lo, s13
	s_cbranch_execz .LBB6_11074
; %bb.11071:                            ;   in Loop: Header=BB6_9788 Depth=3
	v_bfe_u32 v13, v14, 2, 5
	s_mov_b32 s72, exec_lo
	s_delay_alu instid0(VALU_DEP_1)
	v_cmpx_eq_u32_e32 0, v13
; %bb.11072:                            ;   in Loop: Header=BB6_9788 Depth=3
	v_clz_i32_u32_e32 v13, v18
	s_delay_alu instid0(VALU_DEP_1) | instskip(NEXT) | instid1(VALU_DEP_1)
	v_min_u32_e32 v13, 32, v13
	v_subrev_nc_u32_e32 v18, 29, v13
	s_delay_alu instid0(VALU_DEP_1) | instskip(NEXT) | instid1(VALU_DEP_1)
	v_lshlrev_b64_e32 v[18:19], v18, v[14:15]
	v_dual_sub_nc_u32 v13, 30, v13 :: v_dual_bitop2_b32 v18, 3, v18 bitop3:0x40
; %bb.11073:                            ;   in Loop: Header=BB6_9788 Depth=3
	s_or_b32 exec_lo, exec_lo, s72
	v_lshlrev_b32_e32 v19, 24, v14
	s_delay_alu instid0(VALU_DEP_1) | instskip(NEXT) | instid1(VALU_DEP_1)
	v_and_b32_e32 v19, 0x80000000, v19
	v_lshl_add_u32 v13, v13, 23, v19
                                        ; implicit-def: $vgpr19
	s_delay_alu instid0(VALU_DEP_1) | instskip(NEXT) | instid1(VALU_DEP_1)
	v_lshl_or_b32 v13, v18, 21, v13
                                        ; implicit-def: $vgpr18
	v_add_nc_u32_e32 v13, 0x38000000, v13
.LBB6_11074:                            ;   in Loop: Header=BB6_9788 Depth=3
	s_and_not1_saveexec_b32 s72, s13
; %bb.11075:                            ;   in Loop: Header=BB6_9788 Depth=3
	v_cmp_lt_i16_e64 s13, -1, v19
	v_mov_b32_e32 v13, 0x7f800000
	v_cmp_eq_u32_e32 vcc_lo, 0, v18
	s_delay_alu instid0(VALU_DEP_2) | instskip(NEXT) | instid1(VALU_DEP_1)
	v_cndmask_b32_e64 v13, 0xff800000, v13, s13
	v_cndmask_b32_e32 v13, 0x7f800001, v13, vcc_lo
; %bb.11076:                            ;   in Loop: Header=BB6_9788 Depth=3
	s_or_b32 exec_lo, exec_lo, s72
.LBB6_11077:                            ;   in Loop: Header=BB6_9788 Depth=3
	s_delay_alu instid0(SALU_CYCLE_1)
	s_or_b32 exec_lo, exec_lo, s43
.LBB6_11078:                            ;   in Loop: Header=BB6_9788 Depth=3
	s_delay_alu instid0(SALU_CYCLE_1) | instskip(SKIP_3) | instid1(VALU_DEP_1)
	s_or_b32 exec_lo, exec_lo, s42
	s_wait_loadcnt 0x1
	v_and_b32_e32 v18, 0xff, v4
	s_mov_b32 s42, exec_lo
	v_cmpx_ne_u16_e32 0, v18
	s_cbranch_execz .LBB6_11088
; %bb.11079:                            ;   in Loop: Header=BB6_9788 Depth=3
	v_bfe_i32 v19, v4, 0, 8
	v_bfrev_b32_e32 v12, 1
	s_mov_b32 s43, exec_lo
	s_delay_alu instid0(VALU_DEP_2)
	v_cmpx_ne_u16_e32 0xff80, v19
	s_cbranch_execz .LBB6_11087
; %bb.11080:                            ;   in Loop: Header=BB6_9788 Depth=3
	v_and_b32_e32 v12, 0x7c, v4
	v_and_b32_e32 v18, 3, v4
	s_delay_alu instid0(VALU_DEP_2) | instskip(SKIP_1) | instid1(SALU_CYCLE_1)
	v_cmp_ne_u32_e32 vcc_lo, 0x7c, v12
                                        ; implicit-def: $vgpr12
	s_and_saveexec_b32 s13, vcc_lo
	s_xor_b32 s13, exec_lo, s13
	s_cbranch_execz .LBB6_11084
; %bb.11081:                            ;   in Loop: Header=BB6_9788 Depth=3
	v_bfe_u32 v12, v4, 2, 5
	s_mov_b32 s72, exec_lo
	s_delay_alu instid0(VALU_DEP_1)
	v_cmpx_eq_u32_e32 0, v12
; %bb.11082:                            ;   in Loop: Header=BB6_9788 Depth=3
	v_clz_i32_u32_e32 v12, v18
	s_delay_alu instid0(VALU_DEP_1) | instskip(NEXT) | instid1(VALU_DEP_1)
	v_min_u32_e32 v12, 32, v12
	v_subrev_nc_u32_e32 v18, 29, v12
	s_delay_alu instid0(VALU_DEP_1) | instskip(NEXT) | instid1(VALU_DEP_1)
	v_lshlrev_b64_e32 v[18:19], v18, v[4:5]
	v_dual_sub_nc_u32 v12, 30, v12 :: v_dual_bitop2_b32 v18, 3, v18 bitop3:0x40
; %bb.11083:                            ;   in Loop: Header=BB6_9788 Depth=3
	s_or_b32 exec_lo, exec_lo, s72
	v_lshlrev_b32_e32 v19, 24, v4
	s_delay_alu instid0(VALU_DEP_1) | instskip(NEXT) | instid1(VALU_DEP_1)
	v_and_b32_e32 v19, 0x80000000, v19
	v_lshl_add_u32 v12, v12, 23, v19
                                        ; implicit-def: $vgpr19
	s_delay_alu instid0(VALU_DEP_1) | instskip(NEXT) | instid1(VALU_DEP_1)
	v_lshl_or_b32 v12, v18, 21, v12
                                        ; implicit-def: $vgpr18
	v_add_nc_u32_e32 v12, 0x38000000, v12
.LBB6_11084:                            ;   in Loop: Header=BB6_9788 Depth=3
	s_and_not1_saveexec_b32 s72, s13
; %bb.11085:                            ;   in Loop: Header=BB6_9788 Depth=3
	v_cmp_lt_i16_e64 s13, -1, v19
	v_mov_b32_e32 v12, 0x7f800000
	v_cmp_eq_u32_e32 vcc_lo, 0, v18
	s_delay_alu instid0(VALU_DEP_2) | instskip(NEXT) | instid1(VALU_DEP_1)
	v_cndmask_b32_e64 v12, 0xff800000, v12, s13
	v_cndmask_b32_e32 v12, 0x7f800001, v12, vcc_lo
; %bb.11086:                            ;   in Loop: Header=BB6_9788 Depth=3
	s_or_b32 exec_lo, exec_lo, s72
.LBB6_11087:                            ;   in Loop: Header=BB6_9788 Depth=3
	s_delay_alu instid0(SALU_CYCLE_1)
	s_or_b32 exec_lo, exec_lo, s43
.LBB6_11088:                            ;   in Loop: Header=BB6_9788 Depth=3
	s_delay_alu instid0(SALU_CYCLE_1) | instskip(NEXT) | instid1(VALU_DEP_1)
	s_or_b32 exec_lo, exec_lo, s42
	v_mul_f32_e32 v18, v13, v12
	v_dual_mov_b32 v23, v21 :: v_dual_mov_b32 v13, v21
                                        ; implicit-def: $vgpr27
	s_mov_b32 s13, exec_lo
	s_delay_alu instid0(VALU_DEP_2) | instskip(SKIP_2) | instid1(VALU_DEP_3)
	v_and_b32_e32 v22, 0x7f800000, v18
	v_and_b32_e32 v12, 0x7fffff, v18
	v_lshrrev_b32_e32 v19, 24, v18
	v_cmpx_ne_u64_e32 0x7f800000, v[22:23]
	s_xor_b32 s42, exec_lo, s13
	s_cbranch_execz .LBB6_11102
; %bb.11089:                            ;   in Loop: Header=BB6_9788 Depth=3
	v_and_b32_e32 v22, 0x7fffffff, v18
	v_mov_b32_e32 v23, v21
                                        ; implicit-def: $vgpr27
	s_delay_alu instid0(VALU_DEP_1) | instskip(SKIP_2) | instid1(SALU_CYCLE_1)
	v_cmp_gt_u64_e32 vcc_lo, 0x47600001, v[22:23]
	v_and_b32_e32 v22, 0x80, v19
	s_and_saveexec_b32 s13, vcc_lo
	s_xor_b32 s43, exec_lo, s13
	s_cbranch_execz .LBB6_11099
; %bb.11090:                            ;   in Loop: Header=BB6_9788 Depth=3
	v_mov_b32_e32 v27, 0
	s_mov_b32 s72, exec_lo
	v_cmpx_ne_u32_e32 0, v18
	s_cbranch_execz .LBB6_11098
; %bb.11091:                            ;   in Loop: Header=BB6_9788 Depth=3
	v_bfe_u32 v23, v18, 23, 8
	v_or_b32_e32 v19, 0x800000, v12
	s_delay_alu instid0(VALU_DEP_2) | instskip(SKIP_2) | instid1(VALU_DEP_2)
	v_cmp_gt_u32_e64 s13, 0x72, v23
	v_sub_nc_u32_e32 v18, 0x71, v23
	v_cmp_eq_u32_e32 vcc_lo, 0, v23
	v_dual_cndmask_b32 v18, 0, v18, s13 :: v_dual_cndmask_b32 v12, v19, v12, vcc_lo
	s_delay_alu instid0(VALU_DEP_1) | instskip(NEXT) | instid1(VALU_DEP_1)
	v_cndmask_b32_e64 v27, v18, 0x70, vcc_lo
	v_dual_add_nc_u32 v18, 21, v27 :: v_dual_add_nc_u32 v34, 20, v27
	s_delay_alu instid0(VALU_DEP_1) | instskip(NEXT) | instid1(VALU_DEP_2)
	v_lshlrev_b64_e64 v[18:19], v18, -1
	v_lshlrev_b64_e64 v[34:35], v34, 1
	s_delay_alu instid0(VALU_DEP_2) | instskip(SKIP_1) | instid1(VALU_DEP_4)
	v_bfi_b32 v18, v18, 0, v12
	v_lshrrev_b64 v[12:13], v27, v[12:13]
	v_bfi_b32 v19, v19, 0, 0
	s_delay_alu instid0(VALU_DEP_1) | instskip(NEXT) | instid1(VALU_DEP_3)
	v_cmp_eq_u64_e64 s13, v[18:19], v[34:35]
	v_mov_b64_e32 v[18:19], v[12:13]
	s_and_saveexec_b32 s73, s13
; %bb.11092:                            ;   in Loop: Header=BB6_9788 Depth=3
	v_bfe_u32 v18, v12, 21, 1
	v_mov_b32_e32 v19, v21
	s_delay_alu instid0(VALU_DEP_1) | instskip(NEXT) | instid1(VALU_DEP_1)
	v_add_nc_u64_e32 v[18:19], v[12:13], v[18:19]
	v_add_nc_u64_e32 v[18:19], -1, v[18:19]
; %bb.11093:                            ;   in Loop: Header=BB6_9788 Depth=3
	s_or_b32 exec_lo, exec_lo, s73
	v_add_nc_u32_e32 v13, 0xffffff81, v23
	v_lshrrev_b32_e32 v19, 23, v12
	s_mov_b32 s13, exec_lo
	s_delay_alu instid0(VALU_DEP_2) | instskip(NEXT) | instid1(VALU_DEP_1)
	v_cndmask_b32_e64 v13, v13, 0xffffff82, vcc_lo
	v_add3_u32 v23, v27, v13, v19
	v_and_b32_e32 v13, 0x1fffff, v18
                                        ; implicit-def: $vgpr18
	s_delay_alu instid0(VALU_DEP_1) | instskip(SKIP_1) | instid1(VALU_DEP_2)
	v_dual_add_nc_u32 v19, 14, v23 :: v_dual_add_nc_u32 v12, v13, v12
	v_mov_b32_e32 v13, v21
	v_cmpx_ne_u32_e32 0, v19
	s_xor_b32 s13, exec_lo, s13
; %bb.11094:                            ;   in Loop: Header=BB6_9788 Depth=3
	s_delay_alu instid0(VALU_DEP_2) | instskip(SKIP_1) | instid1(VALU_DEP_1)
	v_cmp_lt_u64_e32 vcc_lo, 0xffffff, v[12:13]
	v_add_nc_u32_e32 v18, 15, v23
	v_cndmask_b32_e32 v18, v19, v18, vcc_lo
	v_cndmask_b32_e64 v19, 0, 1, vcc_lo
	s_delay_alu instid0(VALU_DEP_1)
	v_lshrrev_b64 v[12:13], v19, v[12:13]
; %bb.11095:                            ;   in Loop: Header=BB6_9788 Depth=3
	s_and_not1_saveexec_b32 s13, s13
; %bb.11096:                            ;   in Loop: Header=BB6_9788 Depth=3
	s_delay_alu instid0(VALU_DEP_1)
	v_bfe_u32 v18, v12, 23, 1
; %bb.11097:                            ;   in Loop: Header=BB6_9788 Depth=3
	s_or_b32 exec_lo, exec_lo, s13
	s_delay_alu instid0(VALU_DEP_2) | instskip(NEXT) | instid1(VALU_DEP_2)
	v_lshrrev_b64 v[12:13], 21, v[12:13]
	v_cmp_gt_i32_e32 vcc_lo, 32, v18
	v_min_i32_e32 v19, 31, v18
	v_cmp_eq_u32_e64 s13, 0, v18
	s_delay_alu instid0(VALU_DEP_2) | instskip(SKIP_1) | instid1(VALU_DEP_2)
	v_dual_cndmask_b32 v13, 0, v13, vcc_lo :: v_dual_lshlrev_b32 v19, 2, v19
	v_cndmask_b32_e32 v12, 3, v12, vcc_lo
	v_and_b32_e32 v19, 0xfc, v19
	s_delay_alu instid0(VALU_DEP_2) | instskip(NEXT) | instid1(VALU_DEP_2)
	v_cmp_eq_u64_e32 vcc_lo, 0, v[12:13]
	v_and_or_b32 v12, v12, 3, v19
	s_and_b32 s13, s13, vcc_lo
	s_delay_alu instid0(VALU_DEP_1) | instid1(SALU_CYCLE_1)
	v_cndmask_b32_e64 v12, v12, 0, s13
	s_delay_alu instid0(VALU_DEP_1)
	v_or_b32_e32 v27, v12, v22
.LBB6_11098:                            ;   in Loop: Header=BB6_9788 Depth=3
	s_or_b32 exec_lo, exec_lo, s72
                                        ; implicit-def: $vgpr22
.LBB6_11099:                            ;   in Loop: Header=BB6_9788 Depth=3
	s_and_not1_saveexec_b32 s13, s43
; %bb.11100:                            ;   in Loop: Header=BB6_9788 Depth=3
	v_or_b32_e32 v27, 0x7b, v22
; %bb.11101:                            ;   in Loop: Header=BB6_9788 Depth=3
	s_or_b32 exec_lo, exec_lo, s13
                                        ; implicit-def: $vgpr18
                                        ; implicit-def: $vgpr12_vgpr13
                                        ; implicit-def: $vgpr19
.LBB6_11102:                            ;   in Loop: Header=BB6_9788 Depth=3
	s_and_not1_saveexec_b32 s13, s42
	s_cbranch_execz .LBB6_11108
; %bb.11103:                            ;   in Loop: Header=BB6_9788 Depth=3
	s_mov_b32 s42, exec_lo
                                        ; implicit-def: $vgpr27
	v_cmpx_ne_u64_e32 0, v[12:13]
	s_xor_b32 s42, exec_lo, s42
; %bb.11104:                            ;   in Loop: Header=BB6_9788 Depth=3
	v_or_b32_e32 v27, 0x7f, v19
                                        ; implicit-def: $vgpr18
; %bb.11105:                            ;   in Loop: Header=BB6_9788 Depth=3
	s_and_not1_saveexec_b32 s42, s42
; %bb.11106:                            ;   in Loop: Header=BB6_9788 Depth=3
	v_cmp_lt_i32_e32 vcc_lo, -1, v18
	v_mov_b32_e32 v12, 0x7c
	s_delay_alu instid0(VALU_DEP_1)
	v_cndmask_b32_e32 v27, 0xfc, v12, vcc_lo
; %bb.11107:                            ;   in Loop: Header=BB6_9788 Depth=3
	s_or_b32 exec_lo, exec_lo, s42
.LBB6_11108:                            ;   in Loop: Header=BB6_9788 Depth=3
	s_delay_alu instid0(SALU_CYCLE_1) | instskip(SKIP_3) | instid1(VALU_DEP_2)
	s_or_b32 exec_lo, exec_lo, s13
	v_lshrrev_b16 v12, 8, v14
	v_dual_mov_b32 v18, 0 :: v_dual_mov_b32 v19, 0
	s_mov_b32 s42, exec_lo
	v_cmpx_ne_u16_e32 0, v12
	s_cbranch_execz .LBB6_11118
; %bb.11109:                            ;   in Loop: Header=BB6_9788 Depth=3
	v_bfrev_b32_e32 v19, 1
	s_mov_b32 s43, exec_lo
	v_cmpx_ne_u16_e32 0x80, v12
	s_cbranch_execz .LBB6_11117
; %bb.11110:                            ;   in Loop: Header=BB6_9788 Depth=3
	v_and_b32_e32 v22, 0xffff, v12
	s_delay_alu instid0(VALU_DEP_1) | instskip(SKIP_1) | instid1(VALU_DEP_2)
	v_and_b32_e32 v19, 0x7c, v22
	v_and_b32_e32 v13, 3, v22
	v_cmp_ne_u32_e32 vcc_lo, 0x7c, v19
                                        ; implicit-def: $vgpr19
	s_and_saveexec_b32 s13, vcc_lo
	s_delay_alu instid0(SALU_CYCLE_1)
	s_xor_b32 s13, exec_lo, s13
	s_cbranch_execz .LBB6_11114
; %bb.11111:                            ;   in Loop: Header=BB6_9788 Depth=3
	v_bfe_u32 v19, v22, 2, 5
	s_mov_b32 s72, exec_lo
	s_delay_alu instid0(VALU_DEP_1)
	v_cmpx_eq_u32_e32 0, v19
	s_cbranch_execz .LBB6_11113
; %bb.11112:                            ;   in Loop: Header=BB6_9788 Depth=3
	v_clz_i32_u32_e32 v13, v13
	s_delay_alu instid0(VALU_DEP_1) | instskip(SKIP_1) | instid1(VALU_DEP_2)
	v_min_u32_e32 v19, 32, v13
	v_mov_b32_e32 v13, v21
	v_subrev_nc_u32_e32 v22, 29, v19
	v_sub_nc_u32_e32 v19, 30, v19
	s_delay_alu instid0(VALU_DEP_2) | instskip(NEXT) | instid1(VALU_DEP_1)
	v_lshlrev_b64_e32 v[12:13], v22, v[12:13]
	v_and_b32_e32 v13, 3, v12
.LBB6_11113:                            ;   in Loop: Header=BB6_9788 Depth=3
	s_or_b32 exec_lo, exec_lo, s72
	v_lshlrev_b32_e32 v12, 16, v14
	s_delay_alu instid0(VALU_DEP_1) | instskip(NEXT) | instid1(VALU_DEP_1)
	v_and_b32_e32 v12, 0x80000000, v12
	v_lshl_add_u32 v12, v19, 23, v12
	s_delay_alu instid0(VALU_DEP_1) | instskip(NEXT) | instid1(VALU_DEP_1)
	v_lshl_or_b32 v12, v13, 21, v12
                                        ; implicit-def: $vgpr13
	v_add_nc_u32_e32 v19, 0x38000000, v12
.LBB6_11114:                            ;   in Loop: Header=BB6_9788 Depth=3
	s_and_not1_saveexec_b32 s72, s13
; %bb.11115:                            ;   in Loop: Header=BB6_9788 Depth=3
	v_cmp_lt_i16_e64 s13, -1, v14
	v_mov_b32_e32 v12, 0x7f800000
	v_cmp_eq_u32_e32 vcc_lo, 0, v13
	s_delay_alu instid0(VALU_DEP_2) | instskip(NEXT) | instid1(VALU_DEP_1)
	v_cndmask_b32_e64 v12, 0xff800000, v12, s13
	v_cndmask_b32_e32 v19, 0x7f800001, v12, vcc_lo
; %bb.11116:                            ;   in Loop: Header=BB6_9788 Depth=3
	s_or_b32 exec_lo, exec_lo, s72
.LBB6_11117:                            ;   in Loop: Header=BB6_9788 Depth=3
	s_delay_alu instid0(SALU_CYCLE_1)
	s_or_b32 exec_lo, exec_lo, s43
.LBB6_11118:                            ;   in Loop: Header=BB6_9788 Depth=3
	s_delay_alu instid0(SALU_CYCLE_1) | instskip(SKIP_2) | instid1(VALU_DEP_1)
	s_or_b32 exec_lo, exec_lo, s42
	v_lshrrev_b16 v12, 8, v4
	s_mov_b32 s42, exec_lo
	v_cmpx_ne_u16_e32 0, v12
	s_cbranch_execz .LBB6_11128
; %bb.11119:                            ;   in Loop: Header=BB6_9788 Depth=3
	v_bfrev_b32_e32 v18, 1
	s_mov_b32 s43, exec_lo
	v_cmpx_ne_u16_e32 0x80, v12
	s_cbranch_execz .LBB6_11127
; %bb.11120:                            ;   in Loop: Header=BB6_9788 Depth=3
	v_and_b32_e32 v22, 0xffff, v12
	s_delay_alu instid0(VALU_DEP_1) | instskip(SKIP_1) | instid1(VALU_DEP_2)
	v_and_b32_e32 v18, 0x7c, v22
	v_and_b32_e32 v13, 3, v22
	v_cmp_ne_u32_e32 vcc_lo, 0x7c, v18
                                        ; implicit-def: $vgpr18
	s_and_saveexec_b32 s13, vcc_lo
	s_delay_alu instid0(SALU_CYCLE_1)
	s_xor_b32 s13, exec_lo, s13
	s_cbranch_execz .LBB6_11124
; %bb.11121:                            ;   in Loop: Header=BB6_9788 Depth=3
	v_bfe_u32 v18, v22, 2, 5
	s_mov_b32 s72, exec_lo
	s_delay_alu instid0(VALU_DEP_1)
	v_cmpx_eq_u32_e32 0, v18
	s_cbranch_execz .LBB6_11123
; %bb.11122:                            ;   in Loop: Header=BB6_9788 Depth=3
	v_clz_i32_u32_e32 v13, v13
	s_delay_alu instid0(VALU_DEP_1) | instskip(SKIP_1) | instid1(VALU_DEP_2)
	v_min_u32_e32 v18, 32, v13
	v_mov_b32_e32 v13, v21
	v_subrev_nc_u32_e32 v22, 29, v18
	v_sub_nc_u32_e32 v18, 30, v18
	s_delay_alu instid0(VALU_DEP_2) | instskip(NEXT) | instid1(VALU_DEP_1)
	v_lshlrev_b64_e32 v[12:13], v22, v[12:13]
	v_and_b32_e32 v13, 3, v12
.LBB6_11123:                            ;   in Loop: Header=BB6_9788 Depth=3
	s_or_b32 exec_lo, exec_lo, s72
	v_lshlrev_b32_e32 v12, 16, v4
	s_delay_alu instid0(VALU_DEP_1) | instskip(NEXT) | instid1(VALU_DEP_1)
	v_and_b32_e32 v12, 0x80000000, v12
	v_lshl_add_u32 v12, v18, 23, v12
	s_delay_alu instid0(VALU_DEP_1) | instskip(NEXT) | instid1(VALU_DEP_1)
	v_lshl_or_b32 v12, v13, 21, v12
                                        ; implicit-def: $vgpr13
	v_add_nc_u32_e32 v18, 0x38000000, v12
.LBB6_11124:                            ;   in Loop: Header=BB6_9788 Depth=3
	s_and_not1_saveexec_b32 s72, s13
; %bb.11125:                            ;   in Loop: Header=BB6_9788 Depth=3
	v_cmp_lt_i16_e64 s13, -1, v4
	v_mov_b32_e32 v12, 0x7f800000
	v_cmp_eq_u32_e32 vcc_lo, 0, v13
	s_delay_alu instid0(VALU_DEP_2) | instskip(NEXT) | instid1(VALU_DEP_1)
	v_cndmask_b32_e64 v12, 0xff800000, v12, s13
	v_cndmask_b32_e32 v18, 0x7f800001, v12, vcc_lo
; %bb.11126:                            ;   in Loop: Header=BB6_9788 Depth=3
	s_or_b32 exec_lo, exec_lo, s72
.LBB6_11127:                            ;   in Loop: Header=BB6_9788 Depth=3
	s_delay_alu instid0(SALU_CYCLE_1)
	s_or_b32 exec_lo, exec_lo, s43
.LBB6_11128:                            ;   in Loop: Header=BB6_9788 Depth=3
	s_delay_alu instid0(SALU_CYCLE_1) | instskip(NEXT) | instid1(VALU_DEP_1)
	s_or_b32 exec_lo, exec_lo, s42
	v_dual_mul_f32 v18, v19, v18 :: v_dual_mov_b32 v23, v21
	v_mov_b32_e32 v13, v21
                                        ; implicit-def: $vgpr34
	s_mov_b32 s13, exec_lo
	s_delay_alu instid0(VALU_DEP_2) | instskip(SKIP_2) | instid1(VALU_DEP_3)
	v_and_b32_e32 v22, 0x7f800000, v18
	v_and_b32_e32 v12, 0x7fffff, v18
	v_lshrrev_b32_e32 v19, 24, v18
	v_cmpx_ne_u64_e32 0x7f800000, v[22:23]
	s_xor_b32 s42, exec_lo, s13
	s_cbranch_execz .LBB6_11142
; %bb.11129:                            ;   in Loop: Header=BB6_9788 Depth=3
	v_and_b32_e32 v22, 0x7fffffff, v18
	v_mov_b32_e32 v23, v21
                                        ; implicit-def: $vgpr34
	s_delay_alu instid0(VALU_DEP_1) | instskip(SKIP_2) | instid1(SALU_CYCLE_1)
	v_cmp_gt_u64_e32 vcc_lo, 0x47600001, v[22:23]
	v_and_b32_e32 v22, 0x80, v19
	s_and_saveexec_b32 s13, vcc_lo
	s_xor_b32 s43, exec_lo, s13
	s_cbranch_execz .LBB6_11139
; %bb.11130:                            ;   in Loop: Header=BB6_9788 Depth=3
	v_mov_b32_e32 v34, 0
	s_mov_b32 s72, exec_lo
	v_cmpx_ne_u32_e32 0, v18
	s_cbranch_execz .LBB6_11138
; %bb.11131:                            ;   in Loop: Header=BB6_9788 Depth=3
	v_bfe_u32 v23, v18, 23, 8
	v_or_b32_e32 v19, 0x800000, v12
	s_delay_alu instid0(VALU_DEP_2) | instskip(SKIP_2) | instid1(VALU_DEP_2)
	v_cmp_gt_u32_e64 s13, 0x72, v23
	v_sub_nc_u32_e32 v18, 0x71, v23
	v_cmp_eq_u32_e32 vcc_lo, 0, v23
	v_dual_cndmask_b32 v18, 0, v18, s13 :: v_dual_cndmask_b32 v12, v19, v12, vcc_lo
	s_delay_alu instid0(VALU_DEP_1) | instskip(NEXT) | instid1(VALU_DEP_1)
	v_cndmask_b32_e64 v34, v18, 0x70, vcc_lo
	v_dual_add_nc_u32 v18, 21, v34 :: v_dual_add_nc_u32 v35, 20, v34
	s_delay_alu instid0(VALU_DEP_1) | instskip(NEXT) | instid1(VALU_DEP_2)
	v_lshlrev_b64_e64 v[18:19], v18, -1
	v_lshlrev_b64_e64 v[84:85], v35, 1
	s_delay_alu instid0(VALU_DEP_2) | instskip(SKIP_1) | instid1(VALU_DEP_4)
	v_bfi_b32 v18, v18, 0, v12
	v_lshrrev_b64 v[12:13], v34, v[12:13]
	v_bfi_b32 v19, v19, 0, 0
	s_delay_alu instid0(VALU_DEP_1) | instskip(NEXT) | instid1(VALU_DEP_3)
	v_cmp_eq_u64_e64 s13, v[18:19], v[84:85]
	v_mov_b64_e32 v[18:19], v[12:13]
	s_and_saveexec_b32 s73, s13
; %bb.11132:                            ;   in Loop: Header=BB6_9788 Depth=3
	v_bfe_u32 v18, v12, 21, 1
	v_mov_b32_e32 v19, v21
	s_delay_alu instid0(VALU_DEP_1) | instskip(NEXT) | instid1(VALU_DEP_1)
	v_add_nc_u64_e32 v[18:19], v[12:13], v[18:19]
	v_add_nc_u64_e32 v[18:19], -1, v[18:19]
; %bb.11133:                            ;   in Loop: Header=BB6_9788 Depth=3
	s_or_b32 exec_lo, exec_lo, s73
	v_add_nc_u32_e32 v13, 0xffffff81, v23
	v_lshrrev_b32_e32 v19, 23, v12
	s_mov_b32 s13, exec_lo
	s_delay_alu instid0(VALU_DEP_2) | instskip(NEXT) | instid1(VALU_DEP_1)
	v_cndmask_b32_e64 v13, v13, 0xffffff82, vcc_lo
	v_add3_u32 v23, v34, v13, v19
	v_and_b32_e32 v13, 0x1fffff, v18
                                        ; implicit-def: $vgpr18
	s_delay_alu instid0(VALU_DEP_1) | instskip(SKIP_1) | instid1(VALU_DEP_2)
	v_dual_add_nc_u32 v19, 14, v23 :: v_dual_add_nc_u32 v12, v13, v12
	v_mov_b32_e32 v13, v21
	v_cmpx_ne_u32_e32 0, v19
	s_xor_b32 s13, exec_lo, s13
; %bb.11134:                            ;   in Loop: Header=BB6_9788 Depth=3
	s_delay_alu instid0(VALU_DEP_2) | instskip(SKIP_1) | instid1(VALU_DEP_1)
	v_cmp_lt_u64_e32 vcc_lo, 0xffffff, v[12:13]
	v_add_nc_u32_e32 v18, 15, v23
	v_cndmask_b32_e32 v18, v19, v18, vcc_lo
	v_cndmask_b32_e64 v19, 0, 1, vcc_lo
	s_delay_alu instid0(VALU_DEP_1)
	v_lshrrev_b64 v[12:13], v19, v[12:13]
; %bb.11135:                            ;   in Loop: Header=BB6_9788 Depth=3
	s_and_not1_saveexec_b32 s13, s13
; %bb.11136:                            ;   in Loop: Header=BB6_9788 Depth=3
	s_delay_alu instid0(VALU_DEP_1)
	v_bfe_u32 v18, v12, 23, 1
; %bb.11137:                            ;   in Loop: Header=BB6_9788 Depth=3
	s_or_b32 exec_lo, exec_lo, s13
	s_delay_alu instid0(VALU_DEP_2) | instskip(NEXT) | instid1(VALU_DEP_2)
	v_lshrrev_b64 v[12:13], 21, v[12:13]
	v_cmp_gt_i32_e32 vcc_lo, 32, v18
	v_min_i32_e32 v19, 31, v18
	v_cmp_eq_u32_e64 s13, 0, v18
	s_delay_alu instid0(VALU_DEP_2) | instskip(SKIP_1) | instid1(VALU_DEP_2)
	v_dual_cndmask_b32 v13, 0, v13, vcc_lo :: v_dual_lshlrev_b32 v19, 2, v19
	v_cndmask_b32_e32 v12, 3, v12, vcc_lo
	v_and_b32_e32 v19, 0xfc, v19
	s_delay_alu instid0(VALU_DEP_2) | instskip(NEXT) | instid1(VALU_DEP_2)
	v_cmp_eq_u64_e32 vcc_lo, 0, v[12:13]
	v_and_or_b32 v12, v12, 3, v19
	s_and_b32 s13, s13, vcc_lo
	s_delay_alu instid0(VALU_DEP_1) | instid1(SALU_CYCLE_1)
	v_cndmask_b32_e64 v12, v12, 0, s13
	s_delay_alu instid0(VALU_DEP_1)
	v_or_b32_e32 v34, v12, v22
.LBB6_11138:                            ;   in Loop: Header=BB6_9788 Depth=3
	s_or_b32 exec_lo, exec_lo, s72
                                        ; implicit-def: $vgpr22
.LBB6_11139:                            ;   in Loop: Header=BB6_9788 Depth=3
	s_and_not1_saveexec_b32 s13, s43
; %bb.11140:                            ;   in Loop: Header=BB6_9788 Depth=3
	v_or_b32_e32 v34, 0x7b, v22
; %bb.11141:                            ;   in Loop: Header=BB6_9788 Depth=3
	s_or_b32 exec_lo, exec_lo, s13
                                        ; implicit-def: $vgpr18
                                        ; implicit-def: $vgpr12_vgpr13
                                        ; implicit-def: $vgpr19
.LBB6_11142:                            ;   in Loop: Header=BB6_9788 Depth=3
	s_and_not1_saveexec_b32 s13, s42
	s_cbranch_execz .LBB6_11148
; %bb.11143:                            ;   in Loop: Header=BB6_9788 Depth=3
	s_mov_b32 s42, exec_lo
                                        ; implicit-def: $vgpr34
	v_cmpx_ne_u64_e32 0, v[12:13]
	s_xor_b32 s42, exec_lo, s42
; %bb.11144:                            ;   in Loop: Header=BB6_9788 Depth=3
	v_or_b32_e32 v34, 0x7f, v19
                                        ; implicit-def: $vgpr18
; %bb.11145:                            ;   in Loop: Header=BB6_9788 Depth=3
	s_and_not1_saveexec_b32 s42, s42
; %bb.11146:                            ;   in Loop: Header=BB6_9788 Depth=3
	v_cmp_lt_i32_e32 vcc_lo, -1, v18
	v_mov_b32_e32 v12, 0x7c
	s_delay_alu instid0(VALU_DEP_1)
	v_cndmask_b32_e32 v34, 0xfc, v12, vcc_lo
; %bb.11147:                            ;   in Loop: Header=BB6_9788 Depth=3
	s_or_b32 exec_lo, exec_lo, s42
.LBB6_11148:                            ;   in Loop: Header=BB6_9788 Depth=3
	s_delay_alu instid0(SALU_CYCLE_1) | instskip(SKIP_3) | instid1(VALU_DEP_2)
	s_or_b32 exec_lo, exec_lo, s13
	v_dual_mov_b32 v13, 0 :: v_dual_lshrrev_b32 v12, 16, v14
	v_mov_b32_e32 v18, 0
	s_mov_b32 s42, exec_lo
	v_and_b32_e32 v19, 0xff, v12
	s_delay_alu instid0(VALU_DEP_1)
	v_cmpx_ne_u16_e32 0, v19
	s_cbranch_execz .LBB6_11158
; %bb.11149:                            ;   in Loop: Header=BB6_9788 Depth=3
	v_bfrev_b32_e32 v18, 1
	s_mov_b32 s43, exec_lo
	v_cmpx_ne_u16_e32 0x80, v19
	s_cbranch_execz .LBB6_11157
; %bb.11150:                            ;   in Loop: Header=BB6_9788 Depth=3
	v_and_b32_e32 v18, 0x7c0000, v14
	v_bfe_u32 v19, v14, 16, 2
	s_delay_alu instid0(VALU_DEP_2) | instskip(SKIP_1) | instid1(SALU_CYCLE_1)
	v_cmp_ne_u32_e32 vcc_lo, 0x7c0000, v18
                                        ; implicit-def: $vgpr18
	s_and_saveexec_b32 s13, vcc_lo
	s_xor_b32 s13, exec_lo, s13
	s_cbranch_execz .LBB6_11154
; %bb.11151:                            ;   in Loop: Header=BB6_9788 Depth=3
	v_bfe_u32 v18, v14, 18, 5
	s_mov_b32 s72, exec_lo
	s_delay_alu instid0(VALU_DEP_1)
	v_cmpx_eq_u32_e32 0, v18
; %bb.11152:                            ;   in Loop: Header=BB6_9788 Depth=3
	v_clz_i32_u32_e32 v18, v19
	s_delay_alu instid0(VALU_DEP_1) | instskip(NEXT) | instid1(VALU_DEP_1)
	v_min_u32_e32 v18, 32, v18
	v_subrev_nc_u32_e32 v19, 29, v18
	v_sub_nc_u32_e32 v18, 30, v18
	s_delay_alu instid0(VALU_DEP_2) | instskip(NEXT) | instid1(VALU_DEP_1)
	v_lshlrev_b64_e32 v[22:23], v19, v[12:13]
	v_and_b32_e32 v19, 3, v22
; %bb.11153:                            ;   in Loop: Header=BB6_9788 Depth=3
	s_or_b32 exec_lo, exec_lo, s72
	v_lshlrev_b32_e32 v12, 24, v12
	s_delay_alu instid0(VALU_DEP_1) | instskip(NEXT) | instid1(VALU_DEP_1)
	v_and_b32_e32 v12, 0x80000000, v12
	v_lshl_add_u32 v12, v18, 23, v12
	s_delay_alu instid0(VALU_DEP_1) | instskip(NEXT) | instid1(VALU_DEP_1)
	v_lshl_or_b32 v12, v19, 21, v12
                                        ; implicit-def: $vgpr19
	v_add_nc_u32_e32 v18, 0x38000000, v12
                                        ; implicit-def: $vgpr12
.LBB6_11154:                            ;   in Loop: Header=BB6_9788 Depth=3
	s_and_not1_saveexec_b32 s72, s13
; %bb.11155:                            ;   in Loop: Header=BB6_9788 Depth=3
	v_bfe_i32 v12, v12, 0, 8
	v_cmp_eq_u32_e32 vcc_lo, 0, v19
	s_delay_alu instid0(VALU_DEP_2) | instskip(SKIP_1) | instid1(VALU_DEP_1)
	v_cmp_lt_i16_e64 s13, -1, v12
	v_mov_b32_e32 v12, 0x7f800000
	v_cndmask_b32_e64 v12, 0xff800000, v12, s13
	s_delay_alu instid0(VALU_DEP_1)
	v_cndmask_b32_e32 v18, 0x7f800001, v12, vcc_lo
; %bb.11156:                            ;   in Loop: Header=BB6_9788 Depth=3
	s_or_b32 exec_lo, exec_lo, s72
.LBB6_11157:                            ;   in Loop: Header=BB6_9788 Depth=3
	s_delay_alu instid0(SALU_CYCLE_1)
	s_or_b32 exec_lo, exec_lo, s43
.LBB6_11158:                            ;   in Loop: Header=BB6_9788 Depth=3
	s_delay_alu instid0(SALU_CYCLE_1) | instskip(SKIP_2) | instid1(VALU_DEP_1)
	s_or_b32 exec_lo, exec_lo, s42
	v_lshrrev_b32_e32 v12, 16, v4
	s_mov_b32 s42, exec_lo
	v_and_b32_e32 v19, 0xff, v12
	s_delay_alu instid0(VALU_DEP_1)
	v_cmpx_ne_u16_e32 0, v19
	s_cbranch_execz .LBB6_11168
; %bb.11159:                            ;   in Loop: Header=BB6_9788 Depth=3
	v_bfrev_b32_e32 v13, 1
	s_mov_b32 s43, exec_lo
	v_cmpx_ne_u16_e32 0x80, v19
	s_cbranch_execz .LBB6_11167
; %bb.11160:                            ;   in Loop: Header=BB6_9788 Depth=3
	v_and_b32_e32 v13, 0x7c0000, v4
	v_bfe_u32 v19, v4, 16, 2
	s_delay_alu instid0(VALU_DEP_2) | instskip(SKIP_1) | instid1(SALU_CYCLE_1)
	v_cmp_ne_u32_e32 vcc_lo, 0x7c0000, v13
                                        ; implicit-def: $vgpr13
	s_and_saveexec_b32 s13, vcc_lo
	s_xor_b32 s13, exec_lo, s13
	s_cbranch_execz .LBB6_11164
; %bb.11161:                            ;   in Loop: Header=BB6_9788 Depth=3
	v_bfe_u32 v13, v4, 18, 5
	s_mov_b32 s72, exec_lo
	s_delay_alu instid0(VALU_DEP_1)
	v_cmpx_eq_u32_e32 0, v13
; %bb.11162:                            ;   in Loop: Header=BB6_9788 Depth=3
	v_clz_i32_u32_e32 v13, v19
	s_delay_alu instid0(VALU_DEP_1) | instskip(NEXT) | instid1(VALU_DEP_1)
	v_min_u32_e32 v13, 32, v13
	v_subrev_nc_u32_e32 v19, 29, v13
	s_delay_alu instid0(VALU_DEP_1) | instskip(NEXT) | instid1(VALU_DEP_1)
	v_lshlrev_b64_e32 v[22:23], v19, v[12:13]
	v_dual_sub_nc_u32 v13, 30, v13 :: v_dual_bitop2_b32 v19, 3, v22 bitop3:0x40
; %bb.11163:                            ;   in Loop: Header=BB6_9788 Depth=3
	s_or_b32 exec_lo, exec_lo, s72
	v_lshlrev_b32_e32 v12, 24, v12
	s_delay_alu instid0(VALU_DEP_1) | instskip(NEXT) | instid1(VALU_DEP_1)
	v_and_b32_e32 v12, 0x80000000, v12
	v_lshl_add_u32 v12, v13, 23, v12
	s_delay_alu instid0(VALU_DEP_1) | instskip(NEXT) | instid1(VALU_DEP_1)
	v_lshl_or_b32 v12, v19, 21, v12
                                        ; implicit-def: $vgpr19
	v_add_nc_u32_e32 v13, 0x38000000, v12
                                        ; implicit-def: $vgpr12
.LBB6_11164:                            ;   in Loop: Header=BB6_9788 Depth=3
	s_and_not1_saveexec_b32 s72, s13
; %bb.11165:                            ;   in Loop: Header=BB6_9788 Depth=3
	v_bfe_i32 v12, v12, 0, 8
	v_cmp_eq_u32_e32 vcc_lo, 0, v19
	s_delay_alu instid0(VALU_DEP_2) | instskip(SKIP_1) | instid1(VALU_DEP_1)
	v_cmp_lt_i16_e64 s13, -1, v12
	v_mov_b32_e32 v12, 0x7f800000
	v_cndmask_b32_e64 v12, 0xff800000, v12, s13
	s_delay_alu instid0(VALU_DEP_1)
	v_cndmask_b32_e32 v13, 0x7f800001, v12, vcc_lo
; %bb.11166:                            ;   in Loop: Header=BB6_9788 Depth=3
	s_or_b32 exec_lo, exec_lo, s72
.LBB6_11167:                            ;   in Loop: Header=BB6_9788 Depth=3
	s_delay_alu instid0(SALU_CYCLE_1)
	s_or_b32 exec_lo, exec_lo, s43
.LBB6_11168:                            ;   in Loop: Header=BB6_9788 Depth=3
	s_delay_alu instid0(SALU_CYCLE_1) | instskip(NEXT) | instid1(VALU_DEP_1)
	s_or_b32 exec_lo, exec_lo, s42
	v_dual_mul_f32 v18, v18, v13 :: v_dual_mov_b32 v23, v21
	v_mov_b32_e32 v13, v21
                                        ; implicit-def: $vgpr35
	s_mov_b32 s13, exec_lo
	s_delay_alu instid0(VALU_DEP_2) | instskip(SKIP_2) | instid1(VALU_DEP_3)
	v_and_b32_e32 v22, 0x7f800000, v18
	v_and_b32_e32 v12, 0x7fffff, v18
	v_lshrrev_b32_e32 v19, 24, v18
	v_cmpx_ne_u64_e32 0x7f800000, v[22:23]
	s_xor_b32 s42, exec_lo, s13
	s_cbranch_execz .LBB6_11182
; %bb.11169:                            ;   in Loop: Header=BB6_9788 Depth=3
	v_and_b32_e32 v22, 0x7fffffff, v18
	v_mov_b32_e32 v23, v21
                                        ; implicit-def: $vgpr35
	s_delay_alu instid0(VALU_DEP_1) | instskip(SKIP_2) | instid1(SALU_CYCLE_1)
	v_cmp_gt_u64_e32 vcc_lo, 0x47600001, v[22:23]
	v_and_b32_e32 v22, 0x80, v19
	s_and_saveexec_b32 s13, vcc_lo
	s_xor_b32 s43, exec_lo, s13
	s_cbranch_execz .LBB6_11179
; %bb.11170:                            ;   in Loop: Header=BB6_9788 Depth=3
	v_mov_b32_e32 v35, 0
	s_mov_b32 s72, exec_lo
	v_cmpx_ne_u32_e32 0, v18
	s_cbranch_execz .LBB6_11178
; %bb.11171:                            ;   in Loop: Header=BB6_9788 Depth=3
	v_bfe_u32 v23, v18, 23, 8
	v_or_b32_e32 v19, 0x800000, v12
	s_delay_alu instid0(VALU_DEP_2) | instskip(SKIP_2) | instid1(VALU_DEP_2)
	v_cmp_gt_u32_e64 s13, 0x72, v23
	v_sub_nc_u32_e32 v18, 0x71, v23
	v_cmp_eq_u32_e32 vcc_lo, 0, v23
	v_dual_cndmask_b32 v18, 0, v18, s13 :: v_dual_cndmask_b32 v12, v19, v12, vcc_lo
	s_delay_alu instid0(VALU_DEP_1) | instskip(NEXT) | instid1(VALU_DEP_1)
	v_cndmask_b32_e64 v35, v18, 0x70, vcc_lo
	v_dual_add_nc_u32 v18, 21, v35 :: v_dual_add_nc_u32 v84, 20, v35
	s_delay_alu instid0(VALU_DEP_1) | instskip(NEXT) | instid1(VALU_DEP_2)
	v_lshlrev_b64_e64 v[18:19], v18, -1
	v_lshlrev_b64_e64 v[84:85], v84, 1
	s_delay_alu instid0(VALU_DEP_2) | instskip(SKIP_1) | instid1(VALU_DEP_4)
	v_bfi_b32 v18, v18, 0, v12
	v_lshrrev_b64 v[12:13], v35, v[12:13]
	v_bfi_b32 v19, v19, 0, 0
	s_delay_alu instid0(VALU_DEP_1) | instskip(NEXT) | instid1(VALU_DEP_3)
	v_cmp_eq_u64_e64 s13, v[18:19], v[84:85]
	v_mov_b64_e32 v[18:19], v[12:13]
	s_and_saveexec_b32 s73, s13
; %bb.11172:                            ;   in Loop: Header=BB6_9788 Depth=3
	v_bfe_u32 v18, v12, 21, 1
	v_mov_b32_e32 v19, v21
	s_delay_alu instid0(VALU_DEP_1) | instskip(NEXT) | instid1(VALU_DEP_1)
	v_add_nc_u64_e32 v[18:19], v[12:13], v[18:19]
	v_add_nc_u64_e32 v[18:19], -1, v[18:19]
; %bb.11173:                            ;   in Loop: Header=BB6_9788 Depth=3
	s_or_b32 exec_lo, exec_lo, s73
	v_add_nc_u32_e32 v13, 0xffffff81, v23
	v_lshrrev_b32_e32 v19, 23, v12
	s_mov_b32 s13, exec_lo
	s_delay_alu instid0(VALU_DEP_2) | instskip(NEXT) | instid1(VALU_DEP_1)
	v_cndmask_b32_e64 v13, v13, 0xffffff82, vcc_lo
	v_add3_u32 v23, v35, v13, v19
	v_and_b32_e32 v13, 0x1fffff, v18
                                        ; implicit-def: $vgpr18
	s_delay_alu instid0(VALU_DEP_1) | instskip(SKIP_1) | instid1(VALU_DEP_2)
	v_dual_add_nc_u32 v19, 14, v23 :: v_dual_add_nc_u32 v12, v13, v12
	v_mov_b32_e32 v13, v21
	v_cmpx_ne_u32_e32 0, v19
	s_xor_b32 s13, exec_lo, s13
; %bb.11174:                            ;   in Loop: Header=BB6_9788 Depth=3
	s_delay_alu instid0(VALU_DEP_2) | instskip(SKIP_1) | instid1(VALU_DEP_1)
	v_cmp_lt_u64_e32 vcc_lo, 0xffffff, v[12:13]
	v_add_nc_u32_e32 v18, 15, v23
	v_cndmask_b32_e32 v18, v19, v18, vcc_lo
	v_cndmask_b32_e64 v19, 0, 1, vcc_lo
	s_delay_alu instid0(VALU_DEP_1)
	v_lshrrev_b64 v[12:13], v19, v[12:13]
; %bb.11175:                            ;   in Loop: Header=BB6_9788 Depth=3
	s_and_not1_saveexec_b32 s13, s13
; %bb.11176:                            ;   in Loop: Header=BB6_9788 Depth=3
	s_delay_alu instid0(VALU_DEP_1)
	v_bfe_u32 v18, v12, 23, 1
; %bb.11177:                            ;   in Loop: Header=BB6_9788 Depth=3
	s_or_b32 exec_lo, exec_lo, s13
	s_delay_alu instid0(VALU_DEP_2) | instskip(NEXT) | instid1(VALU_DEP_2)
	v_lshrrev_b64 v[12:13], 21, v[12:13]
	v_cmp_gt_i32_e32 vcc_lo, 32, v18
	v_min_i32_e32 v19, 31, v18
	v_cmp_eq_u32_e64 s13, 0, v18
	s_delay_alu instid0(VALU_DEP_2) | instskip(SKIP_1) | instid1(VALU_DEP_2)
	v_dual_cndmask_b32 v13, 0, v13, vcc_lo :: v_dual_lshlrev_b32 v19, 2, v19
	v_cndmask_b32_e32 v12, 3, v12, vcc_lo
	v_and_b32_e32 v19, 0xfc, v19
	s_delay_alu instid0(VALU_DEP_2) | instskip(NEXT) | instid1(VALU_DEP_2)
	v_cmp_eq_u64_e32 vcc_lo, 0, v[12:13]
	v_and_or_b32 v12, v12, 3, v19
	s_and_b32 s13, s13, vcc_lo
	s_delay_alu instid0(VALU_DEP_1) | instid1(SALU_CYCLE_1)
	v_cndmask_b32_e64 v12, v12, 0, s13
	s_delay_alu instid0(VALU_DEP_1)
	v_or_b32_e32 v35, v12, v22
.LBB6_11178:                            ;   in Loop: Header=BB6_9788 Depth=3
	s_or_b32 exec_lo, exec_lo, s72
                                        ; implicit-def: $vgpr22
.LBB6_11179:                            ;   in Loop: Header=BB6_9788 Depth=3
	s_and_not1_saveexec_b32 s13, s43
; %bb.11180:                            ;   in Loop: Header=BB6_9788 Depth=3
	v_or_b32_e32 v35, 0x7b, v22
; %bb.11181:                            ;   in Loop: Header=BB6_9788 Depth=3
	s_or_b32 exec_lo, exec_lo, s13
                                        ; implicit-def: $vgpr18
                                        ; implicit-def: $vgpr12_vgpr13
                                        ; implicit-def: $vgpr19
.LBB6_11182:                            ;   in Loop: Header=BB6_9788 Depth=3
	s_and_not1_saveexec_b32 s13, s42
	s_cbranch_execz .LBB6_11188
; %bb.11183:                            ;   in Loop: Header=BB6_9788 Depth=3
	s_mov_b32 s42, exec_lo
                                        ; implicit-def: $vgpr35
	v_cmpx_ne_u64_e32 0, v[12:13]
	s_xor_b32 s42, exec_lo, s42
; %bb.11184:                            ;   in Loop: Header=BB6_9788 Depth=3
	v_or_b32_e32 v35, 0x7f, v19
                                        ; implicit-def: $vgpr18
; %bb.11185:                            ;   in Loop: Header=BB6_9788 Depth=3
	s_and_not1_saveexec_b32 s42, s42
; %bb.11186:                            ;   in Loop: Header=BB6_9788 Depth=3
	v_cmp_lt_i32_e32 vcc_lo, -1, v18
	v_mov_b32_e32 v12, 0x7c
	s_delay_alu instid0(VALU_DEP_1)
	v_cndmask_b32_e32 v35, 0xfc, v12, vcc_lo
; %bb.11187:                            ;   in Loop: Header=BB6_9788 Depth=3
	s_or_b32 exec_lo, exec_lo, s42
.LBB6_11188:                            ;   in Loop: Header=BB6_9788 Depth=3
	s_delay_alu instid0(SALU_CYCLE_1)
	s_or_b32 exec_lo, exec_lo, s13
	v_dual_mov_b32 v13, 0 :: v_dual_mov_b32 v18, 0
	s_mov_b32 s42, exec_lo
	v_cmpx_lt_u32_e32 0xffffff, v14
	s_cbranch_execz .LBB6_11198
; %bb.11189:                            ;   in Loop: Header=BB6_9788 Depth=3
	v_lshrrev_b32_e32 v12, 24, v14
	v_bfrev_b32_e32 v18, 1
	s_mov_b32 s43, exec_lo
	s_delay_alu instid0(VALU_DEP_2)
	v_cmpx_ne_u32_e32 0x80, v12
	s_cbranch_execz .LBB6_11197
; %bb.11190:                            ;   in Loop: Header=BB6_9788 Depth=3
	v_and_b32_e32 v18, 0x7c000000, v14
	v_bfe_u32 v19, v14, 24, 2
	s_delay_alu instid0(VALU_DEP_2) | instskip(SKIP_1) | instid1(SALU_CYCLE_1)
	v_cmp_ne_u32_e32 vcc_lo, 0x7c000000, v18
                                        ; implicit-def: $vgpr18
	s_and_saveexec_b32 s13, vcc_lo
	s_xor_b32 s13, exec_lo, s13
	s_cbranch_execz .LBB6_11194
; %bb.11191:                            ;   in Loop: Header=BB6_9788 Depth=3
	v_bfe_u32 v18, v14, 26, 5
	s_mov_b32 s72, exec_lo
	s_delay_alu instid0(VALU_DEP_1)
	v_cmpx_eq_u32_e32 0, v18
; %bb.11192:                            ;   in Loop: Header=BB6_9788 Depth=3
	v_clz_i32_u32_e32 v18, v19
	s_delay_alu instid0(VALU_DEP_1) | instskip(NEXT) | instid1(VALU_DEP_1)
	v_min_u32_e32 v18, 32, v18
	v_subrev_nc_u32_e32 v19, 29, v18
	v_sub_nc_u32_e32 v18, 30, v18
	s_delay_alu instid0(VALU_DEP_2) | instskip(NEXT) | instid1(VALU_DEP_1)
	v_lshlrev_b64_e32 v[22:23], v19, v[12:13]
	v_and_b32_e32 v19, 3, v22
; %bb.11193:                            ;   in Loop: Header=BB6_9788 Depth=3
	s_or_b32 exec_lo, exec_lo, s72
	v_and_b32_e32 v12, 0x80000000, v14
	s_delay_alu instid0(VALU_DEP_1) | instskip(NEXT) | instid1(VALU_DEP_1)
	v_lshl_add_u32 v12, v18, 23, v12
	v_lshl_or_b32 v12, v19, 21, v12
                                        ; implicit-def: $vgpr19
	s_delay_alu instid0(VALU_DEP_1)
	v_add_nc_u32_e32 v18, 0x38000000, v12
.LBB6_11194:                            ;   in Loop: Header=BB6_9788 Depth=3
	s_and_not1_saveexec_b32 s72, s13
; %bb.11195:                            ;   in Loop: Header=BB6_9788 Depth=3
	v_cmp_lt_i32_e64 s13, -1, v14
	v_mov_b32_e32 v12, 0x7f800000
	v_cmp_eq_u32_e32 vcc_lo, 0, v19
	s_delay_alu instid0(VALU_DEP_2) | instskip(NEXT) | instid1(VALU_DEP_1)
	v_cndmask_b32_e64 v12, 0xff800000, v12, s13
	v_cndmask_b32_e32 v18, 0x7f800001, v12, vcc_lo
; %bb.11196:                            ;   in Loop: Header=BB6_9788 Depth=3
	s_or_b32 exec_lo, exec_lo, s72
.LBB6_11197:                            ;   in Loop: Header=BB6_9788 Depth=3
	s_delay_alu instid0(SALU_CYCLE_1)
	s_or_b32 exec_lo, exec_lo, s43
.LBB6_11198:                            ;   in Loop: Header=BB6_9788 Depth=3
	s_delay_alu instid0(SALU_CYCLE_1) | instskip(NEXT) | instid1(SALU_CYCLE_1)
	s_or_b32 exec_lo, exec_lo, s42
	s_mov_b32 s42, exec_lo
	v_cmpx_lt_u32_e32 0xffffff, v4
	s_cbranch_execz .LBB6_11208
; %bb.11199:                            ;   in Loop: Header=BB6_9788 Depth=3
	v_lshrrev_b32_e32 v12, 24, v4
	v_bfrev_b32_e32 v13, 1
	s_mov_b32 s43, exec_lo
	s_delay_alu instid0(VALU_DEP_2)
	v_cmpx_ne_u32_e32 0x80, v12
	s_cbranch_execz .LBB6_11207
; %bb.11200:                            ;   in Loop: Header=BB6_9788 Depth=3
	v_and_b32_e32 v13, 0x7c000000, v4
	v_bfe_u32 v19, v4, 24, 2
	s_delay_alu instid0(VALU_DEP_2) | instskip(SKIP_1) | instid1(SALU_CYCLE_1)
	v_cmp_ne_u32_e32 vcc_lo, 0x7c000000, v13
                                        ; implicit-def: $vgpr13
	s_and_saveexec_b32 s13, vcc_lo
	s_xor_b32 s13, exec_lo, s13
	s_cbranch_execz .LBB6_11204
; %bb.11201:                            ;   in Loop: Header=BB6_9788 Depth=3
	v_bfe_u32 v13, v4, 26, 5
	s_mov_b32 s72, exec_lo
	s_delay_alu instid0(VALU_DEP_1)
	v_cmpx_eq_u32_e32 0, v13
; %bb.11202:                            ;   in Loop: Header=BB6_9788 Depth=3
	v_clz_i32_u32_e32 v13, v19
	s_delay_alu instid0(VALU_DEP_1) | instskip(NEXT) | instid1(VALU_DEP_1)
	v_min_u32_e32 v19, 32, v13
	v_subrev_nc_u32_e32 v13, 29, v19
	s_delay_alu instid0(VALU_DEP_1) | instskip(NEXT) | instid1(VALU_DEP_1)
	v_lshlrev_b64_e32 v[12:13], v13, v[12:13]
	v_dual_sub_nc_u32 v13, 30, v19 :: v_dual_bitop2_b32 v19, 3, v12 bitop3:0x40
; %bb.11203:                            ;   in Loop: Header=BB6_9788 Depth=3
	s_or_b32 exec_lo, exec_lo, s72
	v_and_b32_e32 v12, 0x80000000, v4
	s_delay_alu instid0(VALU_DEP_1) | instskip(NEXT) | instid1(VALU_DEP_1)
	v_lshl_add_u32 v12, v13, 23, v12
	v_lshl_or_b32 v12, v19, 21, v12
                                        ; implicit-def: $vgpr19
	s_delay_alu instid0(VALU_DEP_1)
	v_add_nc_u32_e32 v13, 0x38000000, v12
.LBB6_11204:                            ;   in Loop: Header=BB6_9788 Depth=3
	s_and_not1_saveexec_b32 s72, s13
; %bb.11205:                            ;   in Loop: Header=BB6_9788 Depth=3
	v_cmp_lt_i32_e64 s13, -1, v4
	v_mov_b32_e32 v12, 0x7f800000
	v_cmp_eq_u32_e32 vcc_lo, 0, v19
	s_delay_alu instid0(VALU_DEP_2) | instskip(NEXT) | instid1(VALU_DEP_1)
	v_cndmask_b32_e64 v12, 0xff800000, v12, s13
	v_cndmask_b32_e32 v13, 0x7f800001, v12, vcc_lo
; %bb.11206:                            ;   in Loop: Header=BB6_9788 Depth=3
	s_or_b32 exec_lo, exec_lo, s72
.LBB6_11207:                            ;   in Loop: Header=BB6_9788 Depth=3
	s_delay_alu instid0(SALU_CYCLE_1)
	s_or_b32 exec_lo, exec_lo, s43
.LBB6_11208:                            ;   in Loop: Header=BB6_9788 Depth=3
	s_delay_alu instid0(SALU_CYCLE_1) | instskip(NEXT) | instid1(VALU_DEP_1)
	s_or_b32 exec_lo, exec_lo, s42
	v_dual_mul_f32 v18, v18, v13 :: v_dual_mov_b32 v23, v21
	v_mov_b32_e32 v13, v21
                                        ; implicit-def: $vgpr84
	s_mov_b32 s13, exec_lo
	s_delay_alu instid0(VALU_DEP_2) | instskip(SKIP_2) | instid1(VALU_DEP_3)
	v_and_b32_e32 v22, 0x7f800000, v18
	v_and_b32_e32 v12, 0x7fffff, v18
	v_lshrrev_b32_e32 v19, 24, v18
	v_cmpx_ne_u64_e32 0x7f800000, v[22:23]
	s_xor_b32 s42, exec_lo, s13
	s_cbranch_execz .LBB6_11222
; %bb.11209:                            ;   in Loop: Header=BB6_9788 Depth=3
	v_and_b32_e32 v22, 0x7fffffff, v18
	v_mov_b32_e32 v23, v21
                                        ; implicit-def: $vgpr84
	s_delay_alu instid0(VALU_DEP_1) | instskip(SKIP_2) | instid1(SALU_CYCLE_1)
	v_cmp_gt_u64_e32 vcc_lo, 0x47600001, v[22:23]
	v_and_b32_e32 v22, 0x80, v19
	s_and_saveexec_b32 s13, vcc_lo
	s_xor_b32 s43, exec_lo, s13
	s_cbranch_execz .LBB6_11219
; %bb.11210:                            ;   in Loop: Header=BB6_9788 Depth=3
	v_mov_b32_e32 v84, 0
	s_mov_b32 s72, exec_lo
	v_cmpx_ne_u32_e32 0, v18
	s_cbranch_execz .LBB6_11218
; %bb.11211:                            ;   in Loop: Header=BB6_9788 Depth=3
	v_bfe_u32 v23, v18, 23, 8
	v_or_b32_e32 v19, 0x800000, v12
	s_delay_alu instid0(VALU_DEP_2) | instskip(SKIP_2) | instid1(VALU_DEP_2)
	v_cmp_gt_u32_e64 s13, 0x72, v23
	v_sub_nc_u32_e32 v18, 0x71, v23
	v_cmp_eq_u32_e32 vcc_lo, 0, v23
	v_dual_cndmask_b32 v18, 0, v18, s13 :: v_dual_cndmask_b32 v12, v19, v12, vcc_lo
	s_delay_alu instid0(VALU_DEP_1) | instskip(NEXT) | instid1(VALU_DEP_1)
	v_cndmask_b32_e64 v84, v18, 0x70, vcc_lo
	v_dual_add_nc_u32 v18, 21, v84 :: v_dual_add_nc_u32 v85, 20, v84
	s_delay_alu instid0(VALU_DEP_1) | instskip(NEXT) | instid1(VALU_DEP_2)
	v_lshlrev_b64_e64 v[18:19], v18, -1
	v_lshlrev_b64_e64 v[86:87], v85, 1
	s_delay_alu instid0(VALU_DEP_2) | instskip(SKIP_1) | instid1(VALU_DEP_4)
	v_bfi_b32 v18, v18, 0, v12
	v_lshrrev_b64 v[12:13], v84, v[12:13]
	v_bfi_b32 v19, v19, 0, 0
	s_delay_alu instid0(VALU_DEP_1) | instskip(NEXT) | instid1(VALU_DEP_3)
	v_cmp_eq_u64_e64 s13, v[18:19], v[86:87]
	v_mov_b64_e32 v[18:19], v[12:13]
	s_and_saveexec_b32 s73, s13
; %bb.11212:                            ;   in Loop: Header=BB6_9788 Depth=3
	v_bfe_u32 v18, v12, 21, 1
	v_mov_b32_e32 v19, v21
	s_delay_alu instid0(VALU_DEP_1) | instskip(NEXT) | instid1(VALU_DEP_1)
	v_add_nc_u64_e32 v[18:19], v[12:13], v[18:19]
	v_add_nc_u64_e32 v[18:19], -1, v[18:19]
; %bb.11213:                            ;   in Loop: Header=BB6_9788 Depth=3
	s_or_b32 exec_lo, exec_lo, s73
	v_add_nc_u32_e32 v13, 0xffffff81, v23
	v_lshrrev_b32_e32 v19, 23, v12
	s_mov_b32 s13, exec_lo
	s_delay_alu instid0(VALU_DEP_2) | instskip(NEXT) | instid1(VALU_DEP_1)
	v_cndmask_b32_e64 v13, v13, 0xffffff82, vcc_lo
	v_add3_u32 v23, v84, v13, v19
	v_and_b32_e32 v13, 0x1fffff, v18
                                        ; implicit-def: $vgpr18
	s_delay_alu instid0(VALU_DEP_1) | instskip(SKIP_1) | instid1(VALU_DEP_2)
	v_dual_add_nc_u32 v19, 14, v23 :: v_dual_add_nc_u32 v12, v13, v12
	v_mov_b32_e32 v13, v21
	v_cmpx_ne_u32_e32 0, v19
	s_xor_b32 s13, exec_lo, s13
; %bb.11214:                            ;   in Loop: Header=BB6_9788 Depth=3
	s_delay_alu instid0(VALU_DEP_2) | instskip(SKIP_1) | instid1(VALU_DEP_1)
	v_cmp_lt_u64_e32 vcc_lo, 0xffffff, v[12:13]
	v_add_nc_u32_e32 v18, 15, v23
	v_cndmask_b32_e32 v18, v19, v18, vcc_lo
	v_cndmask_b32_e64 v19, 0, 1, vcc_lo
	s_delay_alu instid0(VALU_DEP_1)
	v_lshrrev_b64 v[12:13], v19, v[12:13]
; %bb.11215:                            ;   in Loop: Header=BB6_9788 Depth=3
	s_and_not1_saveexec_b32 s13, s13
; %bb.11216:                            ;   in Loop: Header=BB6_9788 Depth=3
	s_delay_alu instid0(VALU_DEP_1)
	v_bfe_u32 v18, v12, 23, 1
; %bb.11217:                            ;   in Loop: Header=BB6_9788 Depth=3
	s_or_b32 exec_lo, exec_lo, s13
	s_delay_alu instid0(VALU_DEP_2) | instskip(NEXT) | instid1(VALU_DEP_2)
	v_lshrrev_b64 v[12:13], 21, v[12:13]
	v_cmp_gt_i32_e32 vcc_lo, 32, v18
	v_min_i32_e32 v19, 31, v18
	v_cmp_eq_u32_e64 s13, 0, v18
	s_delay_alu instid0(VALU_DEP_2) | instskip(SKIP_1) | instid1(VALU_DEP_2)
	v_dual_cndmask_b32 v13, 0, v13, vcc_lo :: v_dual_lshlrev_b32 v19, 2, v19
	v_cndmask_b32_e32 v12, 3, v12, vcc_lo
	v_and_b32_e32 v19, 0xfc, v19
	s_delay_alu instid0(VALU_DEP_2) | instskip(NEXT) | instid1(VALU_DEP_2)
	v_cmp_eq_u64_e32 vcc_lo, 0, v[12:13]
	v_and_or_b32 v12, v12, 3, v19
	s_and_b32 s13, s13, vcc_lo
	s_delay_alu instid0(VALU_DEP_1) | instid1(SALU_CYCLE_1)
	v_cndmask_b32_e64 v12, v12, 0, s13
	s_delay_alu instid0(VALU_DEP_1)
	v_or_b32_e32 v84, v12, v22
.LBB6_11218:                            ;   in Loop: Header=BB6_9788 Depth=3
	s_or_b32 exec_lo, exec_lo, s72
                                        ; implicit-def: $vgpr22
.LBB6_11219:                            ;   in Loop: Header=BB6_9788 Depth=3
	s_and_not1_saveexec_b32 s13, s43
; %bb.11220:                            ;   in Loop: Header=BB6_9788 Depth=3
	v_or_b32_e32 v84, 0x7b, v22
; %bb.11221:                            ;   in Loop: Header=BB6_9788 Depth=3
	s_or_b32 exec_lo, exec_lo, s13
                                        ; implicit-def: $vgpr18
                                        ; implicit-def: $vgpr12_vgpr13
                                        ; implicit-def: $vgpr19
.LBB6_11222:                            ;   in Loop: Header=BB6_9788 Depth=3
	s_and_not1_saveexec_b32 s13, s42
	s_cbranch_execz .LBB6_11228
; %bb.11223:                            ;   in Loop: Header=BB6_9788 Depth=3
	s_mov_b32 s42, exec_lo
                                        ; implicit-def: $vgpr84
	v_cmpx_ne_u64_e32 0, v[12:13]
	s_xor_b32 s42, exec_lo, s42
; %bb.11224:                            ;   in Loop: Header=BB6_9788 Depth=3
	v_or_b32_e32 v84, 0x7f, v19
                                        ; implicit-def: $vgpr18
; %bb.11225:                            ;   in Loop: Header=BB6_9788 Depth=3
	s_and_not1_saveexec_b32 s42, s42
; %bb.11226:                            ;   in Loop: Header=BB6_9788 Depth=3
	v_cmp_lt_i32_e32 vcc_lo, -1, v18
	v_mov_b32_e32 v12, 0x7c
	s_delay_alu instid0(VALU_DEP_1)
	v_cndmask_b32_e32 v84, 0xfc, v12, vcc_lo
; %bb.11227:                            ;   in Loop: Header=BB6_9788 Depth=3
	s_or_b32 exec_lo, exec_lo, s42
.LBB6_11228:                            ;   in Loop: Header=BB6_9788 Depth=3
	s_delay_alu instid0(SALU_CYCLE_1) | instskip(SKIP_4) | instid1(VALU_DEP_3)
	s_or_b32 exec_lo, exec_lo, s13
	v_and_b32_e32 v22, 0xff, v15
	v_dual_mov_b32 v12, v15 :: v_dual_mov_b32 v13, v21
	v_dual_mov_b32 v19, 0 :: v_dual_mov_b32 v18, 0
	s_mov_b32 s42, exec_lo
	v_cmpx_ne_u16_e32 0, v22
	s_cbranch_execz .LBB6_11238
; %bb.11229:                            ;   in Loop: Header=BB6_9788 Depth=3
	v_bfrev_b32_e32 v18, 1
	s_mov_b32 s43, exec_lo
	v_cmpx_ne_u16_e32 0x80, v22
	s_cbranch_execz .LBB6_11237
; %bb.11230:                            ;   in Loop: Header=BB6_9788 Depth=3
	v_and_b32_e32 v18, 0x7c, v15
	v_and_b32_e32 v22, 3, v15
	s_delay_alu instid0(VALU_DEP_2) | instskip(SKIP_1) | instid1(SALU_CYCLE_1)
	v_cmp_ne_u32_e32 vcc_lo, 0x7c, v18
                                        ; implicit-def: $vgpr18
	s_and_saveexec_b32 s13, vcc_lo
	s_xor_b32 s13, exec_lo, s13
	s_cbranch_execz .LBB6_11234
; %bb.11231:                            ;   in Loop: Header=BB6_9788 Depth=3
	v_bfe_u32 v18, v15, 2, 5
	s_mov_b32 s72, exec_lo
	s_delay_alu instid0(VALU_DEP_1)
	v_cmpx_eq_u32_e32 0, v18
; %bb.11232:                            ;   in Loop: Header=BB6_9788 Depth=3
	v_clz_i32_u32_e32 v18, v22
	s_delay_alu instid0(VALU_DEP_1) | instskip(NEXT) | instid1(VALU_DEP_1)
	v_min_u32_e32 v18, 32, v18
	v_subrev_nc_u32_e32 v22, 29, v18
	v_sub_nc_u32_e32 v18, 30, v18
	s_delay_alu instid0(VALU_DEP_2) | instskip(NEXT) | instid1(VALU_DEP_1)
	v_lshlrev_b64_e32 v[22:23], v22, v[12:13]
	v_and_b32_e32 v22, 3, v22
; %bb.11233:                            ;   in Loop: Header=BB6_9788 Depth=3
	s_or_b32 exec_lo, exec_lo, s72
	v_lshlrev_b32_e32 v13, 24, v15
	s_delay_alu instid0(VALU_DEP_1) | instskip(NEXT) | instid1(VALU_DEP_1)
	v_and_b32_e32 v13, 0x80000000, v13
	v_lshl_add_u32 v13, v18, 23, v13
	s_delay_alu instid0(VALU_DEP_1) | instskip(NEXT) | instid1(VALU_DEP_1)
	v_lshl_or_b32 v13, v22, 21, v13
                                        ; implicit-def: $vgpr22
	v_add_nc_u32_e32 v18, 0x38000000, v13
.LBB6_11234:                            ;   in Loop: Header=BB6_9788 Depth=3
	s_and_not1_saveexec_b32 s72, s13
; %bb.11235:                            ;   in Loop: Header=BB6_9788 Depth=3
	v_bfe_i32 v13, v15, 0, 8
	v_cmp_eq_u32_e32 vcc_lo, 0, v22
	s_delay_alu instid0(VALU_DEP_2) | instskip(SKIP_1) | instid1(VALU_DEP_1)
	v_cmp_lt_i16_e64 s13, -1, v13
	v_mov_b32_e32 v13, 0x7f800000
	v_cndmask_b32_e64 v13, 0xff800000, v13, s13
	s_delay_alu instid0(VALU_DEP_1)
	v_cndmask_b32_e32 v18, 0x7f800001, v13, vcc_lo
; %bb.11236:                            ;   in Loop: Header=BB6_9788 Depth=3
	s_or_b32 exec_lo, exec_lo, s72
.LBB6_11237:                            ;   in Loop: Header=BB6_9788 Depth=3
	s_delay_alu instid0(SALU_CYCLE_1)
	s_or_b32 exec_lo, exec_lo, s43
.LBB6_11238:                            ;   in Loop: Header=BB6_9788 Depth=3
	s_delay_alu instid0(SALU_CYCLE_1) | instskip(SKIP_2) | instid1(VALU_DEP_1)
	s_or_b32 exec_lo, exec_lo, s42
	v_and_b32_e32 v13, 0xff, v5
	s_mov_b32 s42, exec_lo
	v_cmpx_ne_u16_e32 0, v13
	s_cbranch_execz .LBB6_11248
; %bb.11239:                            ;   in Loop: Header=BB6_9788 Depth=3
	v_bfrev_b32_e32 v19, 1
	s_mov_b32 s43, exec_lo
	v_cmpx_ne_u16_e32 0x80, v13
	s_cbranch_execz .LBB6_11247
; %bb.11240:                            ;   in Loop: Header=BB6_9788 Depth=3
	v_and_b32_e32 v19, 0x7c, v5
	v_and_b32_e32 v13, 3, v5
	s_delay_alu instid0(VALU_DEP_2) | instskip(SKIP_1) | instid1(SALU_CYCLE_1)
	v_cmp_ne_u32_e32 vcc_lo, 0x7c, v19
                                        ; implicit-def: $vgpr19
	s_and_saveexec_b32 s13, vcc_lo
	s_xor_b32 s13, exec_lo, s13
	s_cbranch_execz .LBB6_11244
; %bb.11241:                            ;   in Loop: Header=BB6_9788 Depth=3
	v_bfe_u32 v19, v5, 2, 5
	s_mov_b32 s72, exec_lo
	s_delay_alu instid0(VALU_DEP_1)
	v_cmpx_eq_u32_e32 0, v19
; %bb.11242:                            ;   in Loop: Header=BB6_9788 Depth=3
	v_clz_i32_u32_e32 v13, v13
	v_dual_mov_b32 v22, v5 :: v_dual_mov_b32 v23, v21
	s_delay_alu instid0(VALU_DEP_2) | instskip(NEXT) | instid1(VALU_DEP_1)
	v_min_u32_e32 v13, 32, v13
	v_subrev_nc_u32_e32 v19, 29, v13
	s_delay_alu instid0(VALU_DEP_1) | instskip(NEXT) | instid1(VALU_DEP_1)
	v_lshlrev_b64_e32 v[22:23], v19, v[22:23]
	v_dual_sub_nc_u32 v19, 30, v13 :: v_dual_bitop2_b32 v13, 3, v22 bitop3:0x40
; %bb.11243:                            ;   in Loop: Header=BB6_9788 Depth=3
	s_or_b32 exec_lo, exec_lo, s72
	v_lshlrev_b32_e32 v22, 24, v5
	s_delay_alu instid0(VALU_DEP_1) | instskip(NEXT) | instid1(VALU_DEP_1)
	v_and_b32_e32 v22, 0x80000000, v22
	v_lshl_add_u32 v19, v19, 23, v22
	s_delay_alu instid0(VALU_DEP_1) | instskip(NEXT) | instid1(VALU_DEP_1)
	v_lshl_or_b32 v13, v13, 21, v19
	v_add_nc_u32_e32 v19, 0x38000000, v13
                                        ; implicit-def: $vgpr13
.LBB6_11244:                            ;   in Loop: Header=BB6_9788 Depth=3
	s_and_not1_saveexec_b32 s72, s13
; %bb.11245:                            ;   in Loop: Header=BB6_9788 Depth=3
	v_bfe_i32 v19, v5, 0, 8
	v_cmp_eq_u32_e32 vcc_lo, 0, v13
	v_mov_b32_e32 v13, 0x7f800000
	s_delay_alu instid0(VALU_DEP_3) | instskip(NEXT) | instid1(VALU_DEP_1)
	v_cmp_lt_i16_e64 s13, -1, v19
	v_cndmask_b32_e64 v13, 0xff800000, v13, s13
	s_delay_alu instid0(VALU_DEP_1)
	v_cndmask_b32_e32 v19, 0x7f800001, v13, vcc_lo
; %bb.11246:                            ;   in Loop: Header=BB6_9788 Depth=3
	s_or_b32 exec_lo, exec_lo, s72
.LBB6_11247:                            ;   in Loop: Header=BB6_9788 Depth=3
	s_delay_alu instid0(SALU_CYCLE_1)
	s_or_b32 exec_lo, exec_lo, s43
.LBB6_11248:                            ;   in Loop: Header=BB6_9788 Depth=3
	s_delay_alu instid0(SALU_CYCLE_1) | instskip(NEXT) | instid1(VALU_DEP_1)
	s_or_b32 exec_lo, exec_lo, s42
	v_dual_mul_f32 v23, v18, v19 :: v_dual_mov_b32 v87, v21
	v_mov_b32_e32 v19, v21
                                        ; implicit-def: $vgpr22
	s_mov_b32 s13, exec_lo
	s_delay_alu instid0(VALU_DEP_2) | instskip(SKIP_2) | instid1(VALU_DEP_3)
	v_and_b32_e32 v86, 0x7f800000, v23
	v_and_b32_e32 v18, 0x7fffff, v23
	v_lshrrev_b32_e32 v13, 24, v23
	v_cmpx_ne_u64_e32 0x7f800000, v[86:87]
	s_xor_b32 s42, exec_lo, s13
	s_cbranch_execz .LBB6_11262
; %bb.11249:                            ;   in Loop: Header=BB6_9788 Depth=3
	v_and_b32_e32 v86, 0x7fffffff, v23
	v_mov_b32_e32 v87, v21
	v_and_b32_e32 v13, 0x80, v13
                                        ; implicit-def: $vgpr22
	s_mov_b32 s13, exec_lo
	s_delay_alu instid0(VALU_DEP_2)
	v_cmpx_gt_u64_e32 0x47600001, v[86:87]
	s_xor_b32 s43, exec_lo, s13
	s_cbranch_execz .LBB6_11259
; %bb.11250:                            ;   in Loop: Header=BB6_9788 Depth=3
	v_mov_b32_e32 v22, 0
	s_mov_b32 s72, exec_lo
	v_cmpx_ne_u32_e32 0, v23
	s_cbranch_execz .LBB6_11258
; %bb.11251:                            ;   in Loop: Header=BB6_9788 Depth=3
	v_bfe_u32 v85, v23, 23, 8
	v_or_b32_e32 v23, 0x800000, v18
	s_delay_alu instid0(VALU_DEP_2) | instskip(SKIP_2) | instid1(VALU_DEP_2)
	v_cmp_gt_u32_e64 s13, 0x72, v85
	v_sub_nc_u32_e32 v22, 0x71, v85
	v_cmp_eq_u32_e32 vcc_lo, 0, v85
	v_cndmask_b32_e64 v22, 0, v22, s13
	v_cndmask_b32_e32 v18, v23, v18, vcc_lo
	s_delay_alu instid0(VALU_DEP_2) | instskip(NEXT) | instid1(VALU_DEP_1)
	v_cndmask_b32_e64 v86, v22, 0x70, vcc_lo
	v_dual_add_nc_u32 v22, 21, v86 :: v_dual_add_nc_u32 v87, 20, v86
	s_delay_alu instid0(VALU_DEP_1) | instskip(NEXT) | instid1(VALU_DEP_2)
	v_lshlrev_b64_e64 v[22:23], v22, -1
	v_lshlrev_b64_e64 v[96:97], v87, 1
	s_delay_alu instid0(VALU_DEP_2) | instskip(SKIP_1) | instid1(VALU_DEP_4)
	v_bfi_b32 v22, v22, 0, v18
	v_lshrrev_b64 v[18:19], v86, v[18:19]
	v_bfi_b32 v23, v23, 0, 0
	s_delay_alu instid0(VALU_DEP_1) | instskip(NEXT) | instid1(VALU_DEP_3)
	v_cmp_eq_u64_e64 s13, v[22:23], v[96:97]
	v_mov_b64_e32 v[22:23], v[18:19]
	s_and_saveexec_b32 s73, s13
; %bb.11252:                            ;   in Loop: Header=BB6_9788 Depth=3
	v_bfe_u32 v22, v18, 21, 1
	v_mov_b32_e32 v23, v21
	s_delay_alu instid0(VALU_DEP_1) | instskip(NEXT) | instid1(VALU_DEP_1)
	v_add_nc_u64_e32 v[22:23], v[18:19], v[22:23]
	v_add_nc_u64_e32 v[22:23], -1, v[22:23]
; %bb.11253:                            ;   in Loop: Header=BB6_9788 Depth=3
	s_or_b32 exec_lo, exec_lo, s73
	v_add_nc_u32_e32 v19, 0xffffff81, v85
	v_lshrrev_b32_e32 v23, 23, v18
	s_mov_b32 s13, exec_lo
	s_delay_alu instid0(VALU_DEP_2) | instskip(NEXT) | instid1(VALU_DEP_1)
	v_cndmask_b32_e64 v19, v19, 0xffffff82, vcc_lo
	v_add3_u32 v85, v86, v19, v23
	v_and_b32_e32 v19, 0x1fffff, v22
                                        ; implicit-def: $vgpr22
	s_delay_alu instid0(VALU_DEP_1) | instskip(SKIP_1) | instid1(VALU_DEP_2)
	v_dual_add_nc_u32 v23, 14, v85 :: v_dual_add_nc_u32 v18, v19, v18
	v_mov_b32_e32 v19, v21
	v_cmpx_ne_u32_e32 0, v23
	s_xor_b32 s13, exec_lo, s13
; %bb.11254:                            ;   in Loop: Header=BB6_9788 Depth=3
	s_delay_alu instid0(VALU_DEP_2) | instskip(SKIP_1) | instid1(VALU_DEP_1)
	v_cmp_lt_u64_e32 vcc_lo, 0xffffff, v[18:19]
	v_add_nc_u32_e32 v22, 15, v85
	v_cndmask_b32_e32 v22, v23, v22, vcc_lo
	v_cndmask_b32_e64 v23, 0, 1, vcc_lo
	s_delay_alu instid0(VALU_DEP_1)
	v_lshrrev_b64 v[18:19], v23, v[18:19]
; %bb.11255:                            ;   in Loop: Header=BB6_9788 Depth=3
	s_and_not1_saveexec_b32 s13, s13
; %bb.11256:                            ;   in Loop: Header=BB6_9788 Depth=3
	s_delay_alu instid0(VALU_DEP_1)
	v_bfe_u32 v22, v18, 23, 1
; %bb.11257:                            ;   in Loop: Header=BB6_9788 Depth=3
	s_or_b32 exec_lo, exec_lo, s13
	s_delay_alu instid0(VALU_DEP_2) | instskip(NEXT) | instid1(VALU_DEP_2)
	v_lshrrev_b64 v[18:19], 21, v[18:19]
	v_cmp_gt_i32_e32 vcc_lo, 32, v22
	v_min_i32_e32 v23, 31, v22
	v_cmp_eq_u32_e64 s13, 0, v22
	s_delay_alu instid0(VALU_DEP_4) | instskip(NEXT) | instid1(VALU_DEP_3)
	v_cndmask_b32_e32 v19, 0, v19, vcc_lo
	v_dual_cndmask_b32 v18, 3, v18 :: v_dual_lshlrev_b32 v23, 2, v23
	s_delay_alu instid0(VALU_DEP_1) | instskip(NEXT) | instid1(VALU_DEP_2)
	v_and_b32_e32 v23, 0xfc, v23
	v_cmp_eq_u64_e32 vcc_lo, 0, v[18:19]
	s_delay_alu instid0(VALU_DEP_2)
	v_and_or_b32 v18, v18, 3, v23
	s_and_b32 s13, s13, vcc_lo
	s_delay_alu instid0(VALU_DEP_1) | instid1(SALU_CYCLE_1)
	v_cndmask_b32_e64 v18, v18, 0, s13
	s_delay_alu instid0(VALU_DEP_1)
	v_or_b32_e32 v22, v18, v13
.LBB6_11258:                            ;   in Loop: Header=BB6_9788 Depth=3
	s_or_b32 exec_lo, exec_lo, s72
                                        ; implicit-def: $vgpr13
.LBB6_11259:                            ;   in Loop: Header=BB6_9788 Depth=3
	s_and_not1_saveexec_b32 s13, s43
; %bb.11260:                            ;   in Loop: Header=BB6_9788 Depth=3
	v_or_b32_e32 v22, 0x7b, v13
; %bb.11261:                            ;   in Loop: Header=BB6_9788 Depth=3
	s_or_b32 exec_lo, exec_lo, s13
                                        ; implicit-def: $vgpr23
                                        ; implicit-def: $vgpr18_vgpr19
                                        ; implicit-def: $vgpr13
.LBB6_11262:                            ;   in Loop: Header=BB6_9788 Depth=3
	s_and_not1_saveexec_b32 s13, s42
	s_cbranch_execz .LBB6_11268
; %bb.11263:                            ;   in Loop: Header=BB6_9788 Depth=3
	s_mov_b32 s42, exec_lo
                                        ; implicit-def: $vgpr22
	v_cmpx_ne_u64_e32 0, v[18:19]
	s_xor_b32 s42, exec_lo, s42
; %bb.11264:                            ;   in Loop: Header=BB6_9788 Depth=3
	v_or_b32_e32 v22, 0x7f, v13
                                        ; implicit-def: $vgpr23
; %bb.11265:                            ;   in Loop: Header=BB6_9788 Depth=3
	s_and_not1_saveexec_b32 s42, s42
; %bb.11266:                            ;   in Loop: Header=BB6_9788 Depth=3
	v_cmp_lt_i32_e32 vcc_lo, -1, v23
	v_mov_b32_e32 v13, 0x7c
	s_delay_alu instid0(VALU_DEP_1)
	v_cndmask_b32_e32 v22, 0xfc, v13, vcc_lo
; %bb.11267:                            ;   in Loop: Header=BB6_9788 Depth=3
	s_or_b32 exec_lo, exec_lo, s42
.LBB6_11268:                            ;   in Loop: Header=BB6_9788 Depth=3
	s_delay_alu instid0(SALU_CYCLE_1) | instskip(SKIP_3) | instid1(VALU_DEP_2)
	s_or_b32 exec_lo, exec_lo, s13
	v_lshrrev_b16 v18, 8, v12
	v_dual_mov_b32 v23, 0 :: v_dual_mov_b32 v19, 0
	s_mov_b32 s42, exec_lo
	v_cmpx_ne_u16_e32 0, v18
	s_cbranch_execz .LBB6_11278
; %bb.11269:                            ;   in Loop: Header=BB6_9788 Depth=3
	v_bfrev_b32_e32 v19, 1
	s_mov_b32 s43, exec_lo
	v_cmpx_ne_u16_e32 0x80, v18
	s_cbranch_execz .LBB6_11277
; %bb.11270:                            ;   in Loop: Header=BB6_9788 Depth=3
	v_and_b32_e32 v13, 0xffff, v18
	s_delay_alu instid0(VALU_DEP_1) | instskip(SKIP_1) | instid1(VALU_DEP_2)
	v_and_b32_e32 v19, 0x7c, v13
	v_and_b32_e32 v85, 3, v13
	v_cmp_ne_u32_e32 vcc_lo, 0x7c, v19
                                        ; implicit-def: $vgpr19
	s_and_saveexec_b32 s13, vcc_lo
	s_delay_alu instid0(SALU_CYCLE_1)
	s_xor_b32 s13, exec_lo, s13
	s_cbranch_execz .LBB6_11274
; %bb.11271:                            ;   in Loop: Header=BB6_9788 Depth=3
	v_bfe_u32 v13, v13, 2, 5
	s_mov_b32 s72, exec_lo
	s_delay_alu instid0(VALU_DEP_1)
	v_cmpx_eq_u32_e32 0, v13
	s_cbranch_execz .LBB6_11273
; %bb.11272:                            ;   in Loop: Header=BB6_9788 Depth=3
	v_clz_i32_u32_e32 v13, v85
	s_delay_alu instid0(VALU_DEP_1) | instskip(SKIP_1) | instid1(VALU_DEP_2)
	v_min_u32_e32 v13, 32, v13
	v_mov_b32_e32 v19, v21
	v_subrev_nc_u32_e32 v85, 29, v13
	v_sub_nc_u32_e32 v13, 30, v13
	s_delay_alu instid0(VALU_DEP_2) | instskip(NEXT) | instid1(VALU_DEP_1)
	v_lshlrev_b64_e32 v[18:19], v85, v[18:19]
	v_and_b32_e32 v85, 3, v18
.LBB6_11273:                            ;   in Loop: Header=BB6_9788 Depth=3
	s_or_b32 exec_lo, exec_lo, s72
	v_lshlrev_b32_e32 v12, 16, v12
	s_delay_alu instid0(VALU_DEP_1) | instskip(NEXT) | instid1(VALU_DEP_1)
	v_and_b32_e32 v12, 0x80000000, v12
	v_lshl_add_u32 v12, v13, 23, v12
	s_delay_alu instid0(VALU_DEP_1) | instskip(NEXT) | instid1(VALU_DEP_1)
	v_lshl_or_b32 v12, v85, 21, v12
                                        ; implicit-def: $vgpr85
	v_add_nc_u32_e32 v19, 0x38000000, v12
                                        ; implicit-def: $vgpr12_vgpr13
.LBB6_11274:                            ;   in Loop: Header=BB6_9788 Depth=3
	s_and_not1_saveexec_b32 s72, s13
; %bb.11275:                            ;   in Loop: Header=BB6_9788 Depth=3
	v_cmp_lt_i16_e64 s13, -1, v12
	v_mov_b32_e32 v12, 0x7f800000
	v_cmp_eq_u32_e32 vcc_lo, 0, v85
	s_delay_alu instid0(VALU_DEP_2) | instskip(NEXT) | instid1(VALU_DEP_1)
	v_cndmask_b32_e64 v12, 0xff800000, v12, s13
	v_cndmask_b32_e32 v19, 0x7f800001, v12, vcc_lo
; %bb.11276:                            ;   in Loop: Header=BB6_9788 Depth=3
	s_or_b32 exec_lo, exec_lo, s72
.LBB6_11277:                            ;   in Loop: Header=BB6_9788 Depth=3
	s_delay_alu instid0(SALU_CYCLE_1)
	s_or_b32 exec_lo, exec_lo, s43
.LBB6_11278:                            ;   in Loop: Header=BB6_9788 Depth=3
	s_delay_alu instid0(SALU_CYCLE_1) | instskip(SKIP_2) | instid1(VALU_DEP_1)
	s_or_b32 exec_lo, exec_lo, s42
	v_lshrrev_b16 v12, 8, v5
	s_mov_b32 s42, exec_lo
	v_cmpx_ne_u16_e32 0, v12
	s_cbranch_execz .LBB6_11288
; %bb.11279:                            ;   in Loop: Header=BB6_9788 Depth=3
	v_bfrev_b32_e32 v23, 1
	s_mov_b32 s43, exec_lo
	v_cmpx_ne_u16_e32 0x80, v12
	s_cbranch_execz .LBB6_11287
; %bb.11280:                            ;   in Loop: Header=BB6_9788 Depth=3
	v_and_b32_e32 v18, 0xffff, v12
	s_delay_alu instid0(VALU_DEP_1) | instskip(SKIP_1) | instid1(VALU_DEP_2)
	v_and_b32_e32 v23, 0x7c, v18
	v_and_b32_e32 v13, 3, v18
	v_cmp_ne_u32_e32 vcc_lo, 0x7c, v23
                                        ; implicit-def: $vgpr23
	s_and_saveexec_b32 s13, vcc_lo
	s_delay_alu instid0(SALU_CYCLE_1)
	s_xor_b32 s13, exec_lo, s13
	s_cbranch_execz .LBB6_11284
; %bb.11281:                            ;   in Loop: Header=BB6_9788 Depth=3
	v_bfe_u32 v18, v18, 2, 5
	s_mov_b32 s72, exec_lo
	s_delay_alu instid0(VALU_DEP_1)
	v_cmpx_eq_u32_e32 0, v18
	s_cbranch_execz .LBB6_11283
; %bb.11282:                            ;   in Loop: Header=BB6_9788 Depth=3
	v_clz_i32_u32_e32 v13, v13
	s_delay_alu instid0(VALU_DEP_1) | instskip(SKIP_1) | instid1(VALU_DEP_2)
	v_min_u32_e32 v18, 32, v13
	v_mov_b32_e32 v13, v21
	v_subrev_nc_u32_e32 v23, 29, v18
	v_sub_nc_u32_e32 v18, 30, v18
	s_delay_alu instid0(VALU_DEP_2) | instskip(NEXT) | instid1(VALU_DEP_1)
	v_lshlrev_b64_e32 v[12:13], v23, v[12:13]
	v_and_b32_e32 v13, 3, v12
.LBB6_11283:                            ;   in Loop: Header=BB6_9788 Depth=3
	s_or_b32 exec_lo, exec_lo, s72
	v_lshlrev_b32_e32 v12, 16, v5
	s_delay_alu instid0(VALU_DEP_1) | instskip(NEXT) | instid1(VALU_DEP_1)
	v_and_b32_e32 v12, 0x80000000, v12
	v_lshl_add_u32 v12, v18, 23, v12
	s_delay_alu instid0(VALU_DEP_1) | instskip(NEXT) | instid1(VALU_DEP_1)
	v_lshl_or_b32 v12, v13, 21, v12
                                        ; implicit-def: $vgpr13
	v_add_nc_u32_e32 v23, 0x38000000, v12
.LBB6_11284:                            ;   in Loop: Header=BB6_9788 Depth=3
	s_and_not1_saveexec_b32 s72, s13
; %bb.11285:                            ;   in Loop: Header=BB6_9788 Depth=3
	v_cmp_lt_i16_e64 s13, -1, v5
	v_mov_b32_e32 v12, 0x7f800000
	v_cmp_eq_u32_e32 vcc_lo, 0, v13
	s_delay_alu instid0(VALU_DEP_2) | instskip(NEXT) | instid1(VALU_DEP_1)
	v_cndmask_b32_e64 v12, 0xff800000, v12, s13
	v_cndmask_b32_e32 v23, 0x7f800001, v12, vcc_lo
; %bb.11286:                            ;   in Loop: Header=BB6_9788 Depth=3
	s_or_b32 exec_lo, exec_lo, s72
.LBB6_11287:                            ;   in Loop: Header=BB6_9788 Depth=3
	s_delay_alu instid0(SALU_CYCLE_1)
	s_or_b32 exec_lo, exec_lo, s43
.LBB6_11288:                            ;   in Loop: Header=BB6_9788 Depth=3
	s_delay_alu instid0(SALU_CYCLE_1) | instskip(NEXT) | instid1(VALU_DEP_1)
	s_or_b32 exec_lo, exec_lo, s42
	v_dual_mul_f32 v18, v19, v23 :: v_dual_mov_b32 v87, v21
	v_mov_b32_e32 v13, v21
                                        ; implicit-def: $vgpr23
	s_mov_b32 s13, exec_lo
	s_delay_alu instid0(VALU_DEP_2) | instskip(SKIP_2) | instid1(VALU_DEP_3)
	v_and_b32_e32 v86, 0x7f800000, v18
	v_and_b32_e32 v12, 0x7fffff, v18
	v_lshrrev_b32_e32 v19, 24, v18
	v_cmpx_ne_u64_e32 0x7f800000, v[86:87]
	s_xor_b32 s42, exec_lo, s13
	s_cbranch_execz .LBB6_11302
; %bb.11289:                            ;   in Loop: Header=BB6_9788 Depth=3
	v_and_b32_e32 v86, 0x7fffffff, v18
	v_mov_b32_e32 v87, v21
	v_and_b32_e32 v85, 0x80, v19
                                        ; implicit-def: $vgpr23
	s_mov_b32 s13, exec_lo
	s_delay_alu instid0(VALU_DEP_2)
	v_cmpx_gt_u64_e32 0x47600001, v[86:87]
	s_xor_b32 s43, exec_lo, s13
	s_cbranch_execz .LBB6_11299
; %bb.11290:                            ;   in Loop: Header=BB6_9788 Depth=3
	v_mov_b32_e32 v23, 0
	s_mov_b32 s72, exec_lo
	v_cmpx_ne_u32_e32 0, v18
	s_cbranch_execz .LBB6_11298
; %bb.11291:                            ;   in Loop: Header=BB6_9788 Depth=3
	v_bfe_u32 v23, v18, 23, 8
	v_or_b32_e32 v19, 0x800000, v12
	s_delay_alu instid0(VALU_DEP_2) | instskip(SKIP_2) | instid1(VALU_DEP_2)
	v_cmp_gt_u32_e64 s13, 0x72, v23
	v_sub_nc_u32_e32 v18, 0x71, v23
	v_cmp_eq_u32_e32 vcc_lo, 0, v23
	v_dual_cndmask_b32 v18, 0, v18, s13 :: v_dual_cndmask_b32 v12, v19, v12, vcc_lo
	s_delay_alu instid0(VALU_DEP_1) | instskip(NEXT) | instid1(VALU_DEP_1)
	v_cndmask_b32_e64 v86, v18, 0x70, vcc_lo
	v_dual_add_nc_u32 v18, 21, v86 :: v_dual_add_nc_u32 v87, 20, v86
	s_delay_alu instid0(VALU_DEP_1) | instskip(NEXT) | instid1(VALU_DEP_2)
	v_lshlrev_b64_e64 v[18:19], v18, -1
	v_lshlrev_b64_e64 v[96:97], v87, 1
	s_delay_alu instid0(VALU_DEP_2) | instskip(SKIP_1) | instid1(VALU_DEP_4)
	v_bfi_b32 v18, v18, 0, v12
	v_lshrrev_b64 v[12:13], v86, v[12:13]
	v_bfi_b32 v19, v19, 0, 0
	s_delay_alu instid0(VALU_DEP_1) | instskip(NEXT) | instid1(VALU_DEP_3)
	v_cmp_eq_u64_e64 s13, v[18:19], v[96:97]
	v_mov_b64_e32 v[18:19], v[12:13]
	s_and_saveexec_b32 s73, s13
; %bb.11292:                            ;   in Loop: Header=BB6_9788 Depth=3
	v_bfe_u32 v18, v12, 21, 1
	v_mov_b32_e32 v19, v21
	s_delay_alu instid0(VALU_DEP_1) | instskip(NEXT) | instid1(VALU_DEP_1)
	v_add_nc_u64_e32 v[18:19], v[12:13], v[18:19]
	v_add_nc_u64_e32 v[18:19], -1, v[18:19]
; %bb.11293:                            ;   in Loop: Header=BB6_9788 Depth=3
	s_or_b32 exec_lo, exec_lo, s73
	v_add_nc_u32_e32 v13, 0xffffff81, v23
	v_lshrrev_b32_e32 v19, 23, v12
	s_mov_b32 s13, exec_lo
	s_delay_alu instid0(VALU_DEP_2) | instskip(NEXT) | instid1(VALU_DEP_1)
	v_cndmask_b32_e64 v13, v13, 0xffffff82, vcc_lo
	v_add3_u32 v23, v86, v13, v19
	v_and_b32_e32 v13, 0x1fffff, v18
                                        ; implicit-def: $vgpr18
	s_delay_alu instid0(VALU_DEP_1) | instskip(SKIP_1) | instid1(VALU_DEP_2)
	v_dual_add_nc_u32 v19, 14, v23 :: v_dual_add_nc_u32 v12, v13, v12
	v_mov_b32_e32 v13, v21
	v_cmpx_ne_u32_e32 0, v19
	s_xor_b32 s13, exec_lo, s13
; %bb.11294:                            ;   in Loop: Header=BB6_9788 Depth=3
	s_delay_alu instid0(VALU_DEP_2) | instskip(SKIP_1) | instid1(VALU_DEP_1)
	v_cmp_lt_u64_e32 vcc_lo, 0xffffff, v[12:13]
	v_add_nc_u32_e32 v18, 15, v23
	v_cndmask_b32_e32 v18, v19, v18, vcc_lo
	v_cndmask_b32_e64 v19, 0, 1, vcc_lo
	s_delay_alu instid0(VALU_DEP_1)
	v_lshrrev_b64 v[12:13], v19, v[12:13]
; %bb.11295:                            ;   in Loop: Header=BB6_9788 Depth=3
	s_and_not1_saveexec_b32 s13, s13
; %bb.11296:                            ;   in Loop: Header=BB6_9788 Depth=3
	s_delay_alu instid0(VALU_DEP_1)
	v_bfe_u32 v18, v12, 23, 1
; %bb.11297:                            ;   in Loop: Header=BB6_9788 Depth=3
	s_or_b32 exec_lo, exec_lo, s13
	s_delay_alu instid0(VALU_DEP_2) | instskip(NEXT) | instid1(VALU_DEP_2)
	v_lshrrev_b64 v[12:13], 21, v[12:13]
	v_cmp_gt_i32_e32 vcc_lo, 32, v18
	v_min_i32_e32 v19, 31, v18
	v_cmp_eq_u32_e64 s13, 0, v18
	s_delay_alu instid0(VALU_DEP_2) | instskip(SKIP_1) | instid1(VALU_DEP_2)
	v_dual_cndmask_b32 v13, 0, v13, vcc_lo :: v_dual_lshlrev_b32 v19, 2, v19
	v_cndmask_b32_e32 v12, 3, v12, vcc_lo
	v_and_b32_e32 v19, 0xfc, v19
	s_delay_alu instid0(VALU_DEP_2) | instskip(NEXT) | instid1(VALU_DEP_2)
	v_cmp_eq_u64_e32 vcc_lo, 0, v[12:13]
	v_and_or_b32 v12, v12, 3, v19
	s_and_b32 s13, s13, vcc_lo
	s_delay_alu instid0(VALU_DEP_1) | instid1(SALU_CYCLE_1)
	v_cndmask_b32_e64 v12, v12, 0, s13
	s_delay_alu instid0(VALU_DEP_1)
	v_or_b32_e32 v23, v12, v85
.LBB6_11298:                            ;   in Loop: Header=BB6_9788 Depth=3
	s_or_b32 exec_lo, exec_lo, s72
                                        ; implicit-def: $vgpr85
.LBB6_11299:                            ;   in Loop: Header=BB6_9788 Depth=3
	s_and_not1_saveexec_b32 s13, s43
; %bb.11300:                            ;   in Loop: Header=BB6_9788 Depth=3
	v_or_b32_e32 v23, 0x7b, v85
; %bb.11301:                            ;   in Loop: Header=BB6_9788 Depth=3
	s_or_b32 exec_lo, exec_lo, s13
                                        ; implicit-def: $vgpr18
                                        ; implicit-def: $vgpr12_vgpr13
                                        ; implicit-def: $vgpr19
.LBB6_11302:                            ;   in Loop: Header=BB6_9788 Depth=3
	s_and_not1_saveexec_b32 s13, s42
	s_cbranch_execz .LBB6_11308
; %bb.11303:                            ;   in Loop: Header=BB6_9788 Depth=3
	s_mov_b32 s42, exec_lo
                                        ; implicit-def: $vgpr23
	v_cmpx_ne_u64_e32 0, v[12:13]
	s_xor_b32 s42, exec_lo, s42
; %bb.11304:                            ;   in Loop: Header=BB6_9788 Depth=3
	v_or_b32_e32 v23, 0x7f, v19
                                        ; implicit-def: $vgpr18
; %bb.11305:                            ;   in Loop: Header=BB6_9788 Depth=3
	s_and_not1_saveexec_b32 s42, s42
; %bb.11306:                            ;   in Loop: Header=BB6_9788 Depth=3
	v_cmp_lt_i32_e32 vcc_lo, -1, v18
	v_mov_b32_e32 v12, 0x7c
	s_delay_alu instid0(VALU_DEP_1)
	v_cndmask_b32_e32 v23, 0xfc, v12, vcc_lo
; %bb.11307:                            ;   in Loop: Header=BB6_9788 Depth=3
	s_or_b32 exec_lo, exec_lo, s42
.LBB6_11308:                            ;   in Loop: Header=BB6_9788 Depth=3
	s_delay_alu instid0(SALU_CYCLE_1) | instskip(SKIP_3) | instid1(VALU_DEP_2)
	s_or_b32 exec_lo, exec_lo, s13
	v_dual_mov_b32 v13, 0 :: v_dual_lshrrev_b32 v12, 16, v15
	v_mov_b32_e32 v18, 0
	s_mov_b32 s42, exec_lo
	v_and_b32_e32 v19, 0xff, v12
	s_delay_alu instid0(VALU_DEP_1)
	v_cmpx_ne_u16_e32 0, v19
	s_cbranch_execz .LBB6_11318
; %bb.11309:                            ;   in Loop: Header=BB6_9788 Depth=3
	v_bfrev_b32_e32 v18, 1
	s_mov_b32 s43, exec_lo
	v_cmpx_ne_u16_e32 0x80, v19
	s_cbranch_execz .LBB6_11317
; %bb.11310:                            ;   in Loop: Header=BB6_9788 Depth=3
	v_and_b32_e32 v18, 0x7c0000, v15
	v_bfe_u32 v19, v15, 16, 2
	s_delay_alu instid0(VALU_DEP_2) | instskip(SKIP_1) | instid1(SALU_CYCLE_1)
	v_cmp_ne_u32_e32 vcc_lo, 0x7c0000, v18
                                        ; implicit-def: $vgpr18
	s_and_saveexec_b32 s13, vcc_lo
	s_xor_b32 s13, exec_lo, s13
	s_cbranch_execz .LBB6_11314
; %bb.11311:                            ;   in Loop: Header=BB6_9788 Depth=3
	v_bfe_u32 v18, v15, 18, 5
	s_mov_b32 s72, exec_lo
	s_delay_alu instid0(VALU_DEP_1)
	v_cmpx_eq_u32_e32 0, v18
; %bb.11312:                            ;   in Loop: Header=BB6_9788 Depth=3
	v_clz_i32_u32_e32 v18, v19
	s_delay_alu instid0(VALU_DEP_1) | instskip(NEXT) | instid1(VALU_DEP_1)
	v_min_u32_e32 v18, 32, v18
	v_subrev_nc_u32_e32 v19, 29, v18
	v_sub_nc_u32_e32 v18, 30, v18
	s_delay_alu instid0(VALU_DEP_2) | instskip(NEXT) | instid1(VALU_DEP_1)
	v_lshlrev_b64_e32 v[86:87], v19, v[12:13]
	v_and_b32_e32 v19, 3, v86
; %bb.11313:                            ;   in Loop: Header=BB6_9788 Depth=3
	s_or_b32 exec_lo, exec_lo, s72
	v_lshlrev_b32_e32 v12, 24, v12
	s_delay_alu instid0(VALU_DEP_1) | instskip(NEXT) | instid1(VALU_DEP_1)
	v_and_b32_e32 v12, 0x80000000, v12
	v_lshl_add_u32 v12, v18, 23, v12
	s_delay_alu instid0(VALU_DEP_1) | instskip(NEXT) | instid1(VALU_DEP_1)
	v_lshl_or_b32 v12, v19, 21, v12
                                        ; implicit-def: $vgpr19
	v_add_nc_u32_e32 v18, 0x38000000, v12
                                        ; implicit-def: $vgpr12
.LBB6_11314:                            ;   in Loop: Header=BB6_9788 Depth=3
	s_and_not1_saveexec_b32 s72, s13
; %bb.11315:                            ;   in Loop: Header=BB6_9788 Depth=3
	v_bfe_i32 v12, v12, 0, 8
	v_cmp_eq_u32_e32 vcc_lo, 0, v19
	s_delay_alu instid0(VALU_DEP_2) | instskip(SKIP_1) | instid1(VALU_DEP_1)
	v_cmp_lt_i16_e64 s13, -1, v12
	v_mov_b32_e32 v12, 0x7f800000
	v_cndmask_b32_e64 v12, 0xff800000, v12, s13
	s_delay_alu instid0(VALU_DEP_1)
	v_cndmask_b32_e32 v18, 0x7f800001, v12, vcc_lo
; %bb.11316:                            ;   in Loop: Header=BB6_9788 Depth=3
	s_or_b32 exec_lo, exec_lo, s72
.LBB6_11317:                            ;   in Loop: Header=BB6_9788 Depth=3
	s_delay_alu instid0(SALU_CYCLE_1)
	s_or_b32 exec_lo, exec_lo, s43
.LBB6_11318:                            ;   in Loop: Header=BB6_9788 Depth=3
	s_delay_alu instid0(SALU_CYCLE_1) | instskip(SKIP_2) | instid1(VALU_DEP_1)
	s_or_b32 exec_lo, exec_lo, s42
	v_lshrrev_b32_e32 v12, 16, v5
	s_mov_b32 s42, exec_lo
	v_and_b32_e32 v19, 0xff, v12
	s_delay_alu instid0(VALU_DEP_1)
	v_cmpx_ne_u16_e32 0, v19
	s_cbranch_execz .LBB6_11328
; %bb.11319:                            ;   in Loop: Header=BB6_9788 Depth=3
	v_bfrev_b32_e32 v13, 1
	s_mov_b32 s43, exec_lo
	v_cmpx_ne_u16_e32 0x80, v19
	s_cbranch_execz .LBB6_11327
; %bb.11320:                            ;   in Loop: Header=BB6_9788 Depth=3
	v_and_b32_e32 v13, 0x7c0000, v5
	v_bfe_u32 v19, v5, 16, 2
	s_delay_alu instid0(VALU_DEP_2) | instskip(SKIP_1) | instid1(SALU_CYCLE_1)
	v_cmp_ne_u32_e32 vcc_lo, 0x7c0000, v13
                                        ; implicit-def: $vgpr13
	s_and_saveexec_b32 s13, vcc_lo
	s_xor_b32 s13, exec_lo, s13
	s_cbranch_execz .LBB6_11324
; %bb.11321:                            ;   in Loop: Header=BB6_9788 Depth=3
	v_bfe_u32 v13, v5, 18, 5
	s_mov_b32 s72, exec_lo
	s_delay_alu instid0(VALU_DEP_1)
	v_cmpx_eq_u32_e32 0, v13
; %bb.11322:                            ;   in Loop: Header=BB6_9788 Depth=3
	v_clz_i32_u32_e32 v13, v19
	s_delay_alu instid0(VALU_DEP_1) | instskip(NEXT) | instid1(VALU_DEP_1)
	v_min_u32_e32 v13, 32, v13
	v_subrev_nc_u32_e32 v19, 29, v13
	s_delay_alu instid0(VALU_DEP_1) | instskip(NEXT) | instid1(VALU_DEP_1)
	v_lshlrev_b64_e32 v[86:87], v19, v[12:13]
	v_dual_sub_nc_u32 v13, 30, v13 :: v_dual_bitop2_b32 v19, 3, v86 bitop3:0x40
; %bb.11323:                            ;   in Loop: Header=BB6_9788 Depth=3
	s_or_b32 exec_lo, exec_lo, s72
	v_lshlrev_b32_e32 v12, 24, v12
	s_delay_alu instid0(VALU_DEP_1) | instskip(NEXT) | instid1(VALU_DEP_1)
	v_and_b32_e32 v12, 0x80000000, v12
	v_lshl_add_u32 v12, v13, 23, v12
	s_delay_alu instid0(VALU_DEP_1) | instskip(NEXT) | instid1(VALU_DEP_1)
	v_lshl_or_b32 v12, v19, 21, v12
                                        ; implicit-def: $vgpr19
	v_add_nc_u32_e32 v13, 0x38000000, v12
                                        ; implicit-def: $vgpr12
.LBB6_11324:                            ;   in Loop: Header=BB6_9788 Depth=3
	s_and_not1_saveexec_b32 s72, s13
; %bb.11325:                            ;   in Loop: Header=BB6_9788 Depth=3
	v_bfe_i32 v12, v12, 0, 8
	v_cmp_eq_u32_e32 vcc_lo, 0, v19
	s_delay_alu instid0(VALU_DEP_2) | instskip(SKIP_1) | instid1(VALU_DEP_1)
	v_cmp_lt_i16_e64 s13, -1, v12
	v_mov_b32_e32 v12, 0x7f800000
	v_cndmask_b32_e64 v12, 0xff800000, v12, s13
	s_delay_alu instid0(VALU_DEP_1)
	v_cndmask_b32_e32 v13, 0x7f800001, v12, vcc_lo
; %bb.11326:                            ;   in Loop: Header=BB6_9788 Depth=3
	s_or_b32 exec_lo, exec_lo, s72
.LBB6_11327:                            ;   in Loop: Header=BB6_9788 Depth=3
	s_delay_alu instid0(SALU_CYCLE_1)
	s_or_b32 exec_lo, exec_lo, s43
.LBB6_11328:                            ;   in Loop: Header=BB6_9788 Depth=3
	s_delay_alu instid0(SALU_CYCLE_1) | instskip(NEXT) | instid1(VALU_DEP_1)
	s_or_b32 exec_lo, exec_lo, s42
	v_dual_mul_f32 v19, v18, v13 :: v_dual_mov_b32 v87, v21
	v_mov_b32_e32 v13, v21
                                        ; implicit-def: $vgpr18
	s_mov_b32 s13, exec_lo
	s_delay_alu instid0(VALU_DEP_2) | instskip(SKIP_2) | instid1(VALU_DEP_3)
	v_and_b32_e32 v86, 0x7f800000, v19
	v_and_b32_e32 v12, 0x7fffff, v19
	v_lshrrev_b32_e32 v85, 24, v19
	v_cmpx_ne_u64_e32 0x7f800000, v[86:87]
	s_xor_b32 s42, exec_lo, s13
	s_cbranch_execz .LBB6_11342
; %bb.11329:                            ;   in Loop: Header=BB6_9788 Depth=3
	v_and_b32_e32 v86, 0x7fffffff, v19
	v_mov_b32_e32 v87, v21
	v_and_b32_e32 v85, 0x80, v85
                                        ; implicit-def: $vgpr18
	s_mov_b32 s13, exec_lo
	s_delay_alu instid0(VALU_DEP_2)
	v_cmpx_gt_u64_e32 0x47600001, v[86:87]
	s_xor_b32 s43, exec_lo, s13
	s_cbranch_execz .LBB6_11339
; %bb.11330:                            ;   in Loop: Header=BB6_9788 Depth=3
	v_mov_b32_e32 v18, 0
	s_mov_b32 s72, exec_lo
	v_cmpx_ne_u32_e32 0, v19
	s_cbranch_execz .LBB6_11338
; %bb.11331:                            ;   in Loop: Header=BB6_9788 Depth=3
	v_bfe_u32 v86, v19, 23, 8
	v_or_b32_e32 v19, 0x800000, v12
	s_delay_alu instid0(VALU_DEP_2) | instskip(SKIP_2) | instid1(VALU_DEP_2)
	v_cmp_gt_u32_e64 s13, 0x72, v86
	v_sub_nc_u32_e32 v18, 0x71, v86
	v_cmp_eq_u32_e32 vcc_lo, 0, v86
	v_dual_cndmask_b32 v18, 0, v18, s13 :: v_dual_cndmask_b32 v12, v19, v12, vcc_lo
	s_delay_alu instid0(VALU_DEP_1) | instskip(NEXT) | instid1(VALU_DEP_1)
	v_cndmask_b32_e64 v87, v18, 0x70, vcc_lo
	v_dual_add_nc_u32 v18, 21, v87 :: v_dual_add_nc_u32 v96, 20, v87
	s_delay_alu instid0(VALU_DEP_1) | instskip(NEXT) | instid1(VALU_DEP_2)
	v_lshlrev_b64_e64 v[18:19], v18, -1
	v_lshlrev_b64_e64 v[96:97], v96, 1
	s_delay_alu instid0(VALU_DEP_2) | instskip(SKIP_1) | instid1(VALU_DEP_4)
	v_bfi_b32 v18, v18, 0, v12
	v_lshrrev_b64 v[12:13], v87, v[12:13]
	v_bfi_b32 v19, v19, 0, 0
	s_delay_alu instid0(VALU_DEP_1) | instskip(NEXT) | instid1(VALU_DEP_3)
	v_cmp_eq_u64_e64 s13, v[18:19], v[96:97]
	v_mov_b64_e32 v[18:19], v[12:13]
	s_and_saveexec_b32 s73, s13
; %bb.11332:                            ;   in Loop: Header=BB6_9788 Depth=3
	v_bfe_u32 v18, v12, 21, 1
	v_mov_b32_e32 v19, v21
	s_delay_alu instid0(VALU_DEP_1) | instskip(NEXT) | instid1(VALU_DEP_1)
	v_add_nc_u64_e32 v[18:19], v[12:13], v[18:19]
	v_add_nc_u64_e32 v[18:19], -1, v[18:19]
; %bb.11333:                            ;   in Loop: Header=BB6_9788 Depth=3
	s_or_b32 exec_lo, exec_lo, s73
	v_add_nc_u32_e32 v13, 0xffffff81, v86
	v_lshrrev_b32_e32 v19, 23, v12
	s_mov_b32 s13, exec_lo
	s_delay_alu instid0(VALU_DEP_2) | instskip(NEXT) | instid1(VALU_DEP_1)
	v_cndmask_b32_e64 v13, v13, 0xffffff82, vcc_lo
	v_add3_u32 v86, v87, v13, v19
	v_and_b32_e32 v13, 0x1fffff, v18
                                        ; implicit-def: $vgpr18
	s_delay_alu instid0(VALU_DEP_1) | instskip(SKIP_1) | instid1(VALU_DEP_2)
	v_dual_add_nc_u32 v19, 14, v86 :: v_dual_add_nc_u32 v12, v13, v12
	v_mov_b32_e32 v13, v21
	v_cmpx_ne_u32_e32 0, v19
	s_xor_b32 s13, exec_lo, s13
; %bb.11334:                            ;   in Loop: Header=BB6_9788 Depth=3
	s_delay_alu instid0(VALU_DEP_2) | instskip(SKIP_1) | instid1(VALU_DEP_1)
	v_cmp_lt_u64_e32 vcc_lo, 0xffffff, v[12:13]
	v_add_nc_u32_e32 v18, 15, v86
	v_cndmask_b32_e32 v18, v19, v18, vcc_lo
	v_cndmask_b32_e64 v19, 0, 1, vcc_lo
	s_delay_alu instid0(VALU_DEP_1)
	v_lshrrev_b64 v[12:13], v19, v[12:13]
; %bb.11335:                            ;   in Loop: Header=BB6_9788 Depth=3
	s_and_not1_saveexec_b32 s13, s13
; %bb.11336:                            ;   in Loop: Header=BB6_9788 Depth=3
	s_delay_alu instid0(VALU_DEP_1)
	v_bfe_u32 v18, v12, 23, 1
; %bb.11337:                            ;   in Loop: Header=BB6_9788 Depth=3
	s_or_b32 exec_lo, exec_lo, s13
	s_delay_alu instid0(VALU_DEP_2) | instskip(NEXT) | instid1(VALU_DEP_2)
	v_lshrrev_b64 v[12:13], 21, v[12:13]
	v_cmp_gt_i32_e32 vcc_lo, 32, v18
	v_min_i32_e32 v19, 31, v18
	v_cmp_eq_u32_e64 s13, 0, v18
	s_delay_alu instid0(VALU_DEP_2) | instskip(SKIP_1) | instid1(VALU_DEP_2)
	v_dual_cndmask_b32 v13, 0, v13, vcc_lo :: v_dual_lshlrev_b32 v19, 2, v19
	v_cndmask_b32_e32 v12, 3, v12, vcc_lo
	v_and_b32_e32 v19, 0xfc, v19
	s_delay_alu instid0(VALU_DEP_2) | instskip(NEXT) | instid1(VALU_DEP_2)
	v_cmp_eq_u64_e32 vcc_lo, 0, v[12:13]
	v_and_or_b32 v12, v12, 3, v19
	s_and_b32 s13, s13, vcc_lo
	s_delay_alu instid0(VALU_DEP_1) | instid1(SALU_CYCLE_1)
	v_cndmask_b32_e64 v12, v12, 0, s13
	s_delay_alu instid0(VALU_DEP_1)
	v_or_b32_e32 v18, v12, v85
.LBB6_11338:                            ;   in Loop: Header=BB6_9788 Depth=3
	s_or_b32 exec_lo, exec_lo, s72
                                        ; implicit-def: $vgpr85
.LBB6_11339:                            ;   in Loop: Header=BB6_9788 Depth=3
	s_and_not1_saveexec_b32 s13, s43
; %bb.11340:                            ;   in Loop: Header=BB6_9788 Depth=3
	v_or_b32_e32 v18, 0x7b, v85
; %bb.11341:                            ;   in Loop: Header=BB6_9788 Depth=3
	s_or_b32 exec_lo, exec_lo, s13
                                        ; implicit-def: $vgpr19
                                        ; implicit-def: $vgpr12_vgpr13
                                        ; implicit-def: $vgpr85
.LBB6_11342:                            ;   in Loop: Header=BB6_9788 Depth=3
	s_and_not1_saveexec_b32 s13, s42
	s_cbranch_execz .LBB6_11348
; %bb.11343:                            ;   in Loop: Header=BB6_9788 Depth=3
	s_mov_b32 s42, exec_lo
                                        ; implicit-def: $vgpr18
	v_cmpx_ne_u64_e32 0, v[12:13]
	s_xor_b32 s42, exec_lo, s42
; %bb.11344:                            ;   in Loop: Header=BB6_9788 Depth=3
	v_or_b32_e32 v18, 0x7f, v85
                                        ; implicit-def: $vgpr19
; %bb.11345:                            ;   in Loop: Header=BB6_9788 Depth=3
	s_and_not1_saveexec_b32 s42, s42
; %bb.11346:                            ;   in Loop: Header=BB6_9788 Depth=3
	v_cmp_lt_i32_e32 vcc_lo, -1, v19
	v_mov_b32_e32 v12, 0x7c
	s_delay_alu instid0(VALU_DEP_1)
	v_cndmask_b32_e32 v18, 0xfc, v12, vcc_lo
; %bb.11347:                            ;   in Loop: Header=BB6_9788 Depth=3
	s_or_b32 exec_lo, exec_lo, s42
.LBB6_11348:                            ;   in Loop: Header=BB6_9788 Depth=3
	s_delay_alu instid0(SALU_CYCLE_1)
	s_or_b32 exec_lo, exec_lo, s13
	v_dual_mov_b32 v13, 0 :: v_dual_mov_b32 v19, 0
	s_mov_b32 s42, exec_lo
	v_cmpx_lt_u64_e64 s[22:23], v[14:15]
	s_cbranch_execz .LBB6_11358
; %bb.11349:                            ;   in Loop: Header=BB6_9788 Depth=3
	v_lshrrev_b32_e32 v12, 24, v15
	v_bfrev_b32_e32 v19, 1
	s_mov_b32 s43, exec_lo
	s_delay_alu instid0(VALU_DEP_2)
	v_cmpx_ne_u32_e32 0x80, v12
	s_cbranch_execz .LBB6_11357
; %bb.11350:                            ;   in Loop: Header=BB6_9788 Depth=3
	v_and_b32_e32 v19, 0x7c000000, v15
	v_bfe_u32 v85, v15, 24, 2
	s_delay_alu instid0(VALU_DEP_2) | instskip(SKIP_1) | instid1(SALU_CYCLE_1)
	v_cmp_ne_u32_e32 vcc_lo, 0x7c000000, v19
                                        ; implicit-def: $vgpr19
	s_and_saveexec_b32 s13, vcc_lo
	s_xor_b32 s13, exec_lo, s13
	s_cbranch_execz .LBB6_11354
; %bb.11351:                            ;   in Loop: Header=BB6_9788 Depth=3
	v_bfe_u32 v19, v15, 26, 5
	s_mov_b32 s72, exec_lo
	s_delay_alu instid0(VALU_DEP_1)
	v_cmpx_eq_u32_e32 0, v19
; %bb.11352:                            ;   in Loop: Header=BB6_9788 Depth=3
	v_clz_i32_u32_e32 v19, v85
	s_delay_alu instid0(VALU_DEP_1) | instskip(NEXT) | instid1(VALU_DEP_1)
	v_min_u32_e32 v19, 32, v19
	v_subrev_nc_u32_e32 v85, 29, v19
	s_delay_alu instid0(VALU_DEP_1) | instskip(NEXT) | instid1(VALU_DEP_1)
	v_lshlrev_b64_e32 v[86:87], v85, v[12:13]
	v_dual_sub_nc_u32 v19, 30, v19 :: v_dual_bitop2_b32 v85, 3, v86 bitop3:0x40
; %bb.11353:                            ;   in Loop: Header=BB6_9788 Depth=3
	s_or_b32 exec_lo, exec_lo, s72
	v_and_b32_e32 v12, 0x80000000, v15
	s_delay_alu instid0(VALU_DEP_1) | instskip(NEXT) | instid1(VALU_DEP_1)
	v_lshl_add_u32 v12, v19, 23, v12
	v_lshl_or_b32 v12, v85, 21, v12
                                        ; implicit-def: $vgpr85
	s_delay_alu instid0(VALU_DEP_1)
	v_add_nc_u32_e32 v19, 0x38000000, v12
.LBB6_11354:                            ;   in Loop: Header=BB6_9788 Depth=3
	s_and_not1_saveexec_b32 s72, s13
; %bb.11355:                            ;   in Loop: Header=BB6_9788 Depth=3
	v_cmp_lt_i64_e64 s13, -1, v[14:15]
	v_mov_b32_e32 v12, 0x7f800000
	v_cmp_eq_u32_e32 vcc_lo, 0, v85
	s_delay_alu instid0(VALU_DEP_2) | instskip(NEXT) | instid1(VALU_DEP_1)
	v_cndmask_b32_e64 v12, 0xff800000, v12, s13
	v_cndmask_b32_e32 v19, 0x7f800001, v12, vcc_lo
; %bb.11356:                            ;   in Loop: Header=BB6_9788 Depth=3
	s_or_b32 exec_lo, exec_lo, s72
.LBB6_11357:                            ;   in Loop: Header=BB6_9788 Depth=3
	s_delay_alu instid0(SALU_CYCLE_1)
	s_or_b32 exec_lo, exec_lo, s43
.LBB6_11358:                            ;   in Loop: Header=BB6_9788 Depth=3
	s_delay_alu instid0(SALU_CYCLE_1) | instskip(NEXT) | instid1(SALU_CYCLE_1)
	s_or_b32 exec_lo, exec_lo, s42
	s_mov_b32 s42, exec_lo
	v_cmpx_lt_u64_e64 s[22:23], v[4:5]
	s_cbranch_execz .LBB6_11368
; %bb.11359:                            ;   in Loop: Header=BB6_9788 Depth=3
	v_lshrrev_b32_e32 v12, 24, v5
	v_bfrev_b32_e32 v13, 1
	s_mov_b32 s43, exec_lo
	s_delay_alu instid0(VALU_DEP_2)
	v_cmpx_ne_u32_e32 0x80, v12
	s_cbranch_execz .LBB6_11367
; %bb.11360:                            ;   in Loop: Header=BB6_9788 Depth=3
	v_and_b32_e32 v13, 0x7c000000, v5
	v_bfe_u32 v14, v5, 24, 2
	s_delay_alu instid0(VALU_DEP_2) | instskip(SKIP_1) | instid1(SALU_CYCLE_1)
	v_cmp_ne_u32_e32 vcc_lo, 0x7c000000, v13
                                        ; implicit-def: $vgpr13
	s_and_saveexec_b32 s13, vcc_lo
	s_xor_b32 s13, exec_lo, s13
	s_cbranch_execz .LBB6_11364
; %bb.11361:                            ;   in Loop: Header=BB6_9788 Depth=3
	v_bfe_u32 v13, v5, 26, 5
	s_mov_b32 s72, exec_lo
	s_delay_alu instid0(VALU_DEP_1)
	v_cmpx_eq_u32_e32 0, v13
; %bb.11362:                            ;   in Loop: Header=BB6_9788 Depth=3
	v_clz_i32_u32_e32 v13, v14
	s_delay_alu instid0(VALU_DEP_1) | instskip(NEXT) | instid1(VALU_DEP_1)
	v_min_u32_e32 v14, 32, v13
	v_subrev_nc_u32_e32 v13, 29, v14
	s_delay_alu instid0(VALU_DEP_1) | instskip(NEXT) | instid1(VALU_DEP_1)
	v_lshlrev_b64_e32 v[12:13], v13, v[12:13]
	v_dual_sub_nc_u32 v13, 30, v14 :: v_dual_bitop2_b32 v14, 3, v12 bitop3:0x40
; %bb.11363:                            ;   in Loop: Header=BB6_9788 Depth=3
	s_or_b32 exec_lo, exec_lo, s72
	v_and_b32_e32 v12, 0x80000000, v5
	s_delay_alu instid0(VALU_DEP_1) | instskip(NEXT) | instid1(VALU_DEP_1)
	v_lshl_add_u32 v12, v13, 23, v12
	v_lshl_or_b32 v12, v14, 21, v12
                                        ; implicit-def: $vgpr14
	s_delay_alu instid0(VALU_DEP_1)
	v_add_nc_u32_e32 v13, 0x38000000, v12
.LBB6_11364:                            ;   in Loop: Header=BB6_9788 Depth=3
	s_and_not1_saveexec_b32 s72, s13
; %bb.11365:                            ;   in Loop: Header=BB6_9788 Depth=3
	v_cmp_lt_i64_e64 s13, -1, v[4:5]
	v_mov_b32_e32 v4, 0x7f800000
	v_cmp_eq_u32_e32 vcc_lo, 0, v14
	s_delay_alu instid0(VALU_DEP_2) | instskip(NEXT) | instid1(VALU_DEP_1)
	v_cndmask_b32_e64 v4, 0xff800000, v4, s13
	v_cndmask_b32_e32 v13, 0x7f800001, v4, vcc_lo
; %bb.11366:                            ;   in Loop: Header=BB6_9788 Depth=3
	s_or_b32 exec_lo, exec_lo, s72
.LBB6_11367:                            ;   in Loop: Header=BB6_9788 Depth=3
	s_delay_alu instid0(SALU_CYCLE_1)
	s_or_b32 exec_lo, exec_lo, s43
.LBB6_11368:                            ;   in Loop: Header=BB6_9788 Depth=3
	s_delay_alu instid0(SALU_CYCLE_1) | instskip(NEXT) | instid1(VALU_DEP_1)
	s_or_b32 exec_lo, exec_lo, s42
	v_dual_mul_f32 v12, v19, v13 :: v_dual_mov_b32 v15, v21
	v_mov_b32_e32 v5, v21
                                        ; implicit-def: $vgpr19
	s_mov_b32 s13, exec_lo
	s_delay_alu instid0(VALU_DEP_2) | instskip(SKIP_2) | instid1(VALU_DEP_3)
	v_and_b32_e32 v14, 0x7f800000, v12
	v_and_b32_e32 v4, 0x7fffff, v12
	v_lshrrev_b32_e32 v13, 24, v12
	v_cmpx_ne_u64_e32 0x7f800000, v[14:15]
	s_xor_b32 s42, exec_lo, s13
	s_cbranch_execz .LBB6_11382
; %bb.11369:                            ;   in Loop: Header=BB6_9788 Depth=3
	v_and_b32_e32 v14, 0x7fffffff, v12
	v_mov_b32_e32 v15, v21
                                        ; implicit-def: $vgpr19
	s_delay_alu instid0(VALU_DEP_1) | instskip(SKIP_2) | instid1(SALU_CYCLE_1)
	v_cmp_gt_u64_e32 vcc_lo, 0x47600001, v[14:15]
	v_and_b32_e32 v14, 0x80, v13
	s_and_saveexec_b32 s13, vcc_lo
	s_xor_b32 s43, exec_lo, s13
	s_cbranch_execz .LBB6_11379
; %bb.11370:                            ;   in Loop: Header=BB6_9788 Depth=3
	v_mov_b32_e32 v19, 0
	s_mov_b32 s72, exec_lo
	v_cmpx_ne_u32_e32 0, v12
	s_cbranch_execz .LBB6_11378
; %bb.11371:                            ;   in Loop: Header=BB6_9788 Depth=3
	v_bfe_u32 v15, v12, 23, 8
	v_or_b32_e32 v13, 0x800000, v4
	s_delay_alu instid0(VALU_DEP_2) | instskip(SKIP_2) | instid1(VALU_DEP_2)
	v_cmp_gt_u32_e64 s13, 0x72, v15
	v_sub_nc_u32_e32 v12, 0x71, v15
	v_cmp_eq_u32_e32 vcc_lo, 0, v15
	v_cndmask_b32_e64 v12, 0, v12, s13
	s_delay_alu instid0(VALU_DEP_1) | instskip(NEXT) | instid1(VALU_DEP_1)
	v_cndmask_b32_e64 v19, v12, 0x70, vcc_lo
	v_dual_cndmask_b32 v4, v13, v4, vcc_lo :: v_dual_add_nc_u32 v12, 21, v19
	v_add_nc_u32_e32 v85, 20, v19
	s_delay_alu instid0(VALU_DEP_2) | instskip(NEXT) | instid1(VALU_DEP_2)
	v_lshlrev_b64_e64 v[12:13], v12, -1
	v_lshlrev_b64_e64 v[86:87], v85, 1
	s_delay_alu instid0(VALU_DEP_2) | instskip(SKIP_1) | instid1(VALU_DEP_4)
	v_bfi_b32 v12, v12, 0, v4
	v_lshrrev_b64 v[4:5], v19, v[4:5]
	v_bfi_b32 v13, v13, 0, 0
	s_delay_alu instid0(VALU_DEP_1) | instskip(NEXT) | instid1(VALU_DEP_3)
	v_cmp_eq_u64_e64 s13, v[12:13], v[86:87]
	v_mov_b64_e32 v[12:13], v[4:5]
	s_and_saveexec_b32 s73, s13
; %bb.11372:                            ;   in Loop: Header=BB6_9788 Depth=3
	v_bfe_u32 v12, v4, 21, 1
	v_mov_b32_e32 v13, v21
	s_delay_alu instid0(VALU_DEP_1) | instskip(NEXT) | instid1(VALU_DEP_1)
	v_add_nc_u64_e32 v[12:13], v[4:5], v[12:13]
	v_add_nc_u64_e32 v[12:13], -1, v[12:13]
; %bb.11373:                            ;   in Loop: Header=BB6_9788 Depth=3
	s_or_b32 exec_lo, exec_lo, s73
	v_add_nc_u32_e32 v5, 0xffffff81, v15
	v_lshrrev_b32_e32 v13, 23, v4
	s_mov_b32 s13, exec_lo
	s_delay_alu instid0(VALU_DEP_2) | instskip(NEXT) | instid1(VALU_DEP_1)
	v_cndmask_b32_e64 v5, v5, 0xffffff82, vcc_lo
	v_add3_u32 v15, v19, v5, v13
	v_and_b32_e32 v5, 0x1fffff, v12
                                        ; implicit-def: $vgpr12
	s_delay_alu instid0(VALU_DEP_1) | instskip(SKIP_1) | instid1(VALU_DEP_2)
	v_dual_add_nc_u32 v13, 14, v15 :: v_dual_add_nc_u32 v4, v5, v4
	v_mov_b32_e32 v5, v21
	v_cmpx_ne_u32_e32 0, v13
	s_xor_b32 s13, exec_lo, s13
; %bb.11374:                            ;   in Loop: Header=BB6_9788 Depth=3
	s_delay_alu instid0(VALU_DEP_2) | instskip(SKIP_1) | instid1(VALU_DEP_1)
	v_cmp_lt_u64_e32 vcc_lo, 0xffffff, v[4:5]
	v_add_nc_u32_e32 v12, 15, v15
	v_cndmask_b32_e32 v12, v13, v12, vcc_lo
	v_cndmask_b32_e64 v13, 0, 1, vcc_lo
	s_delay_alu instid0(VALU_DEP_1)
	v_lshrrev_b64 v[4:5], v13, v[4:5]
; %bb.11375:                            ;   in Loop: Header=BB6_9788 Depth=3
	s_and_not1_saveexec_b32 s13, s13
; %bb.11376:                            ;   in Loop: Header=BB6_9788 Depth=3
	s_delay_alu instid0(VALU_DEP_1)
	v_bfe_u32 v12, v4, 23, 1
; %bb.11377:                            ;   in Loop: Header=BB6_9788 Depth=3
	s_or_b32 exec_lo, exec_lo, s13
	s_delay_alu instid0(VALU_DEP_2) | instskip(NEXT) | instid1(VALU_DEP_2)
	v_lshrrev_b64 v[4:5], 21, v[4:5]
	v_cmp_gt_i32_e32 vcc_lo, 32, v12
	v_min_i32_e32 v13, 31, v12
	v_cmp_eq_u32_e64 s13, 0, v12
	s_delay_alu instid0(VALU_DEP_4) | instskip(NEXT) | instid1(VALU_DEP_3)
	v_cndmask_b32_e32 v5, 0, v5, vcc_lo
	v_dual_cndmask_b32 v4, 3, v4 :: v_dual_lshlrev_b32 v13, 2, v13
	s_delay_alu instid0(VALU_DEP_1) | instskip(NEXT) | instid1(VALU_DEP_2)
	v_and_b32_e32 v13, 0xfc, v13
	v_cmp_eq_u64_e32 vcc_lo, 0, v[4:5]
	s_delay_alu instid0(VALU_DEP_2)
	v_and_or_b32 v4, v4, 3, v13
	s_and_b32 s13, s13, vcc_lo
	s_delay_alu instid0(VALU_DEP_1) | instid1(SALU_CYCLE_1)
	v_cndmask_b32_e64 v4, v4, 0, s13
	s_delay_alu instid0(VALU_DEP_1)
	v_or_b32_e32 v19, v4, v14
.LBB6_11378:                            ;   in Loop: Header=BB6_9788 Depth=3
	s_or_b32 exec_lo, exec_lo, s72
                                        ; implicit-def: $vgpr14
.LBB6_11379:                            ;   in Loop: Header=BB6_9788 Depth=3
	s_and_not1_saveexec_b32 s13, s43
; %bb.11380:                            ;   in Loop: Header=BB6_9788 Depth=3
	v_or_b32_e32 v19, 0x7b, v14
; %bb.11381:                            ;   in Loop: Header=BB6_9788 Depth=3
	s_or_b32 exec_lo, exec_lo, s13
                                        ; implicit-def: $vgpr12
                                        ; implicit-def: $vgpr4_vgpr5
                                        ; implicit-def: $vgpr13
.LBB6_11382:                            ;   in Loop: Header=BB6_9788 Depth=3
	s_and_not1_saveexec_b32 s13, s42
	s_cbranch_execz .LBB6_11388
; %bb.11383:                            ;   in Loop: Header=BB6_9788 Depth=3
	s_mov_b32 s42, exec_lo
                                        ; implicit-def: $vgpr19
	v_cmpx_ne_u64_e32 0, v[4:5]
	s_xor_b32 s42, exec_lo, s42
; %bb.11384:                            ;   in Loop: Header=BB6_9788 Depth=3
	v_or_b32_e32 v19, 0x7f, v13
                                        ; implicit-def: $vgpr12
; %bb.11385:                            ;   in Loop: Header=BB6_9788 Depth=3
	s_and_not1_saveexec_b32 s42, s42
; %bb.11386:                            ;   in Loop: Header=BB6_9788 Depth=3
	v_cmp_lt_i32_e32 vcc_lo, -1, v12
	v_mov_b32_e32 v4, 0x7c
	s_delay_alu instid0(VALU_DEP_1)
	v_cndmask_b32_e32 v19, 0xfc, v4, vcc_lo
; %bb.11387:                            ;   in Loop: Header=BB6_9788 Depth=3
	s_or_b32 exec_lo, exec_lo, s42
.LBB6_11388:                            ;   in Loop: Header=BB6_9788 Depth=3
	s_delay_alu instid0(SALU_CYCLE_1) | instskip(SKIP_2) | instid1(VALU_DEP_2)
	s_or_b32 exec_lo, exec_lo, s13
	v_and_b32_e32 v5, 0xff, v16
	v_mov_b32_e32 v4, 0
	v_cmp_ne_u16_e32 vcc_lo, 0, v5
	v_mov_b32_e32 v5, 0
	s_and_saveexec_b32 s42, vcc_lo
	s_cbranch_execz .LBB6_11398
; %bb.11389:                            ;   in Loop: Header=BB6_9788 Depth=3
	v_bfe_i32 v13, v16, 0, 8
	v_bfrev_b32_e32 v5, 1
	s_mov_b32 s43, exec_lo
	s_delay_alu instid0(VALU_DEP_2)
	v_cmpx_ne_u16_e32 0xff80, v13
	s_cbranch_execz .LBB6_11397
; %bb.11390:                            ;   in Loop: Header=BB6_9788 Depth=3
	v_and_b32_e32 v5, 0x7c, v16
	v_and_b32_e32 v12, 3, v16
	s_delay_alu instid0(VALU_DEP_2) | instskip(SKIP_1) | instid1(SALU_CYCLE_1)
	v_cmp_ne_u32_e32 vcc_lo, 0x7c, v5
                                        ; implicit-def: $vgpr5
	s_and_saveexec_b32 s13, vcc_lo
	s_xor_b32 s13, exec_lo, s13
	s_cbranch_execz .LBB6_11394
; %bb.11391:                            ;   in Loop: Header=BB6_9788 Depth=3
	v_bfe_u32 v5, v16, 2, 5
	s_mov_b32 s72, exec_lo
	s_delay_alu instid0(VALU_DEP_1)
	v_cmpx_eq_u32_e32 0, v5
; %bb.11392:                            ;   in Loop: Header=BB6_9788 Depth=3
	v_clz_i32_u32_e32 v5, v12
	s_delay_alu instid0(VALU_DEP_1) | instskip(NEXT) | instid1(VALU_DEP_1)
	v_min_u32_e32 v5, 32, v5
	v_subrev_nc_u32_e32 v12, 29, v5
	s_delay_alu instid0(VALU_DEP_1) | instskip(NEXT) | instid1(VALU_DEP_1)
	v_lshlrev_b64_e32 v[12:13], v12, v[16:17]
	v_dual_sub_nc_u32 v5, 30, v5 :: v_dual_bitop2_b32 v12, 3, v12 bitop3:0x40
; %bb.11393:                            ;   in Loop: Header=BB6_9788 Depth=3
	s_or_b32 exec_lo, exec_lo, s72
	v_lshlrev_b32_e32 v13, 24, v16
	s_delay_alu instid0(VALU_DEP_1) | instskip(NEXT) | instid1(VALU_DEP_1)
	v_and_b32_e32 v13, 0x80000000, v13
	v_lshl_add_u32 v5, v5, 23, v13
                                        ; implicit-def: $vgpr13
	s_delay_alu instid0(VALU_DEP_1) | instskip(NEXT) | instid1(VALU_DEP_1)
	v_lshl_or_b32 v5, v12, 21, v5
                                        ; implicit-def: $vgpr12
	v_add_nc_u32_e32 v5, 0x38000000, v5
.LBB6_11394:                            ;   in Loop: Header=BB6_9788 Depth=3
	s_and_not1_saveexec_b32 s72, s13
; %bb.11395:                            ;   in Loop: Header=BB6_9788 Depth=3
	v_cmp_lt_i16_e64 s13, -1, v13
	v_mov_b32_e32 v5, 0x7f800000
	v_cmp_eq_u32_e32 vcc_lo, 0, v12
	s_delay_alu instid0(VALU_DEP_2) | instskip(NEXT) | instid1(VALU_DEP_1)
	v_cndmask_b32_e64 v5, 0xff800000, v5, s13
	v_cndmask_b32_e32 v5, 0x7f800001, v5, vcc_lo
; %bb.11396:                            ;   in Loop: Header=BB6_9788 Depth=3
	s_or_b32 exec_lo, exec_lo, s72
.LBB6_11397:                            ;   in Loop: Header=BB6_9788 Depth=3
	s_delay_alu instid0(SALU_CYCLE_1)
	s_or_b32 exec_lo, exec_lo, s43
.LBB6_11398:                            ;   in Loop: Header=BB6_9788 Depth=3
	s_delay_alu instid0(SALU_CYCLE_1) | instskip(SKIP_2) | instid1(VALU_DEP_1)
	s_or_b32 exec_lo, exec_lo, s42
	v_and_b32_e32 v12, 0xff, v6
	s_mov_b32 s42, exec_lo
	v_cmpx_ne_u16_e32 0, v12
	s_cbranch_execz .LBB6_11408
; %bb.11399:                            ;   in Loop: Header=BB6_9788 Depth=3
	v_bfe_i32 v13, v6, 0, 8
	v_bfrev_b32_e32 v4, 1
	s_mov_b32 s43, exec_lo
	s_delay_alu instid0(VALU_DEP_2)
	v_cmpx_ne_u16_e32 0xff80, v13
	s_cbranch_execz .LBB6_11407
; %bb.11400:                            ;   in Loop: Header=BB6_9788 Depth=3
	v_and_b32_e32 v4, 0x7c, v6
	v_and_b32_e32 v12, 3, v6
	s_delay_alu instid0(VALU_DEP_2) | instskip(SKIP_1) | instid1(SALU_CYCLE_1)
	v_cmp_ne_u32_e32 vcc_lo, 0x7c, v4
                                        ; implicit-def: $vgpr4
	s_and_saveexec_b32 s13, vcc_lo
	s_xor_b32 s13, exec_lo, s13
	s_cbranch_execz .LBB6_11404
; %bb.11401:                            ;   in Loop: Header=BB6_9788 Depth=3
	v_bfe_u32 v4, v6, 2, 5
	s_mov_b32 s72, exec_lo
	s_delay_alu instid0(VALU_DEP_1)
	v_cmpx_eq_u32_e32 0, v4
; %bb.11402:                            ;   in Loop: Header=BB6_9788 Depth=3
	v_clz_i32_u32_e32 v4, v12
	s_delay_alu instid0(VALU_DEP_1) | instskip(NEXT) | instid1(VALU_DEP_1)
	v_min_u32_e32 v4, 32, v4
	v_subrev_nc_u32_e32 v12, 29, v4
	v_sub_nc_u32_e32 v4, 30, v4
	s_delay_alu instid0(VALU_DEP_2) | instskip(NEXT) | instid1(VALU_DEP_1)
	v_lshlrev_b64_e32 v[12:13], v12, v[6:7]
	v_and_b32_e32 v12, 3, v12
; %bb.11403:                            ;   in Loop: Header=BB6_9788 Depth=3
	s_or_b32 exec_lo, exec_lo, s72
	v_lshlrev_b32_e32 v13, 24, v6
	s_delay_alu instid0(VALU_DEP_1) | instskip(NEXT) | instid1(VALU_DEP_1)
	v_and_b32_e32 v13, 0x80000000, v13
	v_lshl_add_u32 v4, v4, 23, v13
                                        ; implicit-def: $vgpr13
	s_delay_alu instid0(VALU_DEP_1) | instskip(NEXT) | instid1(VALU_DEP_1)
	v_lshl_or_b32 v4, v12, 21, v4
                                        ; implicit-def: $vgpr12
	v_add_nc_u32_e32 v4, 0x38000000, v4
.LBB6_11404:                            ;   in Loop: Header=BB6_9788 Depth=3
	s_and_not1_saveexec_b32 s72, s13
; %bb.11405:                            ;   in Loop: Header=BB6_9788 Depth=3
	v_cmp_lt_i16_e64 s13, -1, v13
	v_mov_b32_e32 v4, 0x7f800000
	v_cmp_eq_u32_e32 vcc_lo, 0, v12
	s_delay_alu instid0(VALU_DEP_2) | instskip(NEXT) | instid1(VALU_DEP_1)
	v_cndmask_b32_e64 v4, 0xff800000, v4, s13
	v_cndmask_b32_e32 v4, 0x7f800001, v4, vcc_lo
; %bb.11406:                            ;   in Loop: Header=BB6_9788 Depth=3
	s_or_b32 exec_lo, exec_lo, s72
.LBB6_11407:                            ;   in Loop: Header=BB6_9788 Depth=3
	s_delay_alu instid0(SALU_CYCLE_1)
	s_or_b32 exec_lo, exec_lo, s43
.LBB6_11408:                            ;   in Loop: Header=BB6_9788 Depth=3
	s_delay_alu instid0(SALU_CYCLE_1) | instskip(NEXT) | instid1(VALU_DEP_1)
	s_or_b32 exec_lo, exec_lo, s42
	v_mul_f32_e32 v12, v5, v4
	v_dual_mov_b32 v15, v21 :: v_dual_mov_b32 v5, v21
                                        ; implicit-def: $vgpr85
	s_mov_b32 s13, exec_lo
	s_delay_alu instid0(VALU_DEP_2) | instskip(SKIP_2) | instid1(VALU_DEP_3)
	v_and_b32_e32 v14, 0x7f800000, v12
	v_and_b32_e32 v4, 0x7fffff, v12
	v_lshrrev_b32_e32 v13, 24, v12
	v_cmpx_ne_u64_e32 0x7f800000, v[14:15]
	s_xor_b32 s42, exec_lo, s13
	s_cbranch_execz .LBB6_11422
; %bb.11409:                            ;   in Loop: Header=BB6_9788 Depth=3
	v_and_b32_e32 v14, 0x7fffffff, v12
	v_mov_b32_e32 v15, v21
                                        ; implicit-def: $vgpr85
	s_delay_alu instid0(VALU_DEP_1) | instskip(SKIP_2) | instid1(SALU_CYCLE_1)
	v_cmp_gt_u64_e32 vcc_lo, 0x47600001, v[14:15]
	v_and_b32_e32 v14, 0x80, v13
	s_and_saveexec_b32 s13, vcc_lo
	s_xor_b32 s43, exec_lo, s13
	s_cbranch_execz .LBB6_11419
; %bb.11410:                            ;   in Loop: Header=BB6_9788 Depth=3
	v_mov_b32_e32 v85, 0
	s_mov_b32 s72, exec_lo
	v_cmpx_ne_u32_e32 0, v12
	s_cbranch_execz .LBB6_11418
; %bb.11411:                            ;   in Loop: Header=BB6_9788 Depth=3
	v_bfe_u32 v15, v12, 23, 8
	v_or_b32_e32 v13, 0x800000, v4
	s_delay_alu instid0(VALU_DEP_2) | instskip(SKIP_2) | instid1(VALU_DEP_2)
	v_cmp_gt_u32_e64 s13, 0x72, v15
	v_sub_nc_u32_e32 v12, 0x71, v15
	v_cmp_eq_u32_e32 vcc_lo, 0, v15
	v_cndmask_b32_e64 v12, 0, v12, s13
	s_delay_alu instid0(VALU_DEP_1) | instskip(NEXT) | instid1(VALU_DEP_1)
	v_cndmask_b32_e64 v85, v12, 0x70, vcc_lo
	v_dual_cndmask_b32 v4, v13, v4, vcc_lo :: v_dual_add_nc_u32 v12, 21, v85
	v_add_nc_u32_e32 v86, 20, v85
	s_delay_alu instid0(VALU_DEP_2) | instskip(NEXT) | instid1(VALU_DEP_2)
	v_lshlrev_b64_e64 v[12:13], v12, -1
	v_lshlrev_b64_e64 v[86:87], v86, 1
	s_delay_alu instid0(VALU_DEP_2) | instskip(SKIP_1) | instid1(VALU_DEP_4)
	v_bfi_b32 v12, v12, 0, v4
	v_lshrrev_b64 v[4:5], v85, v[4:5]
	v_bfi_b32 v13, v13, 0, 0
	s_delay_alu instid0(VALU_DEP_1) | instskip(NEXT) | instid1(VALU_DEP_3)
	v_cmp_eq_u64_e64 s13, v[12:13], v[86:87]
	v_mov_b64_e32 v[12:13], v[4:5]
	s_and_saveexec_b32 s73, s13
; %bb.11412:                            ;   in Loop: Header=BB6_9788 Depth=3
	v_bfe_u32 v12, v4, 21, 1
	v_mov_b32_e32 v13, v21
	s_delay_alu instid0(VALU_DEP_1) | instskip(NEXT) | instid1(VALU_DEP_1)
	v_add_nc_u64_e32 v[12:13], v[4:5], v[12:13]
	v_add_nc_u64_e32 v[12:13], -1, v[12:13]
; %bb.11413:                            ;   in Loop: Header=BB6_9788 Depth=3
	s_or_b32 exec_lo, exec_lo, s73
	v_add_nc_u32_e32 v5, 0xffffff81, v15
	v_lshrrev_b32_e32 v13, 23, v4
	s_mov_b32 s13, exec_lo
	s_delay_alu instid0(VALU_DEP_2) | instskip(NEXT) | instid1(VALU_DEP_1)
	v_cndmask_b32_e64 v5, v5, 0xffffff82, vcc_lo
	v_add3_u32 v15, v85, v5, v13
	v_and_b32_e32 v5, 0x1fffff, v12
                                        ; implicit-def: $vgpr12
	s_delay_alu instid0(VALU_DEP_1) | instskip(SKIP_1) | instid1(VALU_DEP_2)
	v_dual_add_nc_u32 v13, 14, v15 :: v_dual_add_nc_u32 v4, v5, v4
	v_mov_b32_e32 v5, v21
	v_cmpx_ne_u32_e32 0, v13
	s_xor_b32 s13, exec_lo, s13
; %bb.11414:                            ;   in Loop: Header=BB6_9788 Depth=3
	s_delay_alu instid0(VALU_DEP_2) | instskip(SKIP_1) | instid1(VALU_DEP_1)
	v_cmp_lt_u64_e32 vcc_lo, 0xffffff, v[4:5]
	v_add_nc_u32_e32 v12, 15, v15
	v_cndmask_b32_e32 v12, v13, v12, vcc_lo
	v_cndmask_b32_e64 v13, 0, 1, vcc_lo
	s_delay_alu instid0(VALU_DEP_1)
	v_lshrrev_b64 v[4:5], v13, v[4:5]
; %bb.11415:                            ;   in Loop: Header=BB6_9788 Depth=3
	s_and_not1_saveexec_b32 s13, s13
; %bb.11416:                            ;   in Loop: Header=BB6_9788 Depth=3
	s_delay_alu instid0(VALU_DEP_1)
	v_bfe_u32 v12, v4, 23, 1
; %bb.11417:                            ;   in Loop: Header=BB6_9788 Depth=3
	s_or_b32 exec_lo, exec_lo, s13
	s_delay_alu instid0(VALU_DEP_2) | instskip(NEXT) | instid1(VALU_DEP_2)
	v_lshrrev_b64 v[4:5], 21, v[4:5]
	v_cmp_gt_i32_e32 vcc_lo, 32, v12
	v_min_i32_e32 v13, 31, v12
	v_cmp_eq_u32_e64 s13, 0, v12
	s_delay_alu instid0(VALU_DEP_4) | instskip(NEXT) | instid1(VALU_DEP_3)
	v_cndmask_b32_e32 v5, 0, v5, vcc_lo
	v_dual_cndmask_b32 v4, 3, v4 :: v_dual_lshlrev_b32 v13, 2, v13
	s_delay_alu instid0(VALU_DEP_1) | instskip(NEXT) | instid1(VALU_DEP_2)
	v_and_b32_e32 v13, 0xfc, v13
	v_cmp_eq_u64_e32 vcc_lo, 0, v[4:5]
	s_delay_alu instid0(VALU_DEP_2)
	v_and_or_b32 v4, v4, 3, v13
	s_and_b32 s13, s13, vcc_lo
	s_delay_alu instid0(VALU_DEP_1) | instid1(SALU_CYCLE_1)
	v_cndmask_b32_e64 v4, v4, 0, s13
	s_delay_alu instid0(VALU_DEP_1)
	v_or_b32_e32 v85, v4, v14
.LBB6_11418:                            ;   in Loop: Header=BB6_9788 Depth=3
	s_or_b32 exec_lo, exec_lo, s72
                                        ; implicit-def: $vgpr14
.LBB6_11419:                            ;   in Loop: Header=BB6_9788 Depth=3
	s_and_not1_saveexec_b32 s13, s43
; %bb.11420:                            ;   in Loop: Header=BB6_9788 Depth=3
	v_or_b32_e32 v85, 0x7b, v14
; %bb.11421:                            ;   in Loop: Header=BB6_9788 Depth=3
	s_or_b32 exec_lo, exec_lo, s13
                                        ; implicit-def: $vgpr12
                                        ; implicit-def: $vgpr4_vgpr5
                                        ; implicit-def: $vgpr13
.LBB6_11422:                            ;   in Loop: Header=BB6_9788 Depth=3
	s_and_not1_saveexec_b32 s13, s42
	s_cbranch_execz .LBB6_11428
; %bb.11423:                            ;   in Loop: Header=BB6_9788 Depth=3
	s_mov_b32 s42, exec_lo
                                        ; implicit-def: $vgpr85
	v_cmpx_ne_u64_e32 0, v[4:5]
	s_xor_b32 s42, exec_lo, s42
; %bb.11424:                            ;   in Loop: Header=BB6_9788 Depth=3
	v_or_b32_e32 v85, 0x7f, v13
                                        ; implicit-def: $vgpr12
; %bb.11425:                            ;   in Loop: Header=BB6_9788 Depth=3
	s_and_not1_saveexec_b32 s42, s42
; %bb.11426:                            ;   in Loop: Header=BB6_9788 Depth=3
	v_cmp_lt_i32_e32 vcc_lo, -1, v12
	v_mov_b32_e32 v4, 0x7c
	s_delay_alu instid0(VALU_DEP_1)
	v_cndmask_b32_e32 v85, 0xfc, v4, vcc_lo
; %bb.11427:                            ;   in Loop: Header=BB6_9788 Depth=3
	s_or_b32 exec_lo, exec_lo, s42
.LBB6_11428:                            ;   in Loop: Header=BB6_9788 Depth=3
	s_delay_alu instid0(SALU_CYCLE_1) | instskip(SKIP_3) | instid1(VALU_DEP_2)
	s_or_b32 exec_lo, exec_lo, s13
	v_lshrrev_b16 v4, 8, v16
	v_dual_mov_b32 v12, 0 :: v_dual_mov_b32 v13, 0
	s_mov_b32 s42, exec_lo
	v_cmpx_ne_u16_e32 0, v4
	s_cbranch_execz .LBB6_11438
; %bb.11429:                            ;   in Loop: Header=BB6_9788 Depth=3
	v_bfrev_b32_e32 v13, 1
	s_mov_b32 s43, exec_lo
	v_cmpx_ne_u16_e32 0x80, v4
	s_cbranch_execz .LBB6_11437
; %bb.11430:                            ;   in Loop: Header=BB6_9788 Depth=3
	v_and_b32_e32 v14, 0xffff, v4
	s_delay_alu instid0(VALU_DEP_1) | instskip(SKIP_1) | instid1(VALU_DEP_2)
	v_and_b32_e32 v13, 0x7c, v14
	v_and_b32_e32 v5, 3, v14
	v_cmp_ne_u32_e32 vcc_lo, 0x7c, v13
                                        ; implicit-def: $vgpr13
	s_and_saveexec_b32 s13, vcc_lo
	s_delay_alu instid0(SALU_CYCLE_1)
	s_xor_b32 s13, exec_lo, s13
	s_cbranch_execz .LBB6_11434
; %bb.11431:                            ;   in Loop: Header=BB6_9788 Depth=3
	v_bfe_u32 v13, v14, 2, 5
	s_mov_b32 s72, exec_lo
	s_delay_alu instid0(VALU_DEP_1)
	v_cmpx_eq_u32_e32 0, v13
	s_cbranch_execz .LBB6_11433
; %bb.11432:                            ;   in Loop: Header=BB6_9788 Depth=3
	v_clz_i32_u32_e32 v5, v5
	s_delay_alu instid0(VALU_DEP_1) | instskip(SKIP_1) | instid1(VALU_DEP_2)
	v_min_u32_e32 v13, 32, v5
	v_mov_b32_e32 v5, v21
	v_subrev_nc_u32_e32 v14, 29, v13
	v_sub_nc_u32_e32 v13, 30, v13
	s_delay_alu instid0(VALU_DEP_2) | instskip(NEXT) | instid1(VALU_DEP_1)
	v_lshlrev_b64_e32 v[4:5], v14, v[4:5]
	v_and_b32_e32 v5, 3, v4
.LBB6_11433:                            ;   in Loop: Header=BB6_9788 Depth=3
	s_or_b32 exec_lo, exec_lo, s72
	v_lshlrev_b32_e32 v4, 16, v16
	s_delay_alu instid0(VALU_DEP_1) | instskip(NEXT) | instid1(VALU_DEP_1)
	v_and_b32_e32 v4, 0x80000000, v4
	v_lshl_add_u32 v4, v13, 23, v4
	s_delay_alu instid0(VALU_DEP_1) | instskip(NEXT) | instid1(VALU_DEP_1)
	v_lshl_or_b32 v4, v5, 21, v4
                                        ; implicit-def: $vgpr5
	v_add_nc_u32_e32 v13, 0x38000000, v4
.LBB6_11434:                            ;   in Loop: Header=BB6_9788 Depth=3
	s_and_not1_saveexec_b32 s72, s13
; %bb.11435:                            ;   in Loop: Header=BB6_9788 Depth=3
	v_cmp_lt_i16_e64 s13, -1, v16
	v_mov_b32_e32 v4, 0x7f800000
	v_cmp_eq_u32_e32 vcc_lo, 0, v5
	s_delay_alu instid0(VALU_DEP_2) | instskip(NEXT) | instid1(VALU_DEP_1)
	v_cndmask_b32_e64 v4, 0xff800000, v4, s13
	v_cndmask_b32_e32 v13, 0x7f800001, v4, vcc_lo
; %bb.11436:                            ;   in Loop: Header=BB6_9788 Depth=3
	s_or_b32 exec_lo, exec_lo, s72
.LBB6_11437:                            ;   in Loop: Header=BB6_9788 Depth=3
	s_delay_alu instid0(SALU_CYCLE_1)
	s_or_b32 exec_lo, exec_lo, s43
.LBB6_11438:                            ;   in Loop: Header=BB6_9788 Depth=3
	s_delay_alu instid0(SALU_CYCLE_1) | instskip(SKIP_2) | instid1(VALU_DEP_1)
	s_or_b32 exec_lo, exec_lo, s42
	v_lshrrev_b16 v4, 8, v6
	s_mov_b32 s42, exec_lo
	v_cmpx_ne_u16_e32 0, v4
	s_cbranch_execz .LBB6_11448
; %bb.11439:                            ;   in Loop: Header=BB6_9788 Depth=3
	v_bfrev_b32_e32 v12, 1
	s_mov_b32 s43, exec_lo
	v_cmpx_ne_u16_e32 0x80, v4
	s_cbranch_execz .LBB6_11447
; %bb.11440:                            ;   in Loop: Header=BB6_9788 Depth=3
	v_and_b32_e32 v14, 0xffff, v4
	s_delay_alu instid0(VALU_DEP_1) | instskip(SKIP_1) | instid1(VALU_DEP_2)
	v_and_b32_e32 v12, 0x7c, v14
	v_and_b32_e32 v5, 3, v14
	v_cmp_ne_u32_e32 vcc_lo, 0x7c, v12
                                        ; implicit-def: $vgpr12
	s_and_saveexec_b32 s13, vcc_lo
	s_delay_alu instid0(SALU_CYCLE_1)
	s_xor_b32 s13, exec_lo, s13
	s_cbranch_execz .LBB6_11444
; %bb.11441:                            ;   in Loop: Header=BB6_9788 Depth=3
	v_bfe_u32 v12, v14, 2, 5
	s_mov_b32 s72, exec_lo
	s_delay_alu instid0(VALU_DEP_1)
	v_cmpx_eq_u32_e32 0, v12
	s_cbranch_execz .LBB6_11443
; %bb.11442:                            ;   in Loop: Header=BB6_9788 Depth=3
	v_clz_i32_u32_e32 v5, v5
	s_delay_alu instid0(VALU_DEP_1) | instskip(SKIP_1) | instid1(VALU_DEP_2)
	v_min_u32_e32 v12, 32, v5
	v_mov_b32_e32 v5, v21
	v_subrev_nc_u32_e32 v14, 29, v12
	v_sub_nc_u32_e32 v12, 30, v12
	s_delay_alu instid0(VALU_DEP_2) | instskip(NEXT) | instid1(VALU_DEP_1)
	v_lshlrev_b64_e32 v[4:5], v14, v[4:5]
	v_and_b32_e32 v5, 3, v4
.LBB6_11443:                            ;   in Loop: Header=BB6_9788 Depth=3
	s_or_b32 exec_lo, exec_lo, s72
	v_lshlrev_b32_e32 v4, 16, v6
	s_delay_alu instid0(VALU_DEP_1) | instskip(NEXT) | instid1(VALU_DEP_1)
	v_and_b32_e32 v4, 0x80000000, v4
	v_lshl_add_u32 v4, v12, 23, v4
	s_delay_alu instid0(VALU_DEP_1) | instskip(NEXT) | instid1(VALU_DEP_1)
	v_lshl_or_b32 v4, v5, 21, v4
                                        ; implicit-def: $vgpr5
	v_add_nc_u32_e32 v12, 0x38000000, v4
.LBB6_11444:                            ;   in Loop: Header=BB6_9788 Depth=3
	s_and_not1_saveexec_b32 s72, s13
; %bb.11445:                            ;   in Loop: Header=BB6_9788 Depth=3
	v_cmp_lt_i16_e64 s13, -1, v6
	v_mov_b32_e32 v4, 0x7f800000
	v_cmp_eq_u32_e32 vcc_lo, 0, v5
	s_delay_alu instid0(VALU_DEP_2) | instskip(NEXT) | instid1(VALU_DEP_1)
	v_cndmask_b32_e64 v4, 0xff800000, v4, s13
	v_cndmask_b32_e32 v12, 0x7f800001, v4, vcc_lo
; %bb.11446:                            ;   in Loop: Header=BB6_9788 Depth=3
	s_or_b32 exec_lo, exec_lo, s72
.LBB6_11447:                            ;   in Loop: Header=BB6_9788 Depth=3
	s_delay_alu instid0(SALU_CYCLE_1)
	s_or_b32 exec_lo, exec_lo, s43
.LBB6_11448:                            ;   in Loop: Header=BB6_9788 Depth=3
	s_delay_alu instid0(SALU_CYCLE_1) | instskip(NEXT) | instid1(VALU_DEP_1)
	s_or_b32 exec_lo, exec_lo, s42
	v_mul_f32_e32 v12, v13, v12
	v_dual_mov_b32 v15, v21 :: v_dual_mov_b32 v5, v21
                                        ; implicit-def: $vgpr86
	s_mov_b32 s13, exec_lo
	s_delay_alu instid0(VALU_DEP_2) | instskip(SKIP_2) | instid1(VALU_DEP_3)
	v_and_b32_e32 v14, 0x7f800000, v12
	v_and_b32_e32 v4, 0x7fffff, v12
	v_lshrrev_b32_e32 v13, 24, v12
	v_cmpx_ne_u64_e32 0x7f800000, v[14:15]
	s_xor_b32 s42, exec_lo, s13
	s_cbranch_execz .LBB6_11462
; %bb.11449:                            ;   in Loop: Header=BB6_9788 Depth=3
	v_and_b32_e32 v14, 0x7fffffff, v12
	v_mov_b32_e32 v15, v21
                                        ; implicit-def: $vgpr86
	s_delay_alu instid0(VALU_DEP_1) | instskip(SKIP_2) | instid1(SALU_CYCLE_1)
	v_cmp_gt_u64_e32 vcc_lo, 0x47600001, v[14:15]
	v_and_b32_e32 v14, 0x80, v13
	s_and_saveexec_b32 s13, vcc_lo
	s_xor_b32 s43, exec_lo, s13
	s_cbranch_execz .LBB6_11459
; %bb.11450:                            ;   in Loop: Header=BB6_9788 Depth=3
	v_mov_b32_e32 v86, 0
	s_mov_b32 s72, exec_lo
	v_cmpx_ne_u32_e32 0, v12
	s_cbranch_execz .LBB6_11458
; %bb.11451:                            ;   in Loop: Header=BB6_9788 Depth=3
	v_bfe_u32 v15, v12, 23, 8
	v_or_b32_e32 v13, 0x800000, v4
	s_delay_alu instid0(VALU_DEP_2) | instskip(SKIP_2) | instid1(VALU_DEP_2)
	v_cmp_gt_u32_e64 s13, 0x72, v15
	v_sub_nc_u32_e32 v12, 0x71, v15
	v_cmp_eq_u32_e32 vcc_lo, 0, v15
	v_cndmask_b32_e64 v12, 0, v12, s13
	s_delay_alu instid0(VALU_DEP_1) | instskip(NEXT) | instid1(VALU_DEP_1)
	v_cndmask_b32_e64 v86, v12, 0x70, vcc_lo
	v_dual_cndmask_b32 v4, v13, v4, vcc_lo :: v_dual_add_nc_u32 v12, 21, v86
	v_add_nc_u32_e32 v87, 20, v86
	s_delay_alu instid0(VALU_DEP_2) | instskip(NEXT) | instid1(VALU_DEP_2)
	v_lshlrev_b64_e64 v[12:13], v12, -1
	v_lshlrev_b64_e64 v[96:97], v87, 1
	s_delay_alu instid0(VALU_DEP_2) | instskip(SKIP_1) | instid1(VALU_DEP_4)
	v_bfi_b32 v12, v12, 0, v4
	v_lshrrev_b64 v[4:5], v86, v[4:5]
	v_bfi_b32 v13, v13, 0, 0
	s_delay_alu instid0(VALU_DEP_1) | instskip(NEXT) | instid1(VALU_DEP_3)
	v_cmp_eq_u64_e64 s13, v[12:13], v[96:97]
	v_mov_b64_e32 v[12:13], v[4:5]
	s_and_saveexec_b32 s73, s13
; %bb.11452:                            ;   in Loop: Header=BB6_9788 Depth=3
	v_bfe_u32 v12, v4, 21, 1
	v_mov_b32_e32 v13, v21
	s_delay_alu instid0(VALU_DEP_1) | instskip(NEXT) | instid1(VALU_DEP_1)
	v_add_nc_u64_e32 v[12:13], v[4:5], v[12:13]
	v_add_nc_u64_e32 v[12:13], -1, v[12:13]
; %bb.11453:                            ;   in Loop: Header=BB6_9788 Depth=3
	s_or_b32 exec_lo, exec_lo, s73
	v_add_nc_u32_e32 v5, 0xffffff81, v15
	v_lshrrev_b32_e32 v13, 23, v4
	s_mov_b32 s13, exec_lo
	s_delay_alu instid0(VALU_DEP_2) | instskip(NEXT) | instid1(VALU_DEP_1)
	v_cndmask_b32_e64 v5, v5, 0xffffff82, vcc_lo
	v_add3_u32 v15, v86, v5, v13
	v_and_b32_e32 v5, 0x1fffff, v12
                                        ; implicit-def: $vgpr12
	s_delay_alu instid0(VALU_DEP_1) | instskip(SKIP_1) | instid1(VALU_DEP_2)
	v_dual_add_nc_u32 v13, 14, v15 :: v_dual_add_nc_u32 v4, v5, v4
	v_mov_b32_e32 v5, v21
	v_cmpx_ne_u32_e32 0, v13
	s_xor_b32 s13, exec_lo, s13
; %bb.11454:                            ;   in Loop: Header=BB6_9788 Depth=3
	s_delay_alu instid0(VALU_DEP_2) | instskip(SKIP_1) | instid1(VALU_DEP_1)
	v_cmp_lt_u64_e32 vcc_lo, 0xffffff, v[4:5]
	v_add_nc_u32_e32 v12, 15, v15
	v_cndmask_b32_e32 v12, v13, v12, vcc_lo
	v_cndmask_b32_e64 v13, 0, 1, vcc_lo
	s_delay_alu instid0(VALU_DEP_1)
	v_lshrrev_b64 v[4:5], v13, v[4:5]
; %bb.11455:                            ;   in Loop: Header=BB6_9788 Depth=3
	s_and_not1_saveexec_b32 s13, s13
; %bb.11456:                            ;   in Loop: Header=BB6_9788 Depth=3
	s_delay_alu instid0(VALU_DEP_1)
	v_bfe_u32 v12, v4, 23, 1
; %bb.11457:                            ;   in Loop: Header=BB6_9788 Depth=3
	s_or_b32 exec_lo, exec_lo, s13
	s_delay_alu instid0(VALU_DEP_2) | instskip(NEXT) | instid1(VALU_DEP_2)
	v_lshrrev_b64 v[4:5], 21, v[4:5]
	v_cmp_gt_i32_e32 vcc_lo, 32, v12
	v_min_i32_e32 v13, 31, v12
	v_cmp_eq_u32_e64 s13, 0, v12
	s_delay_alu instid0(VALU_DEP_4) | instskip(NEXT) | instid1(VALU_DEP_3)
	v_cndmask_b32_e32 v5, 0, v5, vcc_lo
	v_dual_cndmask_b32 v4, 3, v4 :: v_dual_lshlrev_b32 v13, 2, v13
	s_delay_alu instid0(VALU_DEP_1) | instskip(NEXT) | instid1(VALU_DEP_2)
	v_and_b32_e32 v13, 0xfc, v13
	v_cmp_eq_u64_e32 vcc_lo, 0, v[4:5]
	s_delay_alu instid0(VALU_DEP_2)
	v_and_or_b32 v4, v4, 3, v13
	s_and_b32 s13, s13, vcc_lo
	s_delay_alu instid0(VALU_DEP_1) | instid1(SALU_CYCLE_1)
	v_cndmask_b32_e64 v4, v4, 0, s13
	s_delay_alu instid0(VALU_DEP_1)
	v_or_b32_e32 v86, v4, v14
.LBB6_11458:                            ;   in Loop: Header=BB6_9788 Depth=3
	s_or_b32 exec_lo, exec_lo, s72
                                        ; implicit-def: $vgpr14
.LBB6_11459:                            ;   in Loop: Header=BB6_9788 Depth=3
	s_and_not1_saveexec_b32 s13, s43
; %bb.11460:                            ;   in Loop: Header=BB6_9788 Depth=3
	v_or_b32_e32 v86, 0x7b, v14
; %bb.11461:                            ;   in Loop: Header=BB6_9788 Depth=3
	s_or_b32 exec_lo, exec_lo, s13
                                        ; implicit-def: $vgpr12
                                        ; implicit-def: $vgpr4_vgpr5
                                        ; implicit-def: $vgpr13
.LBB6_11462:                            ;   in Loop: Header=BB6_9788 Depth=3
	s_and_not1_saveexec_b32 s13, s42
	s_cbranch_execz .LBB6_11468
; %bb.11463:                            ;   in Loop: Header=BB6_9788 Depth=3
	s_mov_b32 s42, exec_lo
                                        ; implicit-def: $vgpr86
	v_cmpx_ne_u64_e32 0, v[4:5]
	s_xor_b32 s42, exec_lo, s42
; %bb.11464:                            ;   in Loop: Header=BB6_9788 Depth=3
	v_or_b32_e32 v86, 0x7f, v13
                                        ; implicit-def: $vgpr12
; %bb.11465:                            ;   in Loop: Header=BB6_9788 Depth=3
	s_and_not1_saveexec_b32 s42, s42
; %bb.11466:                            ;   in Loop: Header=BB6_9788 Depth=3
	v_cmp_lt_i32_e32 vcc_lo, -1, v12
	v_mov_b32_e32 v4, 0x7c
	s_delay_alu instid0(VALU_DEP_1)
	v_cndmask_b32_e32 v86, 0xfc, v4, vcc_lo
; %bb.11467:                            ;   in Loop: Header=BB6_9788 Depth=3
	s_or_b32 exec_lo, exec_lo, s42
.LBB6_11468:                            ;   in Loop: Header=BB6_9788 Depth=3
	s_delay_alu instid0(SALU_CYCLE_1) | instskip(SKIP_3) | instid1(VALU_DEP_2)
	s_or_b32 exec_lo, exec_lo, s13
	v_dual_mov_b32 v5, 0 :: v_dual_lshrrev_b32 v4, 16, v16
	v_mov_b32_e32 v12, 0
	s_mov_b32 s42, exec_lo
	v_and_b32_e32 v13, 0xff, v4
	s_delay_alu instid0(VALU_DEP_1)
	v_cmpx_ne_u16_e32 0, v13
	s_cbranch_execz .LBB6_11478
; %bb.11469:                            ;   in Loop: Header=BB6_9788 Depth=3
	v_bfrev_b32_e32 v12, 1
	s_mov_b32 s43, exec_lo
	v_cmpx_ne_u16_e32 0x80, v13
	s_cbranch_execz .LBB6_11477
; %bb.11470:                            ;   in Loop: Header=BB6_9788 Depth=3
	v_and_b32_e32 v12, 0x7c0000, v16
	v_bfe_u32 v13, v16, 16, 2
	s_delay_alu instid0(VALU_DEP_2) | instskip(SKIP_1) | instid1(SALU_CYCLE_1)
	v_cmp_ne_u32_e32 vcc_lo, 0x7c0000, v12
                                        ; implicit-def: $vgpr12
	s_and_saveexec_b32 s13, vcc_lo
	s_xor_b32 s13, exec_lo, s13
	s_cbranch_execz .LBB6_11474
; %bb.11471:                            ;   in Loop: Header=BB6_9788 Depth=3
	v_bfe_u32 v12, v16, 18, 5
	s_mov_b32 s72, exec_lo
	s_delay_alu instid0(VALU_DEP_1)
	v_cmpx_eq_u32_e32 0, v12
; %bb.11472:                            ;   in Loop: Header=BB6_9788 Depth=3
	v_clz_i32_u32_e32 v12, v13
	s_delay_alu instid0(VALU_DEP_1) | instskip(NEXT) | instid1(VALU_DEP_1)
	v_min_u32_e32 v12, 32, v12
	v_subrev_nc_u32_e32 v13, 29, v12
	s_delay_alu instid0(VALU_DEP_1) | instskip(NEXT) | instid1(VALU_DEP_1)
	v_lshlrev_b64_e32 v[14:15], v13, v[4:5]
	v_dual_sub_nc_u32 v12, 30, v12 :: v_dual_bitop2_b32 v13, 3, v14 bitop3:0x40
; %bb.11473:                            ;   in Loop: Header=BB6_9788 Depth=3
	s_or_b32 exec_lo, exec_lo, s72
	v_lshlrev_b32_e32 v4, 24, v4
	s_delay_alu instid0(VALU_DEP_1) | instskip(NEXT) | instid1(VALU_DEP_1)
	v_and_b32_e32 v4, 0x80000000, v4
	v_lshl_add_u32 v4, v12, 23, v4
	s_delay_alu instid0(VALU_DEP_1) | instskip(NEXT) | instid1(VALU_DEP_1)
	v_lshl_or_b32 v4, v13, 21, v4
                                        ; implicit-def: $vgpr13
	v_add_nc_u32_e32 v12, 0x38000000, v4
                                        ; implicit-def: $vgpr4
.LBB6_11474:                            ;   in Loop: Header=BB6_9788 Depth=3
	s_and_not1_saveexec_b32 s72, s13
; %bb.11475:                            ;   in Loop: Header=BB6_9788 Depth=3
	v_bfe_i32 v4, v4, 0, 8
	v_cmp_eq_u32_e32 vcc_lo, 0, v13
	s_delay_alu instid0(VALU_DEP_2) | instskip(SKIP_1) | instid1(VALU_DEP_1)
	v_cmp_lt_i16_e64 s13, -1, v4
	v_mov_b32_e32 v4, 0x7f800000
	v_cndmask_b32_e64 v4, 0xff800000, v4, s13
	s_delay_alu instid0(VALU_DEP_1)
	v_cndmask_b32_e32 v12, 0x7f800001, v4, vcc_lo
; %bb.11476:                            ;   in Loop: Header=BB6_9788 Depth=3
	s_or_b32 exec_lo, exec_lo, s72
.LBB6_11477:                            ;   in Loop: Header=BB6_9788 Depth=3
	s_delay_alu instid0(SALU_CYCLE_1)
	s_or_b32 exec_lo, exec_lo, s43
.LBB6_11478:                            ;   in Loop: Header=BB6_9788 Depth=3
	s_delay_alu instid0(SALU_CYCLE_1) | instskip(SKIP_2) | instid1(VALU_DEP_1)
	s_or_b32 exec_lo, exec_lo, s42
	v_lshrrev_b32_e32 v4, 16, v6
	s_mov_b32 s42, exec_lo
	v_and_b32_e32 v13, 0xff, v4
	s_delay_alu instid0(VALU_DEP_1)
	v_cmpx_ne_u16_e32 0, v13
	s_cbranch_execz .LBB6_11488
; %bb.11479:                            ;   in Loop: Header=BB6_9788 Depth=3
	v_bfrev_b32_e32 v5, 1
	s_mov_b32 s43, exec_lo
	v_cmpx_ne_u16_e32 0x80, v13
	s_cbranch_execz .LBB6_11487
; %bb.11480:                            ;   in Loop: Header=BB6_9788 Depth=3
	v_and_b32_e32 v5, 0x7c0000, v6
	v_bfe_u32 v13, v6, 16, 2
	s_delay_alu instid0(VALU_DEP_2) | instskip(SKIP_1) | instid1(SALU_CYCLE_1)
	v_cmp_ne_u32_e32 vcc_lo, 0x7c0000, v5
                                        ; implicit-def: $vgpr5
	s_and_saveexec_b32 s13, vcc_lo
	s_xor_b32 s13, exec_lo, s13
	s_cbranch_execz .LBB6_11484
; %bb.11481:                            ;   in Loop: Header=BB6_9788 Depth=3
	v_bfe_u32 v5, v6, 18, 5
	s_mov_b32 s72, exec_lo
	s_delay_alu instid0(VALU_DEP_1)
	v_cmpx_eq_u32_e32 0, v5
; %bb.11482:                            ;   in Loop: Header=BB6_9788 Depth=3
	v_clz_i32_u32_e32 v5, v13
	s_delay_alu instid0(VALU_DEP_1) | instskip(NEXT) | instid1(VALU_DEP_1)
	v_min_u32_e32 v5, 32, v5
	v_subrev_nc_u32_e32 v13, 29, v5
	s_delay_alu instid0(VALU_DEP_1) | instskip(NEXT) | instid1(VALU_DEP_1)
	v_lshlrev_b64_e32 v[14:15], v13, v[4:5]
	v_dual_sub_nc_u32 v5, 30, v5 :: v_dual_bitop2_b32 v13, 3, v14 bitop3:0x40
; %bb.11483:                            ;   in Loop: Header=BB6_9788 Depth=3
	s_or_b32 exec_lo, exec_lo, s72
	v_lshlrev_b32_e32 v4, 24, v4
	s_delay_alu instid0(VALU_DEP_1) | instskip(NEXT) | instid1(VALU_DEP_1)
	v_and_b32_e32 v4, 0x80000000, v4
	v_lshl_add_u32 v4, v5, 23, v4
	s_delay_alu instid0(VALU_DEP_1) | instskip(NEXT) | instid1(VALU_DEP_1)
	v_lshl_or_b32 v4, v13, 21, v4
                                        ; implicit-def: $vgpr13
	v_add_nc_u32_e32 v5, 0x38000000, v4
                                        ; implicit-def: $vgpr4
.LBB6_11484:                            ;   in Loop: Header=BB6_9788 Depth=3
	s_and_not1_saveexec_b32 s72, s13
; %bb.11485:                            ;   in Loop: Header=BB6_9788 Depth=3
	v_bfe_i32 v4, v4, 0, 8
	v_cmp_eq_u32_e32 vcc_lo, 0, v13
	s_delay_alu instid0(VALU_DEP_2) | instskip(SKIP_1) | instid1(VALU_DEP_1)
	v_cmp_lt_i16_e64 s13, -1, v4
	v_mov_b32_e32 v4, 0x7f800000
	v_cndmask_b32_e64 v4, 0xff800000, v4, s13
	s_delay_alu instid0(VALU_DEP_1)
	v_cndmask_b32_e32 v5, 0x7f800001, v4, vcc_lo
; %bb.11486:                            ;   in Loop: Header=BB6_9788 Depth=3
	s_or_b32 exec_lo, exec_lo, s72
.LBB6_11487:                            ;   in Loop: Header=BB6_9788 Depth=3
	s_delay_alu instid0(SALU_CYCLE_1)
	s_or_b32 exec_lo, exec_lo, s43
.LBB6_11488:                            ;   in Loop: Header=BB6_9788 Depth=3
	s_delay_alu instid0(SALU_CYCLE_1) | instskip(NEXT) | instid1(VALU_DEP_1)
	s_or_b32 exec_lo, exec_lo, s42
	v_dual_mul_f32 v12, v12, v5 :: v_dual_mov_b32 v15, v21
	v_mov_b32_e32 v5, v21
                                        ; implicit-def: $vgpr87
	s_mov_b32 s13, exec_lo
	s_delay_alu instid0(VALU_DEP_2) | instskip(SKIP_2) | instid1(VALU_DEP_3)
	v_and_b32_e32 v14, 0x7f800000, v12
	v_and_b32_e32 v4, 0x7fffff, v12
	v_lshrrev_b32_e32 v13, 24, v12
	v_cmpx_ne_u64_e32 0x7f800000, v[14:15]
	s_xor_b32 s42, exec_lo, s13
	s_cbranch_execz .LBB6_11502
; %bb.11489:                            ;   in Loop: Header=BB6_9788 Depth=3
	v_and_b32_e32 v14, 0x7fffffff, v12
	v_mov_b32_e32 v15, v21
                                        ; implicit-def: $vgpr87
	s_delay_alu instid0(VALU_DEP_1) | instskip(SKIP_2) | instid1(SALU_CYCLE_1)
	v_cmp_gt_u64_e32 vcc_lo, 0x47600001, v[14:15]
	v_and_b32_e32 v14, 0x80, v13
	s_and_saveexec_b32 s13, vcc_lo
	s_xor_b32 s43, exec_lo, s13
	s_cbranch_execz .LBB6_11499
; %bb.11490:                            ;   in Loop: Header=BB6_9788 Depth=3
	v_mov_b32_e32 v87, 0
	s_mov_b32 s72, exec_lo
	v_cmpx_ne_u32_e32 0, v12
	s_cbranch_execz .LBB6_11498
; %bb.11491:                            ;   in Loop: Header=BB6_9788 Depth=3
	v_bfe_u32 v15, v12, 23, 8
	v_or_b32_e32 v13, 0x800000, v4
	s_delay_alu instid0(VALU_DEP_2) | instskip(SKIP_2) | instid1(VALU_DEP_2)
	v_cmp_gt_u32_e64 s13, 0x72, v15
	v_sub_nc_u32_e32 v12, 0x71, v15
	v_cmp_eq_u32_e32 vcc_lo, 0, v15
	v_cndmask_b32_e64 v12, 0, v12, s13
	s_delay_alu instid0(VALU_DEP_1) | instskip(NEXT) | instid1(VALU_DEP_1)
	v_cndmask_b32_e64 v87, v12, 0x70, vcc_lo
	v_dual_cndmask_b32 v4, v13, v4, vcc_lo :: v_dual_add_nc_u32 v12, 21, v87
	v_add_nc_u32_e32 v96, 20, v87
	s_delay_alu instid0(VALU_DEP_2) | instskip(NEXT) | instid1(VALU_DEP_2)
	v_lshlrev_b64_e64 v[12:13], v12, -1
	v_lshlrev_b64_e64 v[96:97], v96, 1
	s_delay_alu instid0(VALU_DEP_2) | instskip(SKIP_1) | instid1(VALU_DEP_4)
	v_bfi_b32 v12, v12, 0, v4
	v_lshrrev_b64 v[4:5], v87, v[4:5]
	v_bfi_b32 v13, v13, 0, 0
	s_delay_alu instid0(VALU_DEP_1) | instskip(NEXT) | instid1(VALU_DEP_3)
	v_cmp_eq_u64_e64 s13, v[12:13], v[96:97]
	v_mov_b64_e32 v[12:13], v[4:5]
	s_and_saveexec_b32 s73, s13
; %bb.11492:                            ;   in Loop: Header=BB6_9788 Depth=3
	v_bfe_u32 v12, v4, 21, 1
	v_mov_b32_e32 v13, v21
	s_delay_alu instid0(VALU_DEP_1) | instskip(NEXT) | instid1(VALU_DEP_1)
	v_add_nc_u64_e32 v[12:13], v[4:5], v[12:13]
	v_add_nc_u64_e32 v[12:13], -1, v[12:13]
; %bb.11493:                            ;   in Loop: Header=BB6_9788 Depth=3
	s_or_b32 exec_lo, exec_lo, s73
	v_add_nc_u32_e32 v5, 0xffffff81, v15
	v_lshrrev_b32_e32 v13, 23, v4
	s_mov_b32 s13, exec_lo
	s_delay_alu instid0(VALU_DEP_2) | instskip(NEXT) | instid1(VALU_DEP_1)
	v_cndmask_b32_e64 v5, v5, 0xffffff82, vcc_lo
	v_add3_u32 v15, v87, v5, v13
	v_and_b32_e32 v5, 0x1fffff, v12
                                        ; implicit-def: $vgpr12
	s_delay_alu instid0(VALU_DEP_1) | instskip(SKIP_1) | instid1(VALU_DEP_2)
	v_dual_add_nc_u32 v13, 14, v15 :: v_dual_add_nc_u32 v4, v5, v4
	v_mov_b32_e32 v5, v21
	v_cmpx_ne_u32_e32 0, v13
	s_xor_b32 s13, exec_lo, s13
; %bb.11494:                            ;   in Loop: Header=BB6_9788 Depth=3
	s_delay_alu instid0(VALU_DEP_2) | instskip(SKIP_1) | instid1(VALU_DEP_1)
	v_cmp_lt_u64_e32 vcc_lo, 0xffffff, v[4:5]
	v_add_nc_u32_e32 v12, 15, v15
	v_cndmask_b32_e32 v12, v13, v12, vcc_lo
	v_cndmask_b32_e64 v13, 0, 1, vcc_lo
	s_delay_alu instid0(VALU_DEP_1)
	v_lshrrev_b64 v[4:5], v13, v[4:5]
; %bb.11495:                            ;   in Loop: Header=BB6_9788 Depth=3
	s_and_not1_saveexec_b32 s13, s13
; %bb.11496:                            ;   in Loop: Header=BB6_9788 Depth=3
	s_delay_alu instid0(VALU_DEP_1)
	v_bfe_u32 v12, v4, 23, 1
; %bb.11497:                            ;   in Loop: Header=BB6_9788 Depth=3
	s_or_b32 exec_lo, exec_lo, s13
	s_delay_alu instid0(VALU_DEP_2) | instskip(NEXT) | instid1(VALU_DEP_2)
	v_lshrrev_b64 v[4:5], 21, v[4:5]
	v_cmp_gt_i32_e32 vcc_lo, 32, v12
	v_min_i32_e32 v13, 31, v12
	v_cmp_eq_u32_e64 s13, 0, v12
	s_delay_alu instid0(VALU_DEP_4) | instskip(NEXT) | instid1(VALU_DEP_3)
	v_cndmask_b32_e32 v5, 0, v5, vcc_lo
	v_dual_cndmask_b32 v4, 3, v4 :: v_dual_lshlrev_b32 v13, 2, v13
	s_delay_alu instid0(VALU_DEP_1) | instskip(NEXT) | instid1(VALU_DEP_2)
	v_and_b32_e32 v13, 0xfc, v13
	v_cmp_eq_u64_e32 vcc_lo, 0, v[4:5]
	s_delay_alu instid0(VALU_DEP_2)
	v_and_or_b32 v4, v4, 3, v13
	s_and_b32 s13, s13, vcc_lo
	s_delay_alu instid0(VALU_DEP_1) | instid1(SALU_CYCLE_1)
	v_cndmask_b32_e64 v4, v4, 0, s13
	s_delay_alu instid0(VALU_DEP_1)
	v_or_b32_e32 v87, v4, v14
.LBB6_11498:                            ;   in Loop: Header=BB6_9788 Depth=3
	s_or_b32 exec_lo, exec_lo, s72
                                        ; implicit-def: $vgpr14
.LBB6_11499:                            ;   in Loop: Header=BB6_9788 Depth=3
	s_and_not1_saveexec_b32 s13, s43
; %bb.11500:                            ;   in Loop: Header=BB6_9788 Depth=3
	v_or_b32_e32 v87, 0x7b, v14
; %bb.11501:                            ;   in Loop: Header=BB6_9788 Depth=3
	s_or_b32 exec_lo, exec_lo, s13
                                        ; implicit-def: $vgpr12
                                        ; implicit-def: $vgpr4_vgpr5
                                        ; implicit-def: $vgpr13
.LBB6_11502:                            ;   in Loop: Header=BB6_9788 Depth=3
	s_and_not1_saveexec_b32 s13, s42
	s_cbranch_execz .LBB6_11508
; %bb.11503:                            ;   in Loop: Header=BB6_9788 Depth=3
	s_mov_b32 s42, exec_lo
                                        ; implicit-def: $vgpr87
	v_cmpx_ne_u64_e32 0, v[4:5]
	s_xor_b32 s42, exec_lo, s42
; %bb.11504:                            ;   in Loop: Header=BB6_9788 Depth=3
	v_or_b32_e32 v87, 0x7f, v13
                                        ; implicit-def: $vgpr12
; %bb.11505:                            ;   in Loop: Header=BB6_9788 Depth=3
	s_and_not1_saveexec_b32 s42, s42
; %bb.11506:                            ;   in Loop: Header=BB6_9788 Depth=3
	v_cmp_lt_i32_e32 vcc_lo, -1, v12
	v_mov_b32_e32 v4, 0x7c
	s_delay_alu instid0(VALU_DEP_1)
	v_cndmask_b32_e32 v87, 0xfc, v4, vcc_lo
; %bb.11507:                            ;   in Loop: Header=BB6_9788 Depth=3
	s_or_b32 exec_lo, exec_lo, s42
.LBB6_11508:                            ;   in Loop: Header=BB6_9788 Depth=3
	s_delay_alu instid0(SALU_CYCLE_1)
	s_or_b32 exec_lo, exec_lo, s13
	v_dual_mov_b32 v5, 0 :: v_dual_mov_b32 v12, 0
	s_mov_b32 s42, exec_lo
	v_cmpx_lt_u32_e32 0xffffff, v16
	s_cbranch_execz .LBB6_11518
; %bb.11509:                            ;   in Loop: Header=BB6_9788 Depth=3
	v_lshrrev_b32_e32 v4, 24, v16
	v_bfrev_b32_e32 v12, 1
	s_mov_b32 s43, exec_lo
	s_delay_alu instid0(VALU_DEP_2)
	v_cmpx_ne_u32_e32 0x80, v4
	s_cbranch_execz .LBB6_11517
; %bb.11510:                            ;   in Loop: Header=BB6_9788 Depth=3
	v_and_b32_e32 v12, 0x7c000000, v16
	v_bfe_u32 v13, v16, 24, 2
	s_delay_alu instid0(VALU_DEP_2) | instskip(SKIP_1) | instid1(SALU_CYCLE_1)
	v_cmp_ne_u32_e32 vcc_lo, 0x7c000000, v12
                                        ; implicit-def: $vgpr12
	s_and_saveexec_b32 s13, vcc_lo
	s_xor_b32 s13, exec_lo, s13
	s_cbranch_execz .LBB6_11514
; %bb.11511:                            ;   in Loop: Header=BB6_9788 Depth=3
	v_bfe_u32 v12, v16, 26, 5
	s_mov_b32 s72, exec_lo
	s_delay_alu instid0(VALU_DEP_1)
	v_cmpx_eq_u32_e32 0, v12
; %bb.11512:                            ;   in Loop: Header=BB6_9788 Depth=3
	v_clz_i32_u32_e32 v12, v13
	s_delay_alu instid0(VALU_DEP_1) | instskip(NEXT) | instid1(VALU_DEP_1)
	v_min_u32_e32 v12, 32, v12
	v_subrev_nc_u32_e32 v13, 29, v12
	s_delay_alu instid0(VALU_DEP_1) | instskip(NEXT) | instid1(VALU_DEP_1)
	v_lshlrev_b64_e32 v[14:15], v13, v[4:5]
	v_dual_sub_nc_u32 v12, 30, v12 :: v_dual_bitop2_b32 v13, 3, v14 bitop3:0x40
; %bb.11513:                            ;   in Loop: Header=BB6_9788 Depth=3
	s_or_b32 exec_lo, exec_lo, s72
	v_and_b32_e32 v4, 0x80000000, v16
	s_delay_alu instid0(VALU_DEP_1) | instskip(NEXT) | instid1(VALU_DEP_1)
	v_lshl_add_u32 v4, v12, 23, v4
	v_lshl_or_b32 v4, v13, 21, v4
                                        ; implicit-def: $vgpr13
	s_delay_alu instid0(VALU_DEP_1)
	v_add_nc_u32_e32 v12, 0x38000000, v4
.LBB6_11514:                            ;   in Loop: Header=BB6_9788 Depth=3
	s_and_not1_saveexec_b32 s72, s13
; %bb.11515:                            ;   in Loop: Header=BB6_9788 Depth=3
	v_cmp_lt_i32_e64 s13, -1, v16
	v_mov_b32_e32 v4, 0x7f800000
	v_cmp_eq_u32_e32 vcc_lo, 0, v13
	s_delay_alu instid0(VALU_DEP_2) | instskip(NEXT) | instid1(VALU_DEP_1)
	v_cndmask_b32_e64 v4, 0xff800000, v4, s13
	v_cndmask_b32_e32 v12, 0x7f800001, v4, vcc_lo
; %bb.11516:                            ;   in Loop: Header=BB6_9788 Depth=3
	s_or_b32 exec_lo, exec_lo, s72
.LBB6_11517:                            ;   in Loop: Header=BB6_9788 Depth=3
	s_delay_alu instid0(SALU_CYCLE_1)
	s_or_b32 exec_lo, exec_lo, s43
.LBB6_11518:                            ;   in Loop: Header=BB6_9788 Depth=3
	s_delay_alu instid0(SALU_CYCLE_1) | instskip(NEXT) | instid1(SALU_CYCLE_1)
	s_or_b32 exec_lo, exec_lo, s42
	s_mov_b32 s42, exec_lo
	v_cmpx_lt_u32_e32 0xffffff, v6
	s_cbranch_execz .LBB6_11528
; %bb.11519:                            ;   in Loop: Header=BB6_9788 Depth=3
	v_lshrrev_b32_e32 v4, 24, v6
	v_bfrev_b32_e32 v5, 1
	s_mov_b32 s43, exec_lo
	s_delay_alu instid0(VALU_DEP_2)
	v_cmpx_ne_u32_e32 0x80, v4
	s_cbranch_execz .LBB6_11527
; %bb.11520:                            ;   in Loop: Header=BB6_9788 Depth=3
	v_and_b32_e32 v5, 0x7c000000, v6
	v_bfe_u32 v13, v6, 24, 2
	s_delay_alu instid0(VALU_DEP_2) | instskip(SKIP_1) | instid1(SALU_CYCLE_1)
	v_cmp_ne_u32_e32 vcc_lo, 0x7c000000, v5
                                        ; implicit-def: $vgpr5
	s_and_saveexec_b32 s13, vcc_lo
	s_xor_b32 s13, exec_lo, s13
	s_cbranch_execz .LBB6_11524
; %bb.11521:                            ;   in Loop: Header=BB6_9788 Depth=3
	v_bfe_u32 v5, v6, 26, 5
	s_mov_b32 s72, exec_lo
	s_delay_alu instid0(VALU_DEP_1)
	v_cmpx_eq_u32_e32 0, v5
; %bb.11522:                            ;   in Loop: Header=BB6_9788 Depth=3
	v_clz_i32_u32_e32 v5, v13
	s_delay_alu instid0(VALU_DEP_1) | instskip(NEXT) | instid1(VALU_DEP_1)
	v_min_u32_e32 v13, 32, v5
	v_subrev_nc_u32_e32 v5, 29, v13
	s_delay_alu instid0(VALU_DEP_1) | instskip(NEXT) | instid1(VALU_DEP_1)
	v_lshlrev_b64_e32 v[4:5], v5, v[4:5]
	v_dual_sub_nc_u32 v5, 30, v13 :: v_dual_bitop2_b32 v13, 3, v4 bitop3:0x40
; %bb.11523:                            ;   in Loop: Header=BB6_9788 Depth=3
	s_or_b32 exec_lo, exec_lo, s72
	v_and_b32_e32 v4, 0x80000000, v6
	s_delay_alu instid0(VALU_DEP_1) | instskip(NEXT) | instid1(VALU_DEP_1)
	v_lshl_add_u32 v4, v5, 23, v4
	v_lshl_or_b32 v4, v13, 21, v4
                                        ; implicit-def: $vgpr13
	s_delay_alu instid0(VALU_DEP_1)
	v_add_nc_u32_e32 v5, 0x38000000, v4
.LBB6_11524:                            ;   in Loop: Header=BB6_9788 Depth=3
	s_and_not1_saveexec_b32 s72, s13
; %bb.11525:                            ;   in Loop: Header=BB6_9788 Depth=3
	v_cmp_lt_i32_e64 s13, -1, v6
	v_mov_b32_e32 v4, 0x7f800000
	v_cmp_eq_u32_e32 vcc_lo, 0, v13
	s_delay_alu instid0(VALU_DEP_2) | instskip(NEXT) | instid1(VALU_DEP_1)
	v_cndmask_b32_e64 v4, 0xff800000, v4, s13
	v_cndmask_b32_e32 v5, 0x7f800001, v4, vcc_lo
; %bb.11526:                            ;   in Loop: Header=BB6_9788 Depth=3
	s_or_b32 exec_lo, exec_lo, s72
.LBB6_11527:                            ;   in Loop: Header=BB6_9788 Depth=3
	s_delay_alu instid0(SALU_CYCLE_1)
	s_or_b32 exec_lo, exec_lo, s43
.LBB6_11528:                            ;   in Loop: Header=BB6_9788 Depth=3
	s_delay_alu instid0(SALU_CYCLE_1) | instskip(NEXT) | instid1(VALU_DEP_1)
	s_or_b32 exec_lo, exec_lo, s42
	v_dual_mul_f32 v12, v12, v5 :: v_dual_mov_b32 v15, v21
	v_mov_b32_e32 v5, v21
                                        ; implicit-def: $vgpr96
	s_mov_b32 s13, exec_lo
	s_delay_alu instid0(VALU_DEP_2) | instskip(SKIP_2) | instid1(VALU_DEP_3)
	v_and_b32_e32 v14, 0x7f800000, v12
	v_and_b32_e32 v4, 0x7fffff, v12
	v_lshrrev_b32_e32 v13, 24, v12
	v_cmpx_ne_u64_e32 0x7f800000, v[14:15]
	s_xor_b32 s42, exec_lo, s13
	s_cbranch_execz .LBB6_11542
; %bb.11529:                            ;   in Loop: Header=BB6_9788 Depth=3
	v_and_b32_e32 v14, 0x7fffffff, v12
	v_mov_b32_e32 v15, v21
                                        ; implicit-def: $vgpr96
	s_delay_alu instid0(VALU_DEP_1) | instskip(SKIP_2) | instid1(SALU_CYCLE_1)
	v_cmp_gt_u64_e32 vcc_lo, 0x47600001, v[14:15]
	v_and_b32_e32 v14, 0x80, v13
	s_and_saveexec_b32 s13, vcc_lo
	s_xor_b32 s43, exec_lo, s13
	s_cbranch_execz .LBB6_11539
; %bb.11530:                            ;   in Loop: Header=BB6_9788 Depth=3
	v_mov_b32_e32 v96, 0
	s_mov_b32 s72, exec_lo
	v_cmpx_ne_u32_e32 0, v12
	s_cbranch_execz .LBB6_11538
; %bb.11531:                            ;   in Loop: Header=BB6_9788 Depth=3
	v_bfe_u32 v15, v12, 23, 8
	v_or_b32_e32 v13, 0x800000, v4
	s_delay_alu instid0(VALU_DEP_2) | instskip(SKIP_2) | instid1(VALU_DEP_2)
	v_cmp_gt_u32_e64 s13, 0x72, v15
	v_sub_nc_u32_e32 v12, 0x71, v15
	v_cmp_eq_u32_e32 vcc_lo, 0, v15
	v_cndmask_b32_e64 v12, 0, v12, s13
	v_cndmask_b32_e32 v4, v13, v4, vcc_lo
	s_delay_alu instid0(VALU_DEP_2) | instskip(NEXT) | instid1(VALU_DEP_1)
	v_cndmask_b32_e64 v96, v12, 0x70, vcc_lo
	v_dual_add_nc_u32 v12, 21, v96 :: v_dual_add_nc_u32 v97, 20, v96
	s_delay_alu instid0(VALU_DEP_1) | instskip(NEXT) | instid1(VALU_DEP_2)
	v_lshlrev_b64_e64 v[12:13], v12, -1
	v_lshlrev_b64_e64 v[98:99], v97, 1
	s_delay_alu instid0(VALU_DEP_2) | instskip(SKIP_1) | instid1(VALU_DEP_4)
	v_bfi_b32 v12, v12, 0, v4
	v_lshrrev_b64 v[4:5], v96, v[4:5]
	v_bfi_b32 v13, v13, 0, 0
	s_delay_alu instid0(VALU_DEP_1) | instskip(NEXT) | instid1(VALU_DEP_3)
	v_cmp_eq_u64_e64 s13, v[12:13], v[98:99]
	v_mov_b64_e32 v[12:13], v[4:5]
	s_and_saveexec_b32 s73, s13
; %bb.11532:                            ;   in Loop: Header=BB6_9788 Depth=3
	v_bfe_u32 v12, v4, 21, 1
	v_mov_b32_e32 v13, v21
	s_delay_alu instid0(VALU_DEP_1) | instskip(NEXT) | instid1(VALU_DEP_1)
	v_add_nc_u64_e32 v[12:13], v[4:5], v[12:13]
	v_add_nc_u64_e32 v[12:13], -1, v[12:13]
; %bb.11533:                            ;   in Loop: Header=BB6_9788 Depth=3
	s_or_b32 exec_lo, exec_lo, s73
	v_add_nc_u32_e32 v5, 0xffffff81, v15
	v_lshrrev_b32_e32 v13, 23, v4
	s_mov_b32 s13, exec_lo
	s_delay_alu instid0(VALU_DEP_2) | instskip(NEXT) | instid1(VALU_DEP_1)
	v_cndmask_b32_e64 v5, v5, 0xffffff82, vcc_lo
	v_add3_u32 v15, v96, v5, v13
	v_and_b32_e32 v5, 0x1fffff, v12
                                        ; implicit-def: $vgpr12
	s_delay_alu instid0(VALU_DEP_1) | instskip(SKIP_1) | instid1(VALU_DEP_2)
	v_dual_add_nc_u32 v13, 14, v15 :: v_dual_add_nc_u32 v4, v5, v4
	v_mov_b32_e32 v5, v21
	v_cmpx_ne_u32_e32 0, v13
	s_xor_b32 s13, exec_lo, s13
; %bb.11534:                            ;   in Loop: Header=BB6_9788 Depth=3
	s_delay_alu instid0(VALU_DEP_2) | instskip(SKIP_1) | instid1(VALU_DEP_1)
	v_cmp_lt_u64_e32 vcc_lo, 0xffffff, v[4:5]
	v_add_nc_u32_e32 v12, 15, v15
	v_cndmask_b32_e32 v12, v13, v12, vcc_lo
	v_cndmask_b32_e64 v13, 0, 1, vcc_lo
	s_delay_alu instid0(VALU_DEP_1)
	v_lshrrev_b64 v[4:5], v13, v[4:5]
; %bb.11535:                            ;   in Loop: Header=BB6_9788 Depth=3
	s_and_not1_saveexec_b32 s13, s13
; %bb.11536:                            ;   in Loop: Header=BB6_9788 Depth=3
	s_delay_alu instid0(VALU_DEP_1)
	v_bfe_u32 v12, v4, 23, 1
; %bb.11537:                            ;   in Loop: Header=BB6_9788 Depth=3
	s_or_b32 exec_lo, exec_lo, s13
	s_delay_alu instid0(VALU_DEP_2) | instskip(NEXT) | instid1(VALU_DEP_2)
	v_lshrrev_b64 v[4:5], 21, v[4:5]
	v_cmp_gt_i32_e32 vcc_lo, 32, v12
	v_min_i32_e32 v13, 31, v12
	v_cmp_eq_u32_e64 s13, 0, v12
	s_delay_alu instid0(VALU_DEP_4) | instskip(NEXT) | instid1(VALU_DEP_3)
	v_cndmask_b32_e32 v5, 0, v5, vcc_lo
	v_dual_cndmask_b32 v4, 3, v4 :: v_dual_lshlrev_b32 v13, 2, v13
	s_delay_alu instid0(VALU_DEP_1) | instskip(NEXT) | instid1(VALU_DEP_2)
	v_and_b32_e32 v13, 0xfc, v13
	v_cmp_eq_u64_e32 vcc_lo, 0, v[4:5]
	s_delay_alu instid0(VALU_DEP_2)
	v_and_or_b32 v4, v4, 3, v13
	s_and_b32 s13, s13, vcc_lo
	s_delay_alu instid0(VALU_DEP_1) | instid1(SALU_CYCLE_1)
	v_cndmask_b32_e64 v4, v4, 0, s13
	s_delay_alu instid0(VALU_DEP_1)
	v_or_b32_e32 v96, v4, v14
.LBB6_11538:                            ;   in Loop: Header=BB6_9788 Depth=3
	s_or_b32 exec_lo, exec_lo, s72
                                        ; implicit-def: $vgpr14
.LBB6_11539:                            ;   in Loop: Header=BB6_9788 Depth=3
	s_and_not1_saveexec_b32 s13, s43
; %bb.11540:                            ;   in Loop: Header=BB6_9788 Depth=3
	v_or_b32_e32 v96, 0x7b, v14
; %bb.11541:                            ;   in Loop: Header=BB6_9788 Depth=3
	s_or_b32 exec_lo, exec_lo, s13
                                        ; implicit-def: $vgpr12
                                        ; implicit-def: $vgpr4_vgpr5
                                        ; implicit-def: $vgpr13
.LBB6_11542:                            ;   in Loop: Header=BB6_9788 Depth=3
	s_and_not1_saveexec_b32 s13, s42
	s_cbranch_execz .LBB6_11548
; %bb.11543:                            ;   in Loop: Header=BB6_9788 Depth=3
	s_mov_b32 s42, exec_lo
                                        ; implicit-def: $vgpr96
	v_cmpx_ne_u64_e32 0, v[4:5]
	s_xor_b32 s42, exec_lo, s42
; %bb.11544:                            ;   in Loop: Header=BB6_9788 Depth=3
	v_or_b32_e32 v96, 0x7f, v13
                                        ; implicit-def: $vgpr12
; %bb.11545:                            ;   in Loop: Header=BB6_9788 Depth=3
	s_and_not1_saveexec_b32 s42, s42
; %bb.11546:                            ;   in Loop: Header=BB6_9788 Depth=3
	v_cmp_lt_i32_e32 vcc_lo, -1, v12
	v_mov_b32_e32 v4, 0x7c
	s_delay_alu instid0(VALU_DEP_1)
	v_cndmask_b32_e32 v96, 0xfc, v4, vcc_lo
; %bb.11547:                            ;   in Loop: Header=BB6_9788 Depth=3
	s_or_b32 exec_lo, exec_lo, s42
.LBB6_11548:                            ;   in Loop: Header=BB6_9788 Depth=3
	s_delay_alu instid0(SALU_CYCLE_1) | instskip(SKIP_4) | instid1(VALU_DEP_3)
	s_or_b32 exec_lo, exec_lo, s13
	v_and_b32_e32 v14, 0xff, v17
	v_dual_mov_b32 v4, v17 :: v_dual_mov_b32 v5, v21
	v_dual_mov_b32 v13, 0 :: v_dual_mov_b32 v12, 0
	s_mov_b32 s42, exec_lo
	v_cmpx_ne_u16_e32 0, v14
	s_cbranch_execz .LBB6_11558
; %bb.11549:                            ;   in Loop: Header=BB6_9788 Depth=3
	v_bfrev_b32_e32 v12, 1
	s_mov_b32 s43, exec_lo
	v_cmpx_ne_u16_e32 0x80, v14
	s_cbranch_execz .LBB6_11557
; %bb.11550:                            ;   in Loop: Header=BB6_9788 Depth=3
	v_and_b32_e32 v12, 0x7c, v17
	v_and_b32_e32 v14, 3, v17
	s_delay_alu instid0(VALU_DEP_2) | instskip(SKIP_1) | instid1(SALU_CYCLE_1)
	v_cmp_ne_u32_e32 vcc_lo, 0x7c, v12
                                        ; implicit-def: $vgpr12
	s_and_saveexec_b32 s13, vcc_lo
	s_xor_b32 s13, exec_lo, s13
	s_cbranch_execz .LBB6_11554
; %bb.11551:                            ;   in Loop: Header=BB6_9788 Depth=3
	v_bfe_u32 v12, v17, 2, 5
	s_mov_b32 s72, exec_lo
	s_delay_alu instid0(VALU_DEP_1)
	v_cmpx_eq_u32_e32 0, v12
; %bb.11552:                            ;   in Loop: Header=BB6_9788 Depth=3
	v_clz_i32_u32_e32 v12, v14
	s_delay_alu instid0(VALU_DEP_1) | instskip(NEXT) | instid1(VALU_DEP_1)
	v_min_u32_e32 v12, 32, v12
	v_subrev_nc_u32_e32 v14, 29, v12
	s_delay_alu instid0(VALU_DEP_1) | instskip(NEXT) | instid1(VALU_DEP_1)
	v_lshlrev_b64_e32 v[14:15], v14, v[4:5]
	v_dual_sub_nc_u32 v12, 30, v12 :: v_dual_bitop2_b32 v14, 3, v14 bitop3:0x40
; %bb.11553:                            ;   in Loop: Header=BB6_9788 Depth=3
	s_or_b32 exec_lo, exec_lo, s72
	v_lshlrev_b32_e32 v5, 24, v17
	s_delay_alu instid0(VALU_DEP_1) | instskip(NEXT) | instid1(VALU_DEP_1)
	v_and_b32_e32 v5, 0x80000000, v5
	v_lshl_add_u32 v5, v12, 23, v5
	s_delay_alu instid0(VALU_DEP_1) | instskip(NEXT) | instid1(VALU_DEP_1)
	v_lshl_or_b32 v5, v14, 21, v5
                                        ; implicit-def: $vgpr14
	v_add_nc_u32_e32 v12, 0x38000000, v5
.LBB6_11554:                            ;   in Loop: Header=BB6_9788 Depth=3
	s_and_not1_saveexec_b32 s72, s13
; %bb.11555:                            ;   in Loop: Header=BB6_9788 Depth=3
	v_bfe_i32 v5, v17, 0, 8
	v_cmp_eq_u32_e32 vcc_lo, 0, v14
	s_delay_alu instid0(VALU_DEP_2) | instskip(SKIP_1) | instid1(VALU_DEP_1)
	v_cmp_lt_i16_e64 s13, -1, v5
	v_mov_b32_e32 v5, 0x7f800000
	v_cndmask_b32_e64 v5, 0xff800000, v5, s13
	s_delay_alu instid0(VALU_DEP_1)
	v_cndmask_b32_e32 v12, 0x7f800001, v5, vcc_lo
; %bb.11556:                            ;   in Loop: Header=BB6_9788 Depth=3
	s_or_b32 exec_lo, exec_lo, s72
.LBB6_11557:                            ;   in Loop: Header=BB6_9788 Depth=3
	s_delay_alu instid0(SALU_CYCLE_1)
	s_or_b32 exec_lo, exec_lo, s43
.LBB6_11558:                            ;   in Loop: Header=BB6_9788 Depth=3
	s_delay_alu instid0(SALU_CYCLE_1) | instskip(SKIP_2) | instid1(VALU_DEP_1)
	s_or_b32 exec_lo, exec_lo, s42
	v_and_b32_e32 v5, 0xff, v7
	s_mov_b32 s42, exec_lo
	v_cmpx_ne_u16_e32 0, v5
	s_cbranch_execz .LBB6_11568
; %bb.11559:                            ;   in Loop: Header=BB6_9788 Depth=3
	v_bfrev_b32_e32 v13, 1
	s_mov_b32 s43, exec_lo
	v_cmpx_ne_u16_e32 0x80, v5
	s_cbranch_execz .LBB6_11567
; %bb.11560:                            ;   in Loop: Header=BB6_9788 Depth=3
	v_and_b32_e32 v13, 0x7c, v7
	v_and_b32_e32 v5, 3, v7
	s_delay_alu instid0(VALU_DEP_2) | instskip(SKIP_1) | instid1(SALU_CYCLE_1)
	v_cmp_ne_u32_e32 vcc_lo, 0x7c, v13
                                        ; implicit-def: $vgpr13
	s_and_saveexec_b32 s13, vcc_lo
	s_xor_b32 s13, exec_lo, s13
	s_cbranch_execz .LBB6_11564
; %bb.11561:                            ;   in Loop: Header=BB6_9788 Depth=3
	v_bfe_u32 v13, v7, 2, 5
	s_mov_b32 s72, exec_lo
	s_delay_alu instid0(VALU_DEP_1)
	v_cmpx_eq_u32_e32 0, v13
; %bb.11562:                            ;   in Loop: Header=BB6_9788 Depth=3
	v_clz_i32_u32_e32 v5, v5
	v_dual_mov_b32 v14, v7 :: v_dual_mov_b32 v15, v21
	s_delay_alu instid0(VALU_DEP_2) | instskip(NEXT) | instid1(VALU_DEP_1)
	v_min_u32_e32 v5, 32, v5
	v_subrev_nc_u32_e32 v13, 29, v5
	s_delay_alu instid0(VALU_DEP_1) | instskip(NEXT) | instid1(VALU_DEP_1)
	v_lshlrev_b64_e32 v[14:15], v13, v[14:15]
	v_dual_sub_nc_u32 v13, 30, v5 :: v_dual_bitop2_b32 v5, 3, v14 bitop3:0x40
; %bb.11563:                            ;   in Loop: Header=BB6_9788 Depth=3
	s_or_b32 exec_lo, exec_lo, s72
	v_lshlrev_b32_e32 v14, 24, v7
	s_delay_alu instid0(VALU_DEP_1) | instskip(NEXT) | instid1(VALU_DEP_1)
	v_and_b32_e32 v14, 0x80000000, v14
	v_lshl_add_u32 v13, v13, 23, v14
	s_delay_alu instid0(VALU_DEP_1) | instskip(NEXT) | instid1(VALU_DEP_1)
	v_lshl_or_b32 v5, v5, 21, v13
	v_add_nc_u32_e32 v13, 0x38000000, v5
                                        ; implicit-def: $vgpr5
.LBB6_11564:                            ;   in Loop: Header=BB6_9788 Depth=3
	s_and_not1_saveexec_b32 s72, s13
; %bb.11565:                            ;   in Loop: Header=BB6_9788 Depth=3
	v_bfe_i32 v13, v7, 0, 8
	v_cmp_eq_u32_e32 vcc_lo, 0, v5
	v_mov_b32_e32 v5, 0x7f800000
	s_delay_alu instid0(VALU_DEP_3) | instskip(NEXT) | instid1(VALU_DEP_1)
	v_cmp_lt_i16_e64 s13, -1, v13
	v_cndmask_b32_e64 v5, 0xff800000, v5, s13
	s_delay_alu instid0(VALU_DEP_1)
	v_cndmask_b32_e32 v13, 0x7f800001, v5, vcc_lo
; %bb.11566:                            ;   in Loop: Header=BB6_9788 Depth=3
	s_or_b32 exec_lo, exec_lo, s72
.LBB6_11567:                            ;   in Loop: Header=BB6_9788 Depth=3
	s_delay_alu instid0(SALU_CYCLE_1)
	s_or_b32 exec_lo, exec_lo, s43
.LBB6_11568:                            ;   in Loop: Header=BB6_9788 Depth=3
	s_delay_alu instid0(SALU_CYCLE_1) | instskip(NEXT) | instid1(VALU_DEP_1)
	s_or_b32 exec_lo, exec_lo, s42
	v_dual_mul_f32 v15, v12, v13 :: v_dual_mov_b32 v99, v21
	v_mov_b32_e32 v13, v21
                                        ; implicit-def: $vgpr14
	s_mov_b32 s13, exec_lo
	s_delay_alu instid0(VALU_DEP_2) | instskip(SKIP_2) | instid1(VALU_DEP_3)
	v_and_b32_e32 v98, 0x7f800000, v15
	v_and_b32_e32 v12, 0x7fffff, v15
	v_lshrrev_b32_e32 v5, 24, v15
	v_cmpx_ne_u64_e32 0x7f800000, v[98:99]
	s_xor_b32 s42, exec_lo, s13
	s_cbranch_execz .LBB6_11582
; %bb.11569:                            ;   in Loop: Header=BB6_9788 Depth=3
	v_and_b32_e32 v98, 0x7fffffff, v15
	v_mov_b32_e32 v99, v21
	v_and_b32_e32 v5, 0x80, v5
                                        ; implicit-def: $vgpr14
	s_mov_b32 s13, exec_lo
	s_delay_alu instid0(VALU_DEP_2)
	v_cmpx_gt_u64_e32 0x47600001, v[98:99]
	s_xor_b32 s43, exec_lo, s13
	s_cbranch_execz .LBB6_11579
; %bb.11570:                            ;   in Loop: Header=BB6_9788 Depth=3
	v_mov_b32_e32 v14, 0
	s_mov_b32 s72, exec_lo
	v_cmpx_ne_u32_e32 0, v15
	s_cbranch_execz .LBB6_11578
; %bb.11571:                            ;   in Loop: Header=BB6_9788 Depth=3
	v_bfe_u32 v97, v15, 23, 8
	v_or_b32_e32 v15, 0x800000, v12
	s_delay_alu instid0(VALU_DEP_2) | instskip(SKIP_2) | instid1(VALU_DEP_2)
	v_cmp_gt_u32_e64 s13, 0x72, v97
	v_sub_nc_u32_e32 v14, 0x71, v97
	v_cmp_eq_u32_e32 vcc_lo, 0, v97
	v_dual_cndmask_b32 v14, 0, v14, s13 :: v_dual_cndmask_b32 v12, v15, v12, vcc_lo
	s_delay_alu instid0(VALU_DEP_1) | instskip(NEXT) | instid1(VALU_DEP_1)
	v_cndmask_b32_e64 v98, v14, 0x70, vcc_lo
	v_dual_add_nc_u32 v14, 21, v98 :: v_dual_add_nc_u32 v99, 20, v98
	s_delay_alu instid0(VALU_DEP_1) | instskip(NEXT) | instid1(VALU_DEP_2)
	v_lshlrev_b64_e64 v[14:15], v14, -1
	v_lshlrev_b64_e64 v[100:101], v99, 1
	s_delay_alu instid0(VALU_DEP_2) | instskip(SKIP_1) | instid1(VALU_DEP_4)
	v_bfi_b32 v14, v14, 0, v12
	v_lshrrev_b64 v[12:13], v98, v[12:13]
	v_bfi_b32 v15, v15, 0, 0
	s_delay_alu instid0(VALU_DEP_1) | instskip(NEXT) | instid1(VALU_DEP_3)
	v_cmp_eq_u64_e64 s13, v[14:15], v[100:101]
	v_mov_b64_e32 v[14:15], v[12:13]
	s_and_saveexec_b32 s73, s13
; %bb.11572:                            ;   in Loop: Header=BB6_9788 Depth=3
	v_bfe_u32 v14, v12, 21, 1
	v_mov_b32_e32 v15, v21
	s_delay_alu instid0(VALU_DEP_1) | instskip(NEXT) | instid1(VALU_DEP_1)
	v_add_nc_u64_e32 v[14:15], v[12:13], v[14:15]
	v_add_nc_u64_e32 v[14:15], -1, v[14:15]
; %bb.11573:                            ;   in Loop: Header=BB6_9788 Depth=3
	s_or_b32 exec_lo, exec_lo, s73
	v_add_nc_u32_e32 v13, 0xffffff81, v97
	v_lshrrev_b32_e32 v15, 23, v12
	s_mov_b32 s13, exec_lo
	s_delay_alu instid0(VALU_DEP_2) | instskip(NEXT) | instid1(VALU_DEP_1)
	v_cndmask_b32_e64 v13, v13, 0xffffff82, vcc_lo
	v_add3_u32 v97, v98, v13, v15
	v_and_b32_e32 v13, 0x1fffff, v14
                                        ; implicit-def: $vgpr14
	s_delay_alu instid0(VALU_DEP_1) | instskip(SKIP_1) | instid1(VALU_DEP_2)
	v_dual_add_nc_u32 v15, 14, v97 :: v_dual_add_nc_u32 v12, v13, v12
	v_mov_b32_e32 v13, v21
	v_cmpx_ne_u32_e32 0, v15
	s_xor_b32 s13, exec_lo, s13
; %bb.11574:                            ;   in Loop: Header=BB6_9788 Depth=3
	s_delay_alu instid0(VALU_DEP_2) | instskip(SKIP_1) | instid1(VALU_DEP_1)
	v_cmp_lt_u64_e32 vcc_lo, 0xffffff, v[12:13]
	v_add_nc_u32_e32 v14, 15, v97
	v_cndmask_b32_e32 v14, v15, v14, vcc_lo
	v_cndmask_b32_e64 v15, 0, 1, vcc_lo
	s_delay_alu instid0(VALU_DEP_1)
	v_lshrrev_b64 v[12:13], v15, v[12:13]
; %bb.11575:                            ;   in Loop: Header=BB6_9788 Depth=3
	s_and_not1_saveexec_b32 s13, s13
; %bb.11576:                            ;   in Loop: Header=BB6_9788 Depth=3
	s_delay_alu instid0(VALU_DEP_1)
	v_bfe_u32 v14, v12, 23, 1
; %bb.11577:                            ;   in Loop: Header=BB6_9788 Depth=3
	s_or_b32 exec_lo, exec_lo, s13
	s_delay_alu instid0(VALU_DEP_2) | instskip(NEXT) | instid1(VALU_DEP_2)
	v_lshrrev_b64 v[12:13], 21, v[12:13]
	v_cmp_gt_i32_e32 vcc_lo, 32, v14
	v_min_i32_e32 v15, 31, v14
	v_cmp_eq_u32_e64 s13, 0, v14
	s_delay_alu instid0(VALU_DEP_2) | instskip(SKIP_1) | instid1(VALU_DEP_2)
	v_dual_cndmask_b32 v13, 0, v13, vcc_lo :: v_dual_lshlrev_b32 v15, 2, v15
	v_cndmask_b32_e32 v12, 3, v12, vcc_lo
	v_and_b32_e32 v15, 0xfc, v15
	s_delay_alu instid0(VALU_DEP_2) | instskip(NEXT) | instid1(VALU_DEP_2)
	v_cmp_eq_u64_e32 vcc_lo, 0, v[12:13]
	v_and_or_b32 v12, v12, 3, v15
	s_and_b32 s13, s13, vcc_lo
	s_delay_alu instid0(VALU_DEP_1) | instid1(SALU_CYCLE_1)
	v_cndmask_b32_e64 v12, v12, 0, s13
	s_delay_alu instid0(VALU_DEP_1)
	v_or_b32_e32 v14, v12, v5
.LBB6_11578:                            ;   in Loop: Header=BB6_9788 Depth=3
	s_or_b32 exec_lo, exec_lo, s72
                                        ; implicit-def: $vgpr5
.LBB6_11579:                            ;   in Loop: Header=BB6_9788 Depth=3
	s_and_not1_saveexec_b32 s13, s43
; %bb.11580:                            ;   in Loop: Header=BB6_9788 Depth=3
	v_or_b32_e32 v14, 0x7b, v5
; %bb.11581:                            ;   in Loop: Header=BB6_9788 Depth=3
	s_or_b32 exec_lo, exec_lo, s13
                                        ; implicit-def: $vgpr15
                                        ; implicit-def: $vgpr12_vgpr13
                                        ; implicit-def: $vgpr5
.LBB6_11582:                            ;   in Loop: Header=BB6_9788 Depth=3
	s_and_not1_saveexec_b32 s13, s42
	s_cbranch_execz .LBB6_11588
; %bb.11583:                            ;   in Loop: Header=BB6_9788 Depth=3
	s_mov_b32 s42, exec_lo
                                        ; implicit-def: $vgpr14
	v_cmpx_ne_u64_e32 0, v[12:13]
	s_xor_b32 s42, exec_lo, s42
; %bb.11584:                            ;   in Loop: Header=BB6_9788 Depth=3
	v_or_b32_e32 v14, 0x7f, v5
                                        ; implicit-def: $vgpr15
; %bb.11585:                            ;   in Loop: Header=BB6_9788 Depth=3
	s_and_not1_saveexec_b32 s42, s42
; %bb.11586:                            ;   in Loop: Header=BB6_9788 Depth=3
	v_cmp_lt_i32_e32 vcc_lo, -1, v15
	v_mov_b32_e32 v5, 0x7c
	s_delay_alu instid0(VALU_DEP_1)
	v_cndmask_b32_e32 v14, 0xfc, v5, vcc_lo
; %bb.11587:                            ;   in Loop: Header=BB6_9788 Depth=3
	s_or_b32 exec_lo, exec_lo, s42
.LBB6_11588:                            ;   in Loop: Header=BB6_9788 Depth=3
	s_delay_alu instid0(SALU_CYCLE_1) | instskip(SKIP_3) | instid1(VALU_DEP_2)
	s_or_b32 exec_lo, exec_lo, s13
	v_lshrrev_b16 v12, 8, v4
	v_dual_mov_b32 v15, 0 :: v_dual_mov_b32 v13, 0
	s_mov_b32 s42, exec_lo
	v_cmpx_ne_u16_e32 0, v12
	s_cbranch_execz .LBB6_11598
; %bb.11589:                            ;   in Loop: Header=BB6_9788 Depth=3
	v_bfrev_b32_e32 v13, 1
	s_mov_b32 s43, exec_lo
	v_cmpx_ne_u16_e32 0x80, v12
	s_cbranch_execz .LBB6_11597
; %bb.11590:                            ;   in Loop: Header=BB6_9788 Depth=3
	v_and_b32_e32 v5, 0xffff, v12
	s_delay_alu instid0(VALU_DEP_1) | instskip(SKIP_1) | instid1(VALU_DEP_2)
	v_and_b32_e32 v13, 0x7c, v5
	v_and_b32_e32 v97, 3, v5
	v_cmp_ne_u32_e32 vcc_lo, 0x7c, v13
                                        ; implicit-def: $vgpr13
	s_and_saveexec_b32 s13, vcc_lo
	s_delay_alu instid0(SALU_CYCLE_1)
	s_xor_b32 s13, exec_lo, s13
	s_cbranch_execz .LBB6_11594
; %bb.11591:                            ;   in Loop: Header=BB6_9788 Depth=3
	v_bfe_u32 v5, v5, 2, 5
	s_mov_b32 s72, exec_lo
	s_delay_alu instid0(VALU_DEP_1)
	v_cmpx_eq_u32_e32 0, v5
	s_cbranch_execz .LBB6_11593
; %bb.11592:                            ;   in Loop: Header=BB6_9788 Depth=3
	v_clz_i32_u32_e32 v5, v97
	s_delay_alu instid0(VALU_DEP_1) | instskip(SKIP_1) | instid1(VALU_DEP_2)
	v_min_u32_e32 v5, 32, v5
	v_mov_b32_e32 v13, v21
	v_subrev_nc_u32_e32 v97, 29, v5
	v_sub_nc_u32_e32 v5, 30, v5
	s_delay_alu instid0(VALU_DEP_2) | instskip(NEXT) | instid1(VALU_DEP_1)
	v_lshlrev_b64_e32 v[12:13], v97, v[12:13]
	v_and_b32_e32 v97, 3, v12
.LBB6_11593:                            ;   in Loop: Header=BB6_9788 Depth=3
	s_or_b32 exec_lo, exec_lo, s72
	v_lshlrev_b32_e32 v4, 16, v4
	s_delay_alu instid0(VALU_DEP_1) | instskip(NEXT) | instid1(VALU_DEP_1)
	v_and_b32_e32 v4, 0x80000000, v4
	v_lshl_add_u32 v4, v5, 23, v4
	s_delay_alu instid0(VALU_DEP_1) | instskip(NEXT) | instid1(VALU_DEP_1)
	v_lshl_or_b32 v4, v97, 21, v4
                                        ; implicit-def: $vgpr97
	v_add_nc_u32_e32 v13, 0x38000000, v4
                                        ; implicit-def: $vgpr4_vgpr5
.LBB6_11594:                            ;   in Loop: Header=BB6_9788 Depth=3
	s_and_not1_saveexec_b32 s72, s13
; %bb.11595:                            ;   in Loop: Header=BB6_9788 Depth=3
	v_cmp_lt_i16_e64 s13, -1, v4
	v_mov_b32_e32 v4, 0x7f800000
	v_cmp_eq_u32_e32 vcc_lo, 0, v97
	s_delay_alu instid0(VALU_DEP_2) | instskip(NEXT) | instid1(VALU_DEP_1)
	v_cndmask_b32_e64 v4, 0xff800000, v4, s13
	v_cndmask_b32_e32 v13, 0x7f800001, v4, vcc_lo
; %bb.11596:                            ;   in Loop: Header=BB6_9788 Depth=3
	s_or_b32 exec_lo, exec_lo, s72
.LBB6_11597:                            ;   in Loop: Header=BB6_9788 Depth=3
	s_delay_alu instid0(SALU_CYCLE_1)
	s_or_b32 exec_lo, exec_lo, s43
.LBB6_11598:                            ;   in Loop: Header=BB6_9788 Depth=3
	s_delay_alu instid0(SALU_CYCLE_1) | instskip(SKIP_2) | instid1(VALU_DEP_1)
	s_or_b32 exec_lo, exec_lo, s42
	v_lshrrev_b16 v4, 8, v7
	s_mov_b32 s42, exec_lo
	v_cmpx_ne_u16_e32 0, v4
	s_cbranch_execz .LBB6_11608
; %bb.11599:                            ;   in Loop: Header=BB6_9788 Depth=3
	v_bfrev_b32_e32 v15, 1
	s_mov_b32 s43, exec_lo
	v_cmpx_ne_u16_e32 0x80, v4
	s_cbranch_execz .LBB6_11607
; %bb.11600:                            ;   in Loop: Header=BB6_9788 Depth=3
	v_and_b32_e32 v12, 0xffff, v4
	s_delay_alu instid0(VALU_DEP_1) | instskip(SKIP_1) | instid1(VALU_DEP_2)
	v_and_b32_e32 v15, 0x7c, v12
	v_and_b32_e32 v5, 3, v12
	v_cmp_ne_u32_e32 vcc_lo, 0x7c, v15
                                        ; implicit-def: $vgpr15
	s_and_saveexec_b32 s13, vcc_lo
	s_delay_alu instid0(SALU_CYCLE_1)
	s_xor_b32 s13, exec_lo, s13
	s_cbranch_execz .LBB6_11604
; %bb.11601:                            ;   in Loop: Header=BB6_9788 Depth=3
	v_bfe_u32 v12, v12, 2, 5
	s_mov_b32 s72, exec_lo
	s_delay_alu instid0(VALU_DEP_1)
	v_cmpx_eq_u32_e32 0, v12
	s_cbranch_execz .LBB6_11603
; %bb.11602:                            ;   in Loop: Header=BB6_9788 Depth=3
	v_clz_i32_u32_e32 v5, v5
	s_delay_alu instid0(VALU_DEP_1) | instskip(SKIP_1) | instid1(VALU_DEP_2)
	v_min_u32_e32 v12, 32, v5
	v_mov_b32_e32 v5, v21
	v_subrev_nc_u32_e32 v15, 29, v12
	v_sub_nc_u32_e32 v12, 30, v12
	s_delay_alu instid0(VALU_DEP_2) | instskip(NEXT) | instid1(VALU_DEP_1)
	v_lshlrev_b64_e32 v[4:5], v15, v[4:5]
	v_and_b32_e32 v5, 3, v4
.LBB6_11603:                            ;   in Loop: Header=BB6_9788 Depth=3
	s_or_b32 exec_lo, exec_lo, s72
	v_lshlrev_b32_e32 v4, 16, v7
	s_delay_alu instid0(VALU_DEP_1) | instskip(NEXT) | instid1(VALU_DEP_1)
	v_and_b32_e32 v4, 0x80000000, v4
	v_lshl_add_u32 v4, v12, 23, v4
	s_delay_alu instid0(VALU_DEP_1) | instskip(NEXT) | instid1(VALU_DEP_1)
	v_lshl_or_b32 v4, v5, 21, v4
                                        ; implicit-def: $vgpr5
	v_add_nc_u32_e32 v15, 0x38000000, v4
.LBB6_11604:                            ;   in Loop: Header=BB6_9788 Depth=3
	s_and_not1_saveexec_b32 s72, s13
; %bb.11605:                            ;   in Loop: Header=BB6_9788 Depth=3
	v_cmp_lt_i16_e64 s13, -1, v7
	v_mov_b32_e32 v4, 0x7f800000
	v_cmp_eq_u32_e32 vcc_lo, 0, v5
	s_delay_alu instid0(VALU_DEP_2) | instskip(NEXT) | instid1(VALU_DEP_1)
	v_cndmask_b32_e64 v4, 0xff800000, v4, s13
	v_cndmask_b32_e32 v15, 0x7f800001, v4, vcc_lo
; %bb.11606:                            ;   in Loop: Header=BB6_9788 Depth=3
	s_or_b32 exec_lo, exec_lo, s72
.LBB6_11607:                            ;   in Loop: Header=BB6_9788 Depth=3
	s_delay_alu instid0(SALU_CYCLE_1)
	s_or_b32 exec_lo, exec_lo, s43
.LBB6_11608:                            ;   in Loop: Header=BB6_9788 Depth=3
	s_delay_alu instid0(SALU_CYCLE_1) | instskip(NEXT) | instid1(VALU_DEP_1)
	s_or_b32 exec_lo, exec_lo, s42
	v_mul_f32_e32 v12, v13, v15
	v_dual_mov_b32 v99, v21 :: v_dual_mov_b32 v5, v21
                                        ; implicit-def: $vgpr15
	s_mov_b32 s13, exec_lo
	s_delay_alu instid0(VALU_DEP_2) | instskip(SKIP_2) | instid1(VALU_DEP_3)
	v_and_b32_e32 v98, 0x7f800000, v12
	v_and_b32_e32 v4, 0x7fffff, v12
	v_lshrrev_b32_e32 v13, 24, v12
	v_cmpx_ne_u64_e32 0x7f800000, v[98:99]
	s_xor_b32 s42, exec_lo, s13
	s_cbranch_execz .LBB6_11622
; %bb.11609:                            ;   in Loop: Header=BB6_9788 Depth=3
	v_and_b32_e32 v98, 0x7fffffff, v12
	v_mov_b32_e32 v99, v21
	v_and_b32_e32 v97, 0x80, v13
                                        ; implicit-def: $vgpr15
	s_mov_b32 s13, exec_lo
	s_delay_alu instid0(VALU_DEP_2)
	v_cmpx_gt_u64_e32 0x47600001, v[98:99]
	s_xor_b32 s43, exec_lo, s13
	s_cbranch_execz .LBB6_11619
; %bb.11610:                            ;   in Loop: Header=BB6_9788 Depth=3
	v_mov_b32_e32 v15, 0
	s_mov_b32 s72, exec_lo
	v_cmpx_ne_u32_e32 0, v12
	s_cbranch_execz .LBB6_11618
; %bb.11611:                            ;   in Loop: Header=BB6_9788 Depth=3
	v_bfe_u32 v15, v12, 23, 8
	v_or_b32_e32 v13, 0x800000, v4
	s_delay_alu instid0(VALU_DEP_2) | instskip(SKIP_2) | instid1(VALU_DEP_2)
	v_cmp_gt_u32_e64 s13, 0x72, v15
	v_sub_nc_u32_e32 v12, 0x71, v15
	v_cmp_eq_u32_e32 vcc_lo, 0, v15
	v_cndmask_b32_e64 v12, 0, v12, s13
	s_delay_alu instid0(VALU_DEP_1) | instskip(NEXT) | instid1(VALU_DEP_1)
	v_cndmask_b32_e64 v98, v12, 0x70, vcc_lo
	v_dual_cndmask_b32 v4, v13, v4, vcc_lo :: v_dual_add_nc_u32 v12, 21, v98
	v_add_nc_u32_e32 v99, 20, v98
	s_delay_alu instid0(VALU_DEP_2) | instskip(NEXT) | instid1(VALU_DEP_2)
	v_lshlrev_b64_e64 v[12:13], v12, -1
	v_lshlrev_b64_e64 v[100:101], v99, 1
	s_delay_alu instid0(VALU_DEP_2) | instskip(SKIP_1) | instid1(VALU_DEP_4)
	v_bfi_b32 v12, v12, 0, v4
	v_lshrrev_b64 v[4:5], v98, v[4:5]
	v_bfi_b32 v13, v13, 0, 0
	s_delay_alu instid0(VALU_DEP_1) | instskip(NEXT) | instid1(VALU_DEP_3)
	v_cmp_eq_u64_e64 s13, v[12:13], v[100:101]
	v_mov_b64_e32 v[12:13], v[4:5]
	s_and_saveexec_b32 s73, s13
; %bb.11612:                            ;   in Loop: Header=BB6_9788 Depth=3
	v_bfe_u32 v12, v4, 21, 1
	v_mov_b32_e32 v13, v21
	s_delay_alu instid0(VALU_DEP_1) | instskip(NEXT) | instid1(VALU_DEP_1)
	v_add_nc_u64_e32 v[12:13], v[4:5], v[12:13]
	v_add_nc_u64_e32 v[12:13], -1, v[12:13]
; %bb.11613:                            ;   in Loop: Header=BB6_9788 Depth=3
	s_or_b32 exec_lo, exec_lo, s73
	v_add_nc_u32_e32 v5, 0xffffff81, v15
	v_lshrrev_b32_e32 v13, 23, v4
	s_mov_b32 s13, exec_lo
	s_delay_alu instid0(VALU_DEP_2) | instskip(NEXT) | instid1(VALU_DEP_1)
	v_cndmask_b32_e64 v5, v5, 0xffffff82, vcc_lo
	v_add3_u32 v15, v98, v5, v13
	v_and_b32_e32 v5, 0x1fffff, v12
                                        ; implicit-def: $vgpr12
	s_delay_alu instid0(VALU_DEP_1) | instskip(SKIP_1) | instid1(VALU_DEP_2)
	v_dual_add_nc_u32 v13, 14, v15 :: v_dual_add_nc_u32 v4, v5, v4
	v_mov_b32_e32 v5, v21
	v_cmpx_ne_u32_e32 0, v13
	s_xor_b32 s13, exec_lo, s13
; %bb.11614:                            ;   in Loop: Header=BB6_9788 Depth=3
	s_delay_alu instid0(VALU_DEP_2) | instskip(SKIP_1) | instid1(VALU_DEP_1)
	v_cmp_lt_u64_e32 vcc_lo, 0xffffff, v[4:5]
	v_add_nc_u32_e32 v12, 15, v15
	v_cndmask_b32_e32 v12, v13, v12, vcc_lo
	v_cndmask_b32_e64 v13, 0, 1, vcc_lo
	s_delay_alu instid0(VALU_DEP_1)
	v_lshrrev_b64 v[4:5], v13, v[4:5]
; %bb.11615:                            ;   in Loop: Header=BB6_9788 Depth=3
	s_and_not1_saveexec_b32 s13, s13
; %bb.11616:                            ;   in Loop: Header=BB6_9788 Depth=3
	s_delay_alu instid0(VALU_DEP_1)
	v_bfe_u32 v12, v4, 23, 1
; %bb.11617:                            ;   in Loop: Header=BB6_9788 Depth=3
	s_or_b32 exec_lo, exec_lo, s13
	s_delay_alu instid0(VALU_DEP_2) | instskip(NEXT) | instid1(VALU_DEP_2)
	v_lshrrev_b64 v[4:5], 21, v[4:5]
	v_cmp_gt_i32_e32 vcc_lo, 32, v12
	v_min_i32_e32 v13, 31, v12
	v_cmp_eq_u32_e64 s13, 0, v12
	s_delay_alu instid0(VALU_DEP_4) | instskip(NEXT) | instid1(VALU_DEP_3)
	v_cndmask_b32_e32 v5, 0, v5, vcc_lo
	v_dual_cndmask_b32 v4, 3, v4 :: v_dual_lshlrev_b32 v13, 2, v13
	s_delay_alu instid0(VALU_DEP_1) | instskip(NEXT) | instid1(VALU_DEP_2)
	v_and_b32_e32 v13, 0xfc, v13
	v_cmp_eq_u64_e32 vcc_lo, 0, v[4:5]
	s_delay_alu instid0(VALU_DEP_2)
	v_and_or_b32 v4, v4, 3, v13
	s_and_b32 s13, s13, vcc_lo
	s_delay_alu instid0(VALU_DEP_1) | instid1(SALU_CYCLE_1)
	v_cndmask_b32_e64 v4, v4, 0, s13
	s_delay_alu instid0(VALU_DEP_1)
	v_or_b32_e32 v15, v4, v97
.LBB6_11618:                            ;   in Loop: Header=BB6_9788 Depth=3
	s_or_b32 exec_lo, exec_lo, s72
                                        ; implicit-def: $vgpr97
.LBB6_11619:                            ;   in Loop: Header=BB6_9788 Depth=3
	s_and_not1_saveexec_b32 s13, s43
; %bb.11620:                            ;   in Loop: Header=BB6_9788 Depth=3
	v_or_b32_e32 v15, 0x7b, v97
; %bb.11621:                            ;   in Loop: Header=BB6_9788 Depth=3
	s_or_b32 exec_lo, exec_lo, s13
                                        ; implicit-def: $vgpr12
                                        ; implicit-def: $vgpr4_vgpr5
                                        ; implicit-def: $vgpr13
.LBB6_11622:                            ;   in Loop: Header=BB6_9788 Depth=3
	s_and_not1_saveexec_b32 s13, s42
	s_cbranch_execz .LBB6_11628
; %bb.11623:                            ;   in Loop: Header=BB6_9788 Depth=3
	s_mov_b32 s42, exec_lo
                                        ; implicit-def: $vgpr15
	v_cmpx_ne_u64_e32 0, v[4:5]
	s_xor_b32 s42, exec_lo, s42
; %bb.11624:                            ;   in Loop: Header=BB6_9788 Depth=3
	v_or_b32_e32 v15, 0x7f, v13
                                        ; implicit-def: $vgpr12
; %bb.11625:                            ;   in Loop: Header=BB6_9788 Depth=3
	s_and_not1_saveexec_b32 s42, s42
; %bb.11626:                            ;   in Loop: Header=BB6_9788 Depth=3
	v_cmp_lt_i32_e32 vcc_lo, -1, v12
	v_mov_b32_e32 v4, 0x7c
	s_delay_alu instid0(VALU_DEP_1)
	v_cndmask_b32_e32 v15, 0xfc, v4, vcc_lo
; %bb.11627:                            ;   in Loop: Header=BB6_9788 Depth=3
	s_or_b32 exec_lo, exec_lo, s42
.LBB6_11628:                            ;   in Loop: Header=BB6_9788 Depth=3
	s_delay_alu instid0(SALU_CYCLE_1) | instskip(SKIP_3) | instid1(VALU_DEP_2)
	s_or_b32 exec_lo, exec_lo, s13
	v_dual_mov_b32 v5, 0 :: v_dual_lshrrev_b32 v4, 16, v17
	v_mov_b32_e32 v12, 0
	s_mov_b32 s42, exec_lo
	v_and_b32_e32 v13, 0xff, v4
	s_delay_alu instid0(VALU_DEP_1)
	v_cmpx_ne_u16_e32 0, v13
	s_cbranch_execz .LBB6_11638
; %bb.11629:                            ;   in Loop: Header=BB6_9788 Depth=3
	v_bfrev_b32_e32 v12, 1
	s_mov_b32 s43, exec_lo
	v_cmpx_ne_u16_e32 0x80, v13
	s_cbranch_execz .LBB6_11637
; %bb.11630:                            ;   in Loop: Header=BB6_9788 Depth=3
	v_and_b32_e32 v12, 0x7c0000, v17
	v_bfe_u32 v13, v17, 16, 2
	s_delay_alu instid0(VALU_DEP_2) | instskip(SKIP_1) | instid1(SALU_CYCLE_1)
	v_cmp_ne_u32_e32 vcc_lo, 0x7c0000, v12
                                        ; implicit-def: $vgpr12
	s_and_saveexec_b32 s13, vcc_lo
	s_xor_b32 s13, exec_lo, s13
	s_cbranch_execz .LBB6_11634
; %bb.11631:                            ;   in Loop: Header=BB6_9788 Depth=3
	v_bfe_u32 v12, v17, 18, 5
	s_mov_b32 s72, exec_lo
	s_delay_alu instid0(VALU_DEP_1)
	v_cmpx_eq_u32_e32 0, v12
; %bb.11632:                            ;   in Loop: Header=BB6_9788 Depth=3
	v_clz_i32_u32_e32 v12, v13
	s_delay_alu instid0(VALU_DEP_1) | instskip(NEXT) | instid1(VALU_DEP_1)
	v_min_u32_e32 v12, 32, v12
	v_subrev_nc_u32_e32 v13, 29, v12
	s_delay_alu instid0(VALU_DEP_1) | instskip(NEXT) | instid1(VALU_DEP_1)
	v_lshlrev_b64_e32 v[98:99], v13, v[4:5]
	v_dual_sub_nc_u32 v12, 30, v12 :: v_dual_bitop2_b32 v13, 3, v98 bitop3:0x40
; %bb.11633:                            ;   in Loop: Header=BB6_9788 Depth=3
	s_or_b32 exec_lo, exec_lo, s72
	v_lshlrev_b32_e32 v4, 24, v4
	s_delay_alu instid0(VALU_DEP_1) | instskip(NEXT) | instid1(VALU_DEP_1)
	v_and_b32_e32 v4, 0x80000000, v4
	v_lshl_add_u32 v4, v12, 23, v4
	s_delay_alu instid0(VALU_DEP_1) | instskip(NEXT) | instid1(VALU_DEP_1)
	v_lshl_or_b32 v4, v13, 21, v4
                                        ; implicit-def: $vgpr13
	v_add_nc_u32_e32 v12, 0x38000000, v4
                                        ; implicit-def: $vgpr4
.LBB6_11634:                            ;   in Loop: Header=BB6_9788 Depth=3
	s_and_not1_saveexec_b32 s72, s13
; %bb.11635:                            ;   in Loop: Header=BB6_9788 Depth=3
	v_bfe_i32 v4, v4, 0, 8
	v_cmp_eq_u32_e32 vcc_lo, 0, v13
	s_delay_alu instid0(VALU_DEP_2) | instskip(SKIP_1) | instid1(VALU_DEP_1)
	v_cmp_lt_i16_e64 s13, -1, v4
	v_mov_b32_e32 v4, 0x7f800000
	v_cndmask_b32_e64 v4, 0xff800000, v4, s13
	s_delay_alu instid0(VALU_DEP_1)
	v_cndmask_b32_e32 v12, 0x7f800001, v4, vcc_lo
; %bb.11636:                            ;   in Loop: Header=BB6_9788 Depth=3
	s_or_b32 exec_lo, exec_lo, s72
.LBB6_11637:                            ;   in Loop: Header=BB6_9788 Depth=3
	s_delay_alu instid0(SALU_CYCLE_1)
	s_or_b32 exec_lo, exec_lo, s43
.LBB6_11638:                            ;   in Loop: Header=BB6_9788 Depth=3
	s_delay_alu instid0(SALU_CYCLE_1) | instskip(SKIP_2) | instid1(VALU_DEP_1)
	s_or_b32 exec_lo, exec_lo, s42
	v_lshrrev_b32_e32 v4, 16, v7
	s_mov_b32 s42, exec_lo
	v_and_b32_e32 v13, 0xff, v4
	s_delay_alu instid0(VALU_DEP_1)
	v_cmpx_ne_u16_e32 0, v13
	s_cbranch_execz .LBB6_11648
; %bb.11639:                            ;   in Loop: Header=BB6_9788 Depth=3
	v_bfrev_b32_e32 v5, 1
	s_mov_b32 s43, exec_lo
	v_cmpx_ne_u16_e32 0x80, v13
	s_cbranch_execz .LBB6_11647
; %bb.11640:                            ;   in Loop: Header=BB6_9788 Depth=3
	v_and_b32_e32 v5, 0x7c0000, v7
	v_bfe_u32 v13, v7, 16, 2
	s_delay_alu instid0(VALU_DEP_2) | instskip(SKIP_1) | instid1(SALU_CYCLE_1)
	v_cmp_ne_u32_e32 vcc_lo, 0x7c0000, v5
                                        ; implicit-def: $vgpr5
	s_and_saveexec_b32 s13, vcc_lo
	s_xor_b32 s13, exec_lo, s13
	s_cbranch_execz .LBB6_11644
; %bb.11641:                            ;   in Loop: Header=BB6_9788 Depth=3
	v_bfe_u32 v5, v7, 18, 5
	s_mov_b32 s72, exec_lo
	s_delay_alu instid0(VALU_DEP_1)
	v_cmpx_eq_u32_e32 0, v5
; %bb.11642:                            ;   in Loop: Header=BB6_9788 Depth=3
	v_clz_i32_u32_e32 v5, v13
	s_delay_alu instid0(VALU_DEP_1) | instskip(NEXT) | instid1(VALU_DEP_1)
	v_min_u32_e32 v5, 32, v5
	v_subrev_nc_u32_e32 v13, 29, v5
	s_delay_alu instid0(VALU_DEP_1) | instskip(NEXT) | instid1(VALU_DEP_1)
	v_lshlrev_b64_e32 v[98:99], v13, v[4:5]
	v_dual_sub_nc_u32 v5, 30, v5 :: v_dual_bitop2_b32 v13, 3, v98 bitop3:0x40
; %bb.11643:                            ;   in Loop: Header=BB6_9788 Depth=3
	s_or_b32 exec_lo, exec_lo, s72
	v_lshlrev_b32_e32 v4, 24, v4
	s_delay_alu instid0(VALU_DEP_1) | instskip(NEXT) | instid1(VALU_DEP_1)
	v_and_b32_e32 v4, 0x80000000, v4
	v_lshl_add_u32 v4, v5, 23, v4
	s_delay_alu instid0(VALU_DEP_1) | instskip(NEXT) | instid1(VALU_DEP_1)
	v_lshl_or_b32 v4, v13, 21, v4
                                        ; implicit-def: $vgpr13
	v_add_nc_u32_e32 v5, 0x38000000, v4
                                        ; implicit-def: $vgpr4
.LBB6_11644:                            ;   in Loop: Header=BB6_9788 Depth=3
	s_and_not1_saveexec_b32 s72, s13
; %bb.11645:                            ;   in Loop: Header=BB6_9788 Depth=3
	v_bfe_i32 v4, v4, 0, 8
	v_cmp_eq_u32_e32 vcc_lo, 0, v13
	s_delay_alu instid0(VALU_DEP_2) | instskip(SKIP_1) | instid1(VALU_DEP_1)
	v_cmp_lt_i16_e64 s13, -1, v4
	v_mov_b32_e32 v4, 0x7f800000
	v_cndmask_b32_e64 v4, 0xff800000, v4, s13
	s_delay_alu instid0(VALU_DEP_1)
	v_cndmask_b32_e32 v5, 0x7f800001, v4, vcc_lo
; %bb.11646:                            ;   in Loop: Header=BB6_9788 Depth=3
	s_or_b32 exec_lo, exec_lo, s72
.LBB6_11647:                            ;   in Loop: Header=BB6_9788 Depth=3
	s_delay_alu instid0(SALU_CYCLE_1)
	s_or_b32 exec_lo, exec_lo, s43
.LBB6_11648:                            ;   in Loop: Header=BB6_9788 Depth=3
	s_delay_alu instid0(SALU_CYCLE_1) | instskip(NEXT) | instid1(VALU_DEP_1)
	s_or_b32 exec_lo, exec_lo, s42
	v_dual_mul_f32 v12, v12, v5 :: v_dual_mov_b32 v99, v21
	v_mov_b32_e32 v5, v21
                                        ; implicit-def: $vgpr97
	s_mov_b32 s13, exec_lo
	s_delay_alu instid0(VALU_DEP_2) | instskip(SKIP_2) | instid1(VALU_DEP_3)
	v_and_b32_e32 v98, 0x7f800000, v12
	v_and_b32_e32 v4, 0x7fffff, v12
	v_lshrrev_b32_e32 v13, 24, v12
	v_cmpx_ne_u64_e32 0x7f800000, v[98:99]
	s_xor_b32 s42, exec_lo, s13
	s_cbranch_execz .LBB6_11662
; %bb.11649:                            ;   in Loop: Header=BB6_9788 Depth=3
	v_and_b32_e32 v98, 0x7fffffff, v12
	v_mov_b32_e32 v99, v21
                                        ; implicit-def: $vgpr97
	s_delay_alu instid0(VALU_DEP_1) | instskip(SKIP_2) | instid1(SALU_CYCLE_1)
	v_cmp_gt_u64_e32 vcc_lo, 0x47600001, v[98:99]
	v_and_b32_e32 v98, 0x80, v13
	s_and_saveexec_b32 s13, vcc_lo
	s_xor_b32 s43, exec_lo, s13
	s_cbranch_execz .LBB6_11659
; %bb.11650:                            ;   in Loop: Header=BB6_9788 Depth=3
	v_mov_b32_e32 v97, 0
	s_mov_b32 s72, exec_lo
	v_cmpx_ne_u32_e32 0, v12
	s_cbranch_execz .LBB6_11658
; %bb.11651:                            ;   in Loop: Header=BB6_9788 Depth=3
	v_bfe_u32 v97, v12, 23, 8
	v_or_b32_e32 v13, 0x800000, v4
	s_delay_alu instid0(VALU_DEP_2) | instskip(SKIP_2) | instid1(VALU_DEP_2)
	v_cmp_gt_u32_e64 s13, 0x72, v97
	v_sub_nc_u32_e32 v12, 0x71, v97
	v_cmp_eq_u32_e32 vcc_lo, 0, v97
	v_cndmask_b32_e64 v12, 0, v12, s13
	s_delay_alu instid0(VALU_DEP_1) | instskip(NEXT) | instid1(VALU_DEP_1)
	v_cndmask_b32_e64 v99, v12, 0x70, vcc_lo
	v_dual_cndmask_b32 v4, v13, v4, vcc_lo :: v_dual_add_nc_u32 v12, 21, v99
	v_add_nc_u32_e32 v100, 20, v99
	s_delay_alu instid0(VALU_DEP_2) | instskip(NEXT) | instid1(VALU_DEP_2)
	v_lshlrev_b64_e64 v[12:13], v12, -1
	v_lshlrev_b64_e64 v[100:101], v100, 1
	s_delay_alu instid0(VALU_DEP_2) | instskip(SKIP_1) | instid1(VALU_DEP_4)
	v_bfi_b32 v12, v12, 0, v4
	v_lshrrev_b64 v[4:5], v99, v[4:5]
	v_bfi_b32 v13, v13, 0, 0
	s_delay_alu instid0(VALU_DEP_1) | instskip(NEXT) | instid1(VALU_DEP_3)
	v_cmp_eq_u64_e64 s13, v[12:13], v[100:101]
	v_mov_b64_e32 v[12:13], v[4:5]
	s_and_saveexec_b32 s73, s13
; %bb.11652:                            ;   in Loop: Header=BB6_9788 Depth=3
	v_bfe_u32 v12, v4, 21, 1
	v_mov_b32_e32 v13, v21
	s_delay_alu instid0(VALU_DEP_1) | instskip(NEXT) | instid1(VALU_DEP_1)
	v_add_nc_u64_e32 v[12:13], v[4:5], v[12:13]
	v_add_nc_u64_e32 v[12:13], -1, v[12:13]
; %bb.11653:                            ;   in Loop: Header=BB6_9788 Depth=3
	s_or_b32 exec_lo, exec_lo, s73
	v_add_nc_u32_e32 v5, 0xffffff81, v97
	v_lshrrev_b32_e32 v13, 23, v4
	s_mov_b32 s13, exec_lo
	s_delay_alu instid0(VALU_DEP_2) | instskip(NEXT) | instid1(VALU_DEP_1)
	v_cndmask_b32_e64 v5, v5, 0xffffff82, vcc_lo
	v_add3_u32 v97, v99, v5, v13
	v_and_b32_e32 v5, 0x1fffff, v12
                                        ; implicit-def: $vgpr12
	s_delay_alu instid0(VALU_DEP_1) | instskip(SKIP_1) | instid1(VALU_DEP_2)
	v_dual_add_nc_u32 v13, 14, v97 :: v_dual_add_nc_u32 v4, v5, v4
	v_mov_b32_e32 v5, v21
	v_cmpx_ne_u32_e32 0, v13
	s_xor_b32 s13, exec_lo, s13
; %bb.11654:                            ;   in Loop: Header=BB6_9788 Depth=3
	s_delay_alu instid0(VALU_DEP_2) | instskip(SKIP_1) | instid1(VALU_DEP_1)
	v_cmp_lt_u64_e32 vcc_lo, 0xffffff, v[4:5]
	v_add_nc_u32_e32 v12, 15, v97
	v_cndmask_b32_e32 v12, v13, v12, vcc_lo
	v_cndmask_b32_e64 v13, 0, 1, vcc_lo
	s_delay_alu instid0(VALU_DEP_1)
	v_lshrrev_b64 v[4:5], v13, v[4:5]
; %bb.11655:                            ;   in Loop: Header=BB6_9788 Depth=3
	s_and_not1_saveexec_b32 s13, s13
; %bb.11656:                            ;   in Loop: Header=BB6_9788 Depth=3
	s_delay_alu instid0(VALU_DEP_1)
	v_bfe_u32 v12, v4, 23, 1
; %bb.11657:                            ;   in Loop: Header=BB6_9788 Depth=3
	s_or_b32 exec_lo, exec_lo, s13
	s_delay_alu instid0(VALU_DEP_2) | instskip(NEXT) | instid1(VALU_DEP_2)
	v_lshrrev_b64 v[4:5], 21, v[4:5]
	v_cmp_gt_i32_e32 vcc_lo, 32, v12
	v_min_i32_e32 v13, 31, v12
	v_cmp_eq_u32_e64 s13, 0, v12
	s_delay_alu instid0(VALU_DEP_4) | instskip(NEXT) | instid1(VALU_DEP_3)
	v_cndmask_b32_e32 v5, 0, v5, vcc_lo
	v_dual_cndmask_b32 v4, 3, v4 :: v_dual_lshlrev_b32 v13, 2, v13
	s_delay_alu instid0(VALU_DEP_1) | instskip(NEXT) | instid1(VALU_DEP_2)
	v_and_b32_e32 v13, 0xfc, v13
	v_cmp_eq_u64_e32 vcc_lo, 0, v[4:5]
	s_delay_alu instid0(VALU_DEP_2)
	v_and_or_b32 v4, v4, 3, v13
	s_and_b32 s13, s13, vcc_lo
	s_delay_alu instid0(VALU_DEP_1) | instid1(SALU_CYCLE_1)
	v_cndmask_b32_e64 v4, v4, 0, s13
	s_delay_alu instid0(VALU_DEP_1)
	v_or_b32_e32 v97, v4, v98
.LBB6_11658:                            ;   in Loop: Header=BB6_9788 Depth=3
	s_or_b32 exec_lo, exec_lo, s72
                                        ; implicit-def: $vgpr98
.LBB6_11659:                            ;   in Loop: Header=BB6_9788 Depth=3
	s_and_not1_saveexec_b32 s13, s43
; %bb.11660:                            ;   in Loop: Header=BB6_9788 Depth=3
	v_or_b32_e32 v97, 0x7b, v98
; %bb.11661:                            ;   in Loop: Header=BB6_9788 Depth=3
	s_or_b32 exec_lo, exec_lo, s13
                                        ; implicit-def: $vgpr12
                                        ; implicit-def: $vgpr4_vgpr5
                                        ; implicit-def: $vgpr13
.LBB6_11662:                            ;   in Loop: Header=BB6_9788 Depth=3
	s_and_not1_saveexec_b32 s13, s42
	s_cbranch_execz .LBB6_11668
; %bb.11663:                            ;   in Loop: Header=BB6_9788 Depth=3
	s_mov_b32 s42, exec_lo
                                        ; implicit-def: $vgpr97
	v_cmpx_ne_u64_e32 0, v[4:5]
	s_xor_b32 s42, exec_lo, s42
; %bb.11664:                            ;   in Loop: Header=BB6_9788 Depth=3
	v_or_b32_e32 v97, 0x7f, v13
                                        ; implicit-def: $vgpr12
; %bb.11665:                            ;   in Loop: Header=BB6_9788 Depth=3
	s_and_not1_saveexec_b32 s42, s42
; %bb.11666:                            ;   in Loop: Header=BB6_9788 Depth=3
	v_cmp_lt_i32_e32 vcc_lo, -1, v12
	v_mov_b32_e32 v4, 0x7c
	s_delay_alu instid0(VALU_DEP_1)
	v_cndmask_b32_e32 v97, 0xfc, v4, vcc_lo
; %bb.11667:                            ;   in Loop: Header=BB6_9788 Depth=3
	s_or_b32 exec_lo, exec_lo, s42
.LBB6_11668:                            ;   in Loop: Header=BB6_9788 Depth=3
	s_delay_alu instid0(SALU_CYCLE_1)
	s_or_b32 exec_lo, exec_lo, s13
	v_dual_mov_b32 v5, 0 :: v_dual_mov_b32 v12, 0
	s_mov_b32 s42, exec_lo
	v_cmpx_lt_u64_e64 s[22:23], v[16:17]
	s_cbranch_execz .LBB6_11678
; %bb.11669:                            ;   in Loop: Header=BB6_9788 Depth=3
	v_lshrrev_b32_e32 v4, 24, v17
	v_bfrev_b32_e32 v12, 1
	s_mov_b32 s43, exec_lo
	s_delay_alu instid0(VALU_DEP_2)
	v_cmpx_ne_u32_e32 0x80, v4
	s_cbranch_execz .LBB6_11677
; %bb.11670:                            ;   in Loop: Header=BB6_9788 Depth=3
	v_and_b32_e32 v12, 0x7c000000, v17
	v_bfe_u32 v13, v17, 24, 2
	s_delay_alu instid0(VALU_DEP_2) | instskip(SKIP_1) | instid1(SALU_CYCLE_1)
	v_cmp_ne_u32_e32 vcc_lo, 0x7c000000, v12
                                        ; implicit-def: $vgpr12
	s_and_saveexec_b32 s13, vcc_lo
	s_xor_b32 s13, exec_lo, s13
	s_cbranch_execz .LBB6_11674
; %bb.11671:                            ;   in Loop: Header=BB6_9788 Depth=3
	v_bfe_u32 v12, v17, 26, 5
	s_mov_b32 s72, exec_lo
	s_delay_alu instid0(VALU_DEP_1)
	v_cmpx_eq_u32_e32 0, v12
; %bb.11672:                            ;   in Loop: Header=BB6_9788 Depth=3
	v_clz_i32_u32_e32 v12, v13
	s_delay_alu instid0(VALU_DEP_1) | instskip(NEXT) | instid1(VALU_DEP_1)
	v_min_u32_e32 v12, 32, v12
	v_subrev_nc_u32_e32 v13, 29, v12
	s_delay_alu instid0(VALU_DEP_1) | instskip(NEXT) | instid1(VALU_DEP_1)
	v_lshlrev_b64_e32 v[98:99], v13, v[4:5]
	v_dual_sub_nc_u32 v12, 30, v12 :: v_dual_bitop2_b32 v13, 3, v98 bitop3:0x40
; %bb.11673:                            ;   in Loop: Header=BB6_9788 Depth=3
	s_or_b32 exec_lo, exec_lo, s72
	v_and_b32_e32 v4, 0x80000000, v17
                                        ; implicit-def: $vgpr16_vgpr17
	s_delay_alu instid0(VALU_DEP_1) | instskip(NEXT) | instid1(VALU_DEP_1)
	v_lshl_add_u32 v4, v12, 23, v4
	v_lshl_or_b32 v4, v13, 21, v4
                                        ; implicit-def: $vgpr13
	s_delay_alu instid0(VALU_DEP_1)
	v_add_nc_u32_e32 v12, 0x38000000, v4
.LBB6_11674:                            ;   in Loop: Header=BB6_9788 Depth=3
	s_and_not1_saveexec_b32 s72, s13
; %bb.11675:                            ;   in Loop: Header=BB6_9788 Depth=3
	v_cmp_lt_i64_e64 s13, -1, v[16:17]
	v_mov_b32_e32 v4, 0x7f800000
	v_cmp_eq_u32_e32 vcc_lo, 0, v13
	s_delay_alu instid0(VALU_DEP_2) | instskip(NEXT) | instid1(VALU_DEP_1)
	v_cndmask_b32_e64 v4, 0xff800000, v4, s13
	v_cndmask_b32_e32 v12, 0x7f800001, v4, vcc_lo
; %bb.11676:                            ;   in Loop: Header=BB6_9788 Depth=3
	s_or_b32 exec_lo, exec_lo, s72
.LBB6_11677:                            ;   in Loop: Header=BB6_9788 Depth=3
	s_delay_alu instid0(SALU_CYCLE_1)
	s_or_b32 exec_lo, exec_lo, s43
.LBB6_11678:                            ;   in Loop: Header=BB6_9788 Depth=3
	s_delay_alu instid0(SALU_CYCLE_1) | instskip(NEXT) | instid1(SALU_CYCLE_1)
	s_or_b32 exec_lo, exec_lo, s42
	s_mov_b32 s42, exec_lo
	v_cmpx_lt_u64_e64 s[22:23], v[6:7]
	s_cbranch_execz .LBB6_11688
; %bb.11679:                            ;   in Loop: Header=BB6_9788 Depth=3
	v_lshrrev_b32_e32 v4, 24, v7
	v_bfrev_b32_e32 v5, 1
	s_mov_b32 s43, exec_lo
	s_delay_alu instid0(VALU_DEP_2)
	v_cmpx_ne_u32_e32 0x80, v4
	s_cbranch_execz .LBB6_11687
; %bb.11680:                            ;   in Loop: Header=BB6_9788 Depth=3
	v_and_b32_e32 v5, 0x7c000000, v7
	v_bfe_u32 v13, v7, 24, 2
	s_delay_alu instid0(VALU_DEP_2) | instskip(SKIP_1) | instid1(SALU_CYCLE_1)
	v_cmp_ne_u32_e32 vcc_lo, 0x7c000000, v5
                                        ; implicit-def: $vgpr5
	s_and_saveexec_b32 s13, vcc_lo
	s_xor_b32 s13, exec_lo, s13
	s_cbranch_execz .LBB6_11684
; %bb.11681:                            ;   in Loop: Header=BB6_9788 Depth=3
	v_bfe_u32 v5, v7, 26, 5
	s_mov_b32 s72, exec_lo
	s_delay_alu instid0(VALU_DEP_1)
	v_cmpx_eq_u32_e32 0, v5
; %bb.11682:                            ;   in Loop: Header=BB6_9788 Depth=3
	v_clz_i32_u32_e32 v5, v13
	s_delay_alu instid0(VALU_DEP_1) | instskip(NEXT) | instid1(VALU_DEP_1)
	v_min_u32_e32 v6, 32, v5
	v_subrev_nc_u32_e32 v5, 29, v6
	s_delay_alu instid0(VALU_DEP_1) | instskip(NEXT) | instid1(VALU_DEP_1)
	v_lshlrev_b64_e32 v[4:5], v5, v[4:5]
	v_dual_sub_nc_u32 v5, 30, v6 :: v_dual_bitop2_b32 v13, 3, v4 bitop3:0x40
; %bb.11683:                            ;   in Loop: Header=BB6_9788 Depth=3
	s_or_b32 exec_lo, exec_lo, s72
	v_and_b32_e32 v4, 0x80000000, v7
                                        ; implicit-def: $vgpr6_vgpr7
	s_delay_alu instid0(VALU_DEP_1) | instskip(NEXT) | instid1(VALU_DEP_1)
	v_lshl_add_u32 v4, v5, 23, v4
	v_lshl_or_b32 v4, v13, 21, v4
                                        ; implicit-def: $vgpr13
	s_delay_alu instid0(VALU_DEP_1)
	v_add_nc_u32_e32 v5, 0x38000000, v4
.LBB6_11684:                            ;   in Loop: Header=BB6_9788 Depth=3
	s_and_not1_saveexec_b32 s72, s13
; %bb.11685:                            ;   in Loop: Header=BB6_9788 Depth=3
	v_cmp_lt_i64_e64 s13, -1, v[6:7]
	v_mov_b32_e32 v4, 0x7f800000
	v_cmp_eq_u32_e32 vcc_lo, 0, v13
	s_delay_alu instid0(VALU_DEP_2) | instskip(NEXT) | instid1(VALU_DEP_1)
	v_cndmask_b32_e64 v4, 0xff800000, v4, s13
	v_cndmask_b32_e32 v5, 0x7f800001, v4, vcc_lo
; %bb.11686:                            ;   in Loop: Header=BB6_9788 Depth=3
	s_or_b32 exec_lo, exec_lo, s72
.LBB6_11687:                            ;   in Loop: Header=BB6_9788 Depth=3
	s_delay_alu instid0(SALU_CYCLE_1)
	s_or_b32 exec_lo, exec_lo, s43
.LBB6_11688:                            ;   in Loop: Header=BB6_9788 Depth=3
	s_delay_alu instid0(SALU_CYCLE_1) | instskip(NEXT) | instid1(VALU_DEP_1)
	s_or_b32 exec_lo, exec_lo, s42
	v_dual_mul_f32 v6, v12, v5 :: v_dual_mov_b32 v13, v21
	v_mov_b32_e32 v5, v21
                                        ; implicit-def: $vgpr16
	s_mov_b32 s13, exec_lo
	s_delay_alu instid0(VALU_DEP_2) | instskip(SKIP_2) | instid1(VALU_DEP_3)
	v_and_b32_e32 v12, 0x7f800000, v6
	v_and_b32_e32 v4, 0x7fffff, v6
	v_lshrrev_b32_e32 v7, 24, v6
	v_cmpx_ne_u64_e32 0x7f800000, v[12:13]
	s_xor_b32 s42, exec_lo, s13
	s_cbranch_execz .LBB6_11702
; %bb.11689:                            ;   in Loop: Header=BB6_9788 Depth=3
	v_and_b32_e32 v12, 0x7fffffff, v6
	v_mov_b32_e32 v13, v21
                                        ; implicit-def: $vgpr16
	s_delay_alu instid0(VALU_DEP_1) | instskip(SKIP_2) | instid1(SALU_CYCLE_1)
	v_cmp_gt_u64_e32 vcc_lo, 0x47600001, v[12:13]
	v_and_b32_e32 v12, 0x80, v7
	s_and_saveexec_b32 s13, vcc_lo
	s_xor_b32 s43, exec_lo, s13
	s_cbranch_execz .LBB6_11699
; %bb.11690:                            ;   in Loop: Header=BB6_9788 Depth=3
	v_mov_b32_e32 v16, 0
	s_mov_b32 s72, exec_lo
	v_cmpx_ne_u32_e32 0, v6
	s_cbranch_execz .LBB6_11698
; %bb.11691:                            ;   in Loop: Header=BB6_9788 Depth=3
	v_bfe_u32 v13, v6, 23, 8
	v_or_b32_e32 v7, 0x800000, v4
	s_delay_alu instid0(VALU_DEP_2) | instskip(SKIP_2) | instid1(VALU_DEP_2)
	v_cmp_gt_u32_e64 s13, 0x72, v13
	v_sub_nc_u32_e32 v6, 0x71, v13
	v_cmp_eq_u32_e32 vcc_lo, 0, v13
	v_dual_cndmask_b32 v6, 0, v6, s13 :: v_dual_cndmask_b32 v4, v7, v4, vcc_lo
	s_delay_alu instid0(VALU_DEP_1) | instskip(NEXT) | instid1(VALU_DEP_1)
	v_cndmask_b32_e64 v16, v6, 0x70, vcc_lo
	v_dual_add_nc_u32 v6, 21, v16 :: v_dual_add_nc_u32 v17, 20, v16
	s_delay_alu instid0(VALU_DEP_1) | instskip(NEXT) | instid1(VALU_DEP_2)
	v_lshlrev_b64_e64 v[6:7], v6, -1
	v_lshlrev_b64_e64 v[98:99], v17, 1
	s_delay_alu instid0(VALU_DEP_2) | instskip(SKIP_1) | instid1(VALU_DEP_4)
	v_bfi_b32 v6, v6, 0, v4
	v_lshrrev_b64 v[4:5], v16, v[4:5]
	v_bfi_b32 v7, v7, 0, 0
	s_delay_alu instid0(VALU_DEP_1) | instskip(NEXT) | instid1(VALU_DEP_3)
	v_cmp_eq_u64_e64 s13, v[6:7], v[98:99]
	v_mov_b64_e32 v[6:7], v[4:5]
	s_and_saveexec_b32 s73, s13
; %bb.11692:                            ;   in Loop: Header=BB6_9788 Depth=3
	v_bfe_u32 v6, v4, 21, 1
	v_mov_b32_e32 v7, v21
	s_delay_alu instid0(VALU_DEP_1) | instskip(NEXT) | instid1(VALU_DEP_1)
	v_add_nc_u64_e32 v[6:7], v[4:5], v[6:7]
	v_add_nc_u64_e32 v[6:7], -1, v[6:7]
; %bb.11693:                            ;   in Loop: Header=BB6_9788 Depth=3
	s_or_b32 exec_lo, exec_lo, s73
	v_add_nc_u32_e32 v5, 0xffffff81, v13
	v_lshrrev_b32_e32 v7, 23, v4
	s_mov_b32 s13, exec_lo
	s_delay_alu instid0(VALU_DEP_2) | instskip(NEXT) | instid1(VALU_DEP_1)
	v_cndmask_b32_e64 v5, v5, 0xffffff82, vcc_lo
	v_add3_u32 v13, v16, v5, v7
	v_and_b32_e32 v5, 0x1fffff, v6
                                        ; implicit-def: $vgpr6
	s_delay_alu instid0(VALU_DEP_1) | instskip(SKIP_1) | instid1(VALU_DEP_2)
	v_dual_add_nc_u32 v7, 14, v13 :: v_dual_add_nc_u32 v4, v5, v4
	v_mov_b32_e32 v5, v21
	v_cmpx_ne_u32_e32 0, v7
	s_xor_b32 s13, exec_lo, s13
; %bb.11694:                            ;   in Loop: Header=BB6_9788 Depth=3
	s_delay_alu instid0(VALU_DEP_2) | instskip(SKIP_1) | instid1(VALU_DEP_1)
	v_cmp_lt_u64_e32 vcc_lo, 0xffffff, v[4:5]
	v_add_nc_u32_e32 v6, 15, v13
	v_cndmask_b32_e32 v6, v7, v6, vcc_lo
	v_cndmask_b32_e64 v7, 0, 1, vcc_lo
	s_delay_alu instid0(VALU_DEP_1)
	v_lshrrev_b64 v[4:5], v7, v[4:5]
; %bb.11695:                            ;   in Loop: Header=BB6_9788 Depth=3
	s_and_not1_saveexec_b32 s13, s13
; %bb.11696:                            ;   in Loop: Header=BB6_9788 Depth=3
	s_delay_alu instid0(VALU_DEP_1)
	v_bfe_u32 v6, v4, 23, 1
; %bb.11697:                            ;   in Loop: Header=BB6_9788 Depth=3
	s_or_b32 exec_lo, exec_lo, s13
	s_delay_alu instid0(VALU_DEP_2) | instskip(NEXT) | instid1(VALU_DEP_2)
	v_lshrrev_b64 v[4:5], 21, v[4:5]
	v_cmp_gt_i32_e32 vcc_lo, 32, v6
	v_min_i32_e32 v7, 31, v6
	v_cmp_eq_u32_e64 s13, 0, v6
	s_delay_alu instid0(VALU_DEP_2) | instskip(SKIP_1) | instid1(VALU_DEP_2)
	v_dual_cndmask_b32 v5, 0, v5, vcc_lo :: v_dual_lshlrev_b32 v7, 2, v7
	v_cndmask_b32_e32 v4, 3, v4, vcc_lo
	v_and_b32_e32 v7, 0xfc, v7
	s_delay_alu instid0(VALU_DEP_2) | instskip(NEXT) | instid1(VALU_DEP_2)
	v_cmp_eq_u64_e32 vcc_lo, 0, v[4:5]
	v_and_or_b32 v4, v4, 3, v7
	s_and_b32 s13, s13, vcc_lo
	s_delay_alu instid0(VALU_DEP_1) | instid1(SALU_CYCLE_1)
	v_cndmask_b32_e64 v4, v4, 0, s13
	s_delay_alu instid0(VALU_DEP_1)
	v_or_b32_e32 v16, v4, v12
.LBB6_11698:                            ;   in Loop: Header=BB6_9788 Depth=3
	s_or_b32 exec_lo, exec_lo, s72
                                        ; implicit-def: $vgpr12
.LBB6_11699:                            ;   in Loop: Header=BB6_9788 Depth=3
	s_and_not1_saveexec_b32 s13, s43
; %bb.11700:                            ;   in Loop: Header=BB6_9788 Depth=3
	v_or_b32_e32 v16, 0x7b, v12
; %bb.11701:                            ;   in Loop: Header=BB6_9788 Depth=3
	s_or_b32 exec_lo, exec_lo, s13
                                        ; implicit-def: $vgpr6
                                        ; implicit-def: $vgpr4_vgpr5
                                        ; implicit-def: $vgpr7
.LBB6_11702:                            ;   in Loop: Header=BB6_9788 Depth=3
	s_and_not1_saveexec_b32 s13, s42
	s_cbranch_execz .LBB6_11708
; %bb.11703:                            ;   in Loop: Header=BB6_9788 Depth=3
	s_mov_b32 s42, exec_lo
                                        ; implicit-def: $vgpr16
	v_cmpx_ne_u64_e32 0, v[4:5]
	s_xor_b32 s42, exec_lo, s42
; %bb.11704:                            ;   in Loop: Header=BB6_9788 Depth=3
	v_or_b32_e32 v16, 0x7f, v7
                                        ; implicit-def: $vgpr6
; %bb.11705:                            ;   in Loop: Header=BB6_9788 Depth=3
	s_and_not1_saveexec_b32 s42, s42
; %bb.11706:                            ;   in Loop: Header=BB6_9788 Depth=3
	v_cmp_lt_i32_e32 vcc_lo, -1, v6
	v_mov_b32_e32 v4, 0x7c
	s_delay_alu instid0(VALU_DEP_1)
	v_cndmask_b32_e32 v16, 0xfc, v4, vcc_lo
; %bb.11707:                            ;   in Loop: Header=BB6_9788 Depth=3
	s_or_b32 exec_lo, exec_lo, s42
.LBB6_11708:                            ;   in Loop: Header=BB6_9788 Depth=3
	s_delay_alu instid0(SALU_CYCLE_1) | instskip(SKIP_2) | instid1(VALU_DEP_2)
	s_or_b32 exec_lo, exec_lo, s13
	v_and_b32_e32 v5, 0xff, v0
	v_mov_b32_e32 v4, 0
	v_cmp_ne_u16_e32 vcc_lo, 0, v5
	v_mov_b32_e32 v5, 0
	s_and_saveexec_b32 s42, vcc_lo
	s_cbranch_execz .LBB6_11718
; %bb.11709:                            ;   in Loop: Header=BB6_9788 Depth=3
	v_bfe_i32 v7, v0, 0, 8
	v_bfrev_b32_e32 v5, 1
	s_mov_b32 s43, exec_lo
	s_delay_alu instid0(VALU_DEP_2)
	v_cmpx_ne_u16_e32 0xff80, v7
	s_cbranch_execz .LBB6_11717
; %bb.11710:                            ;   in Loop: Header=BB6_9788 Depth=3
	v_and_b32_e32 v5, 0x7c, v0
	v_and_b32_e32 v6, 3, v0
	s_delay_alu instid0(VALU_DEP_2) | instskip(SKIP_1) | instid1(SALU_CYCLE_1)
	v_cmp_ne_u32_e32 vcc_lo, 0x7c, v5
                                        ; implicit-def: $vgpr5
	s_and_saveexec_b32 s13, vcc_lo
	s_xor_b32 s13, exec_lo, s13
	s_cbranch_execz .LBB6_11714
; %bb.11711:                            ;   in Loop: Header=BB6_9788 Depth=3
	v_bfe_u32 v5, v0, 2, 5
	s_mov_b32 s72, exec_lo
	s_delay_alu instid0(VALU_DEP_1)
	v_cmpx_eq_u32_e32 0, v5
; %bb.11712:                            ;   in Loop: Header=BB6_9788 Depth=3
	v_clz_i32_u32_e32 v5, v6
	s_delay_alu instid0(VALU_DEP_1) | instskip(NEXT) | instid1(VALU_DEP_1)
	v_min_u32_e32 v5, 32, v5
	v_subrev_nc_u32_e32 v6, 29, v5
	s_delay_alu instid0(VALU_DEP_1) | instskip(NEXT) | instid1(VALU_DEP_1)
	v_lshlrev_b64_e32 v[6:7], v6, v[0:1]
	v_dual_sub_nc_u32 v5, 30, v5 :: v_dual_bitop2_b32 v6, 3, v6 bitop3:0x40
; %bb.11713:                            ;   in Loop: Header=BB6_9788 Depth=3
	s_or_b32 exec_lo, exec_lo, s72
	v_lshlrev_b32_e32 v7, 24, v0
	s_delay_alu instid0(VALU_DEP_1) | instskip(NEXT) | instid1(VALU_DEP_1)
	v_and_b32_e32 v7, 0x80000000, v7
	v_lshl_add_u32 v5, v5, 23, v7
                                        ; implicit-def: $vgpr7
	s_delay_alu instid0(VALU_DEP_1) | instskip(NEXT) | instid1(VALU_DEP_1)
	v_lshl_or_b32 v5, v6, 21, v5
                                        ; implicit-def: $vgpr6
	v_add_nc_u32_e32 v5, 0x38000000, v5
.LBB6_11714:                            ;   in Loop: Header=BB6_9788 Depth=3
	s_and_not1_saveexec_b32 s72, s13
; %bb.11715:                            ;   in Loop: Header=BB6_9788 Depth=3
	v_cmp_lt_i16_e64 s13, -1, v7
	v_mov_b32_e32 v5, 0x7f800000
	v_cmp_eq_u32_e32 vcc_lo, 0, v6
	s_delay_alu instid0(VALU_DEP_2) | instskip(NEXT) | instid1(VALU_DEP_1)
	v_cndmask_b32_e64 v5, 0xff800000, v5, s13
	v_cndmask_b32_e32 v5, 0x7f800001, v5, vcc_lo
; %bb.11716:                            ;   in Loop: Header=BB6_9788 Depth=3
	s_or_b32 exec_lo, exec_lo, s72
.LBB6_11717:                            ;   in Loop: Header=BB6_9788 Depth=3
	s_delay_alu instid0(SALU_CYCLE_1)
	s_or_b32 exec_lo, exec_lo, s43
.LBB6_11718:                            ;   in Loop: Header=BB6_9788 Depth=3
	s_delay_alu instid0(SALU_CYCLE_1) | instskip(SKIP_3) | instid1(VALU_DEP_1)
	s_or_b32 exec_lo, exec_lo, s42
	s_wait_loadcnt 0x0
	v_and_b32_e32 v6, 0xff, v8
	s_mov_b32 s42, exec_lo
	v_cmpx_ne_u16_e32 0, v6
	s_cbranch_execz .LBB6_11728
; %bb.11719:                            ;   in Loop: Header=BB6_9788 Depth=3
	v_bfe_i32 v7, v8, 0, 8
	v_bfrev_b32_e32 v4, 1
	s_mov_b32 s43, exec_lo
	s_delay_alu instid0(VALU_DEP_2)
	v_cmpx_ne_u16_e32 0xff80, v7
	s_cbranch_execz .LBB6_11727
; %bb.11720:                            ;   in Loop: Header=BB6_9788 Depth=3
	v_and_b32_e32 v4, 0x7c, v8
	v_and_b32_e32 v6, 3, v8
	s_delay_alu instid0(VALU_DEP_2) | instskip(SKIP_1) | instid1(SALU_CYCLE_1)
	v_cmp_ne_u32_e32 vcc_lo, 0x7c, v4
                                        ; implicit-def: $vgpr4
	s_and_saveexec_b32 s13, vcc_lo
	s_xor_b32 s13, exec_lo, s13
	s_cbranch_execz .LBB6_11724
; %bb.11721:                            ;   in Loop: Header=BB6_9788 Depth=3
	v_bfe_u32 v4, v8, 2, 5
	s_mov_b32 s72, exec_lo
	s_delay_alu instid0(VALU_DEP_1)
	v_cmpx_eq_u32_e32 0, v4
; %bb.11722:                            ;   in Loop: Header=BB6_9788 Depth=3
	v_clz_i32_u32_e32 v4, v6
	s_delay_alu instid0(VALU_DEP_1) | instskip(NEXT) | instid1(VALU_DEP_1)
	v_min_u32_e32 v4, 32, v4
	v_subrev_nc_u32_e32 v6, 29, v4
	s_delay_alu instid0(VALU_DEP_1) | instskip(NEXT) | instid1(VALU_DEP_1)
	v_lshlrev_b64_e32 v[6:7], v6, v[8:9]
	v_dual_sub_nc_u32 v4, 30, v4 :: v_dual_bitop2_b32 v6, 3, v6 bitop3:0x40
; %bb.11723:                            ;   in Loop: Header=BB6_9788 Depth=3
	s_or_b32 exec_lo, exec_lo, s72
	v_lshlrev_b32_e32 v7, 24, v8
	s_delay_alu instid0(VALU_DEP_1) | instskip(NEXT) | instid1(VALU_DEP_1)
	v_and_b32_e32 v7, 0x80000000, v7
	v_lshl_add_u32 v4, v4, 23, v7
                                        ; implicit-def: $vgpr7
	s_delay_alu instid0(VALU_DEP_1) | instskip(NEXT) | instid1(VALU_DEP_1)
	v_lshl_or_b32 v4, v6, 21, v4
                                        ; implicit-def: $vgpr6
	v_add_nc_u32_e32 v4, 0x38000000, v4
.LBB6_11724:                            ;   in Loop: Header=BB6_9788 Depth=3
	s_and_not1_saveexec_b32 s72, s13
; %bb.11725:                            ;   in Loop: Header=BB6_9788 Depth=3
	v_cmp_lt_i16_e64 s13, -1, v7
	v_mov_b32_e32 v4, 0x7f800000
	v_cmp_eq_u32_e32 vcc_lo, 0, v6
	s_delay_alu instid0(VALU_DEP_2) | instskip(NEXT) | instid1(VALU_DEP_1)
	v_cndmask_b32_e64 v4, 0xff800000, v4, s13
	v_cndmask_b32_e32 v4, 0x7f800001, v4, vcc_lo
; %bb.11726:                            ;   in Loop: Header=BB6_9788 Depth=3
	s_or_b32 exec_lo, exec_lo, s72
.LBB6_11727:                            ;   in Loop: Header=BB6_9788 Depth=3
	s_delay_alu instid0(SALU_CYCLE_1)
	s_or_b32 exec_lo, exec_lo, s43
.LBB6_11728:                            ;   in Loop: Header=BB6_9788 Depth=3
	s_delay_alu instid0(SALU_CYCLE_1) | instskip(NEXT) | instid1(VALU_DEP_1)
	s_or_b32 exec_lo, exec_lo, s42
	v_mul_f32_e32 v6, v5, v4
	v_dual_mov_b32 v13, v21 :: v_dual_mov_b32 v5, v21
                                        ; implicit-def: $vgpr17
	s_mov_b32 s13, exec_lo
	s_delay_alu instid0(VALU_DEP_2) | instskip(SKIP_2) | instid1(VALU_DEP_3)
	v_and_b32_e32 v12, 0x7f800000, v6
	v_and_b32_e32 v4, 0x7fffff, v6
	v_lshrrev_b32_e32 v7, 24, v6
	v_cmpx_ne_u64_e32 0x7f800000, v[12:13]
	s_xor_b32 s42, exec_lo, s13
	s_cbranch_execz .LBB6_11742
; %bb.11729:                            ;   in Loop: Header=BB6_9788 Depth=3
	v_and_b32_e32 v12, 0x7fffffff, v6
	v_mov_b32_e32 v13, v21
                                        ; implicit-def: $vgpr17
	s_delay_alu instid0(VALU_DEP_1) | instskip(SKIP_2) | instid1(SALU_CYCLE_1)
	v_cmp_gt_u64_e32 vcc_lo, 0x47600001, v[12:13]
	v_and_b32_e32 v12, 0x80, v7
	s_and_saveexec_b32 s13, vcc_lo
	s_xor_b32 s43, exec_lo, s13
	s_cbranch_execz .LBB6_11739
; %bb.11730:                            ;   in Loop: Header=BB6_9788 Depth=3
	v_mov_b32_e32 v17, 0
	s_mov_b32 s72, exec_lo
	v_cmpx_ne_u32_e32 0, v6
	s_cbranch_execz .LBB6_11738
; %bb.11731:                            ;   in Loop: Header=BB6_9788 Depth=3
	v_bfe_u32 v13, v6, 23, 8
	v_or_b32_e32 v7, 0x800000, v4
	s_delay_alu instid0(VALU_DEP_2) | instskip(SKIP_2) | instid1(VALU_DEP_2)
	v_cmp_gt_u32_e64 s13, 0x72, v13
	v_sub_nc_u32_e32 v6, 0x71, v13
	v_cmp_eq_u32_e32 vcc_lo, 0, v13
	v_dual_cndmask_b32 v6, 0, v6, s13 :: v_dual_cndmask_b32 v4, v7, v4, vcc_lo
	s_delay_alu instid0(VALU_DEP_1) | instskip(NEXT) | instid1(VALU_DEP_1)
	v_cndmask_b32_e64 v17, v6, 0x70, vcc_lo
	v_dual_add_nc_u32 v6, 21, v17 :: v_dual_add_nc_u32 v98, 20, v17
	s_delay_alu instid0(VALU_DEP_1) | instskip(NEXT) | instid1(VALU_DEP_2)
	v_lshlrev_b64_e64 v[6:7], v6, -1
	v_lshlrev_b64_e64 v[98:99], v98, 1
	s_delay_alu instid0(VALU_DEP_2) | instskip(SKIP_1) | instid1(VALU_DEP_4)
	v_bfi_b32 v6, v6, 0, v4
	v_lshrrev_b64 v[4:5], v17, v[4:5]
	v_bfi_b32 v7, v7, 0, 0
	s_delay_alu instid0(VALU_DEP_1) | instskip(NEXT) | instid1(VALU_DEP_3)
	v_cmp_eq_u64_e64 s13, v[6:7], v[98:99]
	v_mov_b64_e32 v[6:7], v[4:5]
	s_and_saveexec_b32 s73, s13
; %bb.11732:                            ;   in Loop: Header=BB6_9788 Depth=3
	v_bfe_u32 v6, v4, 21, 1
	v_mov_b32_e32 v7, v21
	s_delay_alu instid0(VALU_DEP_1) | instskip(NEXT) | instid1(VALU_DEP_1)
	v_add_nc_u64_e32 v[6:7], v[4:5], v[6:7]
	v_add_nc_u64_e32 v[6:7], -1, v[6:7]
; %bb.11733:                            ;   in Loop: Header=BB6_9788 Depth=3
	s_or_b32 exec_lo, exec_lo, s73
	v_add_nc_u32_e32 v5, 0xffffff81, v13
	v_lshrrev_b32_e32 v7, 23, v4
	s_mov_b32 s13, exec_lo
	s_delay_alu instid0(VALU_DEP_2) | instskip(NEXT) | instid1(VALU_DEP_1)
	v_cndmask_b32_e64 v5, v5, 0xffffff82, vcc_lo
	v_add3_u32 v13, v17, v5, v7
	v_and_b32_e32 v5, 0x1fffff, v6
                                        ; implicit-def: $vgpr6
	s_delay_alu instid0(VALU_DEP_1) | instskip(SKIP_1) | instid1(VALU_DEP_2)
	v_dual_add_nc_u32 v7, 14, v13 :: v_dual_add_nc_u32 v4, v5, v4
	v_mov_b32_e32 v5, v21
	v_cmpx_ne_u32_e32 0, v7
	s_xor_b32 s13, exec_lo, s13
; %bb.11734:                            ;   in Loop: Header=BB6_9788 Depth=3
	s_delay_alu instid0(VALU_DEP_2) | instskip(SKIP_1) | instid1(VALU_DEP_1)
	v_cmp_lt_u64_e32 vcc_lo, 0xffffff, v[4:5]
	v_add_nc_u32_e32 v6, 15, v13
	v_cndmask_b32_e32 v6, v7, v6, vcc_lo
	v_cndmask_b32_e64 v7, 0, 1, vcc_lo
	s_delay_alu instid0(VALU_DEP_1)
	v_lshrrev_b64 v[4:5], v7, v[4:5]
; %bb.11735:                            ;   in Loop: Header=BB6_9788 Depth=3
	s_and_not1_saveexec_b32 s13, s13
; %bb.11736:                            ;   in Loop: Header=BB6_9788 Depth=3
	s_delay_alu instid0(VALU_DEP_1)
	v_bfe_u32 v6, v4, 23, 1
; %bb.11737:                            ;   in Loop: Header=BB6_9788 Depth=3
	s_or_b32 exec_lo, exec_lo, s13
	s_delay_alu instid0(VALU_DEP_2) | instskip(NEXT) | instid1(VALU_DEP_2)
	v_lshrrev_b64 v[4:5], 21, v[4:5]
	v_cmp_gt_i32_e32 vcc_lo, 32, v6
	v_min_i32_e32 v7, 31, v6
	v_cmp_eq_u32_e64 s13, 0, v6
	s_delay_alu instid0(VALU_DEP_2) | instskip(SKIP_1) | instid1(VALU_DEP_2)
	v_dual_cndmask_b32 v5, 0, v5, vcc_lo :: v_dual_lshlrev_b32 v7, 2, v7
	v_cndmask_b32_e32 v4, 3, v4, vcc_lo
	v_and_b32_e32 v7, 0xfc, v7
	s_delay_alu instid0(VALU_DEP_2) | instskip(NEXT) | instid1(VALU_DEP_2)
	v_cmp_eq_u64_e32 vcc_lo, 0, v[4:5]
	v_and_or_b32 v4, v4, 3, v7
	s_and_b32 s13, s13, vcc_lo
	s_delay_alu instid0(VALU_DEP_1) | instid1(SALU_CYCLE_1)
	v_cndmask_b32_e64 v4, v4, 0, s13
	s_delay_alu instid0(VALU_DEP_1)
	v_or_b32_e32 v17, v4, v12
.LBB6_11738:                            ;   in Loop: Header=BB6_9788 Depth=3
	s_or_b32 exec_lo, exec_lo, s72
                                        ; implicit-def: $vgpr12
.LBB6_11739:                            ;   in Loop: Header=BB6_9788 Depth=3
	s_and_not1_saveexec_b32 s13, s43
; %bb.11740:                            ;   in Loop: Header=BB6_9788 Depth=3
	v_or_b32_e32 v17, 0x7b, v12
; %bb.11741:                            ;   in Loop: Header=BB6_9788 Depth=3
	s_or_b32 exec_lo, exec_lo, s13
                                        ; implicit-def: $vgpr6
                                        ; implicit-def: $vgpr4_vgpr5
                                        ; implicit-def: $vgpr7
.LBB6_11742:                            ;   in Loop: Header=BB6_9788 Depth=3
	s_and_not1_saveexec_b32 s13, s42
	s_cbranch_execz .LBB6_11748
; %bb.11743:                            ;   in Loop: Header=BB6_9788 Depth=3
	s_mov_b32 s42, exec_lo
                                        ; implicit-def: $vgpr17
	v_cmpx_ne_u64_e32 0, v[4:5]
	s_xor_b32 s42, exec_lo, s42
; %bb.11744:                            ;   in Loop: Header=BB6_9788 Depth=3
	v_or_b32_e32 v17, 0x7f, v7
                                        ; implicit-def: $vgpr6
; %bb.11745:                            ;   in Loop: Header=BB6_9788 Depth=3
	s_and_not1_saveexec_b32 s42, s42
; %bb.11746:                            ;   in Loop: Header=BB6_9788 Depth=3
	v_cmp_lt_i32_e32 vcc_lo, -1, v6
	v_mov_b32_e32 v4, 0x7c
	s_delay_alu instid0(VALU_DEP_1)
	v_cndmask_b32_e32 v17, 0xfc, v4, vcc_lo
; %bb.11747:                            ;   in Loop: Header=BB6_9788 Depth=3
	s_or_b32 exec_lo, exec_lo, s42
.LBB6_11748:                            ;   in Loop: Header=BB6_9788 Depth=3
	s_delay_alu instid0(SALU_CYCLE_1) | instskip(SKIP_3) | instid1(VALU_DEP_2)
	s_or_b32 exec_lo, exec_lo, s13
	v_lshrrev_b16 v4, 8, v0
	v_dual_mov_b32 v6, 0 :: v_dual_mov_b32 v7, 0
	s_mov_b32 s42, exec_lo
	v_cmpx_ne_u16_e32 0, v4
	s_cbranch_execz .LBB6_11758
; %bb.11749:                            ;   in Loop: Header=BB6_9788 Depth=3
	v_bfrev_b32_e32 v7, 1
	s_mov_b32 s43, exec_lo
	v_cmpx_ne_u16_e32 0x80, v4
	s_cbranch_execz .LBB6_11757
; %bb.11750:                            ;   in Loop: Header=BB6_9788 Depth=3
	v_and_b32_e32 v12, 0xffff, v4
	s_delay_alu instid0(VALU_DEP_1) | instskip(SKIP_1) | instid1(VALU_DEP_2)
	v_and_b32_e32 v7, 0x7c, v12
	v_and_b32_e32 v5, 3, v12
	v_cmp_ne_u32_e32 vcc_lo, 0x7c, v7
                                        ; implicit-def: $vgpr7
	s_and_saveexec_b32 s13, vcc_lo
	s_delay_alu instid0(SALU_CYCLE_1)
	s_xor_b32 s13, exec_lo, s13
	s_cbranch_execz .LBB6_11754
; %bb.11751:                            ;   in Loop: Header=BB6_9788 Depth=3
	v_bfe_u32 v7, v12, 2, 5
	s_mov_b32 s72, exec_lo
	s_delay_alu instid0(VALU_DEP_1)
	v_cmpx_eq_u32_e32 0, v7
	s_cbranch_execz .LBB6_11753
; %bb.11752:                            ;   in Loop: Header=BB6_9788 Depth=3
	v_clz_i32_u32_e32 v5, v5
	s_delay_alu instid0(VALU_DEP_1) | instskip(SKIP_1) | instid1(VALU_DEP_2)
	v_min_u32_e32 v7, 32, v5
	v_mov_b32_e32 v5, v21
	v_subrev_nc_u32_e32 v12, 29, v7
	v_sub_nc_u32_e32 v7, 30, v7
	s_delay_alu instid0(VALU_DEP_2) | instskip(NEXT) | instid1(VALU_DEP_1)
	v_lshlrev_b64_e32 v[4:5], v12, v[4:5]
	v_and_b32_e32 v5, 3, v4
.LBB6_11753:                            ;   in Loop: Header=BB6_9788 Depth=3
	s_or_b32 exec_lo, exec_lo, s72
	v_lshlrev_b32_e32 v4, 16, v0
	s_delay_alu instid0(VALU_DEP_1) | instskip(NEXT) | instid1(VALU_DEP_1)
	v_and_b32_e32 v4, 0x80000000, v4
	v_lshl_add_u32 v4, v7, 23, v4
	s_delay_alu instid0(VALU_DEP_1) | instskip(NEXT) | instid1(VALU_DEP_1)
	v_lshl_or_b32 v4, v5, 21, v4
                                        ; implicit-def: $vgpr5
	v_add_nc_u32_e32 v7, 0x38000000, v4
.LBB6_11754:                            ;   in Loop: Header=BB6_9788 Depth=3
	s_and_not1_saveexec_b32 s72, s13
; %bb.11755:                            ;   in Loop: Header=BB6_9788 Depth=3
	v_cmp_lt_i16_e64 s13, -1, v0
	v_mov_b32_e32 v4, 0x7f800000
	v_cmp_eq_u32_e32 vcc_lo, 0, v5
	s_delay_alu instid0(VALU_DEP_2) | instskip(NEXT) | instid1(VALU_DEP_1)
	v_cndmask_b32_e64 v4, 0xff800000, v4, s13
	v_cndmask_b32_e32 v7, 0x7f800001, v4, vcc_lo
; %bb.11756:                            ;   in Loop: Header=BB6_9788 Depth=3
	s_or_b32 exec_lo, exec_lo, s72
.LBB6_11757:                            ;   in Loop: Header=BB6_9788 Depth=3
	s_delay_alu instid0(SALU_CYCLE_1)
	s_or_b32 exec_lo, exec_lo, s43
.LBB6_11758:                            ;   in Loop: Header=BB6_9788 Depth=3
	s_delay_alu instid0(SALU_CYCLE_1) | instskip(SKIP_2) | instid1(VALU_DEP_1)
	s_or_b32 exec_lo, exec_lo, s42
	v_lshrrev_b16 v4, 8, v8
	s_mov_b32 s42, exec_lo
	v_cmpx_ne_u16_e32 0, v4
	s_cbranch_execz .LBB6_11768
; %bb.11759:                            ;   in Loop: Header=BB6_9788 Depth=3
	v_bfrev_b32_e32 v6, 1
	s_mov_b32 s43, exec_lo
	v_cmpx_ne_u16_e32 0x80, v4
	s_cbranch_execz .LBB6_11767
; %bb.11760:                            ;   in Loop: Header=BB6_9788 Depth=3
	v_and_b32_e32 v12, 0xffff, v4
	s_delay_alu instid0(VALU_DEP_1) | instskip(SKIP_1) | instid1(VALU_DEP_2)
	v_and_b32_e32 v6, 0x7c, v12
	v_and_b32_e32 v5, 3, v12
	v_cmp_ne_u32_e32 vcc_lo, 0x7c, v6
                                        ; implicit-def: $vgpr6
	s_and_saveexec_b32 s13, vcc_lo
	s_delay_alu instid0(SALU_CYCLE_1)
	s_xor_b32 s13, exec_lo, s13
	s_cbranch_execz .LBB6_11764
; %bb.11761:                            ;   in Loop: Header=BB6_9788 Depth=3
	v_bfe_u32 v6, v12, 2, 5
	s_mov_b32 s72, exec_lo
	s_delay_alu instid0(VALU_DEP_1)
	v_cmpx_eq_u32_e32 0, v6
	s_cbranch_execz .LBB6_11763
; %bb.11762:                            ;   in Loop: Header=BB6_9788 Depth=3
	v_clz_i32_u32_e32 v5, v5
	s_delay_alu instid0(VALU_DEP_1) | instskip(SKIP_1) | instid1(VALU_DEP_2)
	v_min_u32_e32 v6, 32, v5
	v_mov_b32_e32 v5, v21
	v_subrev_nc_u32_e32 v12, 29, v6
	v_sub_nc_u32_e32 v6, 30, v6
	s_delay_alu instid0(VALU_DEP_2) | instskip(NEXT) | instid1(VALU_DEP_1)
	v_lshlrev_b64_e32 v[4:5], v12, v[4:5]
	v_and_b32_e32 v5, 3, v4
.LBB6_11763:                            ;   in Loop: Header=BB6_9788 Depth=3
	s_or_b32 exec_lo, exec_lo, s72
	v_lshlrev_b32_e32 v4, 16, v8
	s_delay_alu instid0(VALU_DEP_1) | instskip(NEXT) | instid1(VALU_DEP_1)
	v_and_b32_e32 v4, 0x80000000, v4
	v_lshl_add_u32 v4, v6, 23, v4
	s_delay_alu instid0(VALU_DEP_1) | instskip(NEXT) | instid1(VALU_DEP_1)
	v_lshl_or_b32 v4, v5, 21, v4
                                        ; implicit-def: $vgpr5
	v_add_nc_u32_e32 v6, 0x38000000, v4
.LBB6_11764:                            ;   in Loop: Header=BB6_9788 Depth=3
	s_and_not1_saveexec_b32 s72, s13
; %bb.11765:                            ;   in Loop: Header=BB6_9788 Depth=3
	v_cmp_lt_i16_e64 s13, -1, v8
	v_mov_b32_e32 v4, 0x7f800000
	v_cmp_eq_u32_e32 vcc_lo, 0, v5
	s_delay_alu instid0(VALU_DEP_2) | instskip(NEXT) | instid1(VALU_DEP_1)
	v_cndmask_b32_e64 v4, 0xff800000, v4, s13
	v_cndmask_b32_e32 v6, 0x7f800001, v4, vcc_lo
; %bb.11766:                            ;   in Loop: Header=BB6_9788 Depth=3
	s_or_b32 exec_lo, exec_lo, s72
.LBB6_11767:                            ;   in Loop: Header=BB6_9788 Depth=3
	s_delay_alu instid0(SALU_CYCLE_1)
	s_or_b32 exec_lo, exec_lo, s43
.LBB6_11768:                            ;   in Loop: Header=BB6_9788 Depth=3
	s_delay_alu instid0(SALU_CYCLE_1) | instskip(NEXT) | instid1(VALU_DEP_1)
	s_or_b32 exec_lo, exec_lo, s42
	v_dual_mul_f32 v6, v7, v6 :: v_dual_mov_b32 v13, v21
	v_mov_b32_e32 v5, v21
                                        ; implicit-def: $vgpr98
	s_mov_b32 s13, exec_lo
	s_delay_alu instid0(VALU_DEP_2) | instskip(SKIP_2) | instid1(VALU_DEP_3)
	v_and_b32_e32 v12, 0x7f800000, v6
	v_and_b32_e32 v4, 0x7fffff, v6
	v_lshrrev_b32_e32 v7, 24, v6
	v_cmpx_ne_u64_e32 0x7f800000, v[12:13]
	s_xor_b32 s42, exec_lo, s13
	s_cbranch_execz .LBB6_11782
; %bb.11769:                            ;   in Loop: Header=BB6_9788 Depth=3
	v_and_b32_e32 v12, 0x7fffffff, v6
	v_mov_b32_e32 v13, v21
                                        ; implicit-def: $vgpr98
	s_delay_alu instid0(VALU_DEP_1) | instskip(SKIP_2) | instid1(SALU_CYCLE_1)
	v_cmp_gt_u64_e32 vcc_lo, 0x47600001, v[12:13]
	v_and_b32_e32 v12, 0x80, v7
	s_and_saveexec_b32 s13, vcc_lo
	s_xor_b32 s43, exec_lo, s13
	s_cbranch_execz .LBB6_11779
; %bb.11770:                            ;   in Loop: Header=BB6_9788 Depth=3
	v_mov_b32_e32 v98, 0
	s_mov_b32 s72, exec_lo
	v_cmpx_ne_u32_e32 0, v6
	s_cbranch_execz .LBB6_11778
; %bb.11771:                            ;   in Loop: Header=BB6_9788 Depth=3
	v_bfe_u32 v13, v6, 23, 8
	v_or_b32_e32 v7, 0x800000, v4
	s_delay_alu instid0(VALU_DEP_2) | instskip(SKIP_2) | instid1(VALU_DEP_2)
	v_cmp_gt_u32_e64 s13, 0x72, v13
	v_sub_nc_u32_e32 v6, 0x71, v13
	v_cmp_eq_u32_e32 vcc_lo, 0, v13
	v_dual_cndmask_b32 v6, 0, v6, s13 :: v_dual_cndmask_b32 v4, v7, v4, vcc_lo
	s_delay_alu instid0(VALU_DEP_1) | instskip(NEXT) | instid1(VALU_DEP_1)
	v_cndmask_b32_e64 v98, v6, 0x70, vcc_lo
	v_dual_add_nc_u32 v6, 21, v98 :: v_dual_add_nc_u32 v99, 20, v98
	s_delay_alu instid0(VALU_DEP_1) | instskip(NEXT) | instid1(VALU_DEP_2)
	v_lshlrev_b64_e64 v[6:7], v6, -1
	v_lshlrev_b64_e64 v[100:101], v99, 1
	s_delay_alu instid0(VALU_DEP_2) | instskip(SKIP_1) | instid1(VALU_DEP_4)
	v_bfi_b32 v6, v6, 0, v4
	v_lshrrev_b64 v[4:5], v98, v[4:5]
	v_bfi_b32 v7, v7, 0, 0
	s_delay_alu instid0(VALU_DEP_1) | instskip(NEXT) | instid1(VALU_DEP_3)
	v_cmp_eq_u64_e64 s13, v[6:7], v[100:101]
	v_mov_b64_e32 v[6:7], v[4:5]
	s_and_saveexec_b32 s73, s13
; %bb.11772:                            ;   in Loop: Header=BB6_9788 Depth=3
	v_bfe_u32 v6, v4, 21, 1
	v_mov_b32_e32 v7, v21
	s_delay_alu instid0(VALU_DEP_1) | instskip(NEXT) | instid1(VALU_DEP_1)
	v_add_nc_u64_e32 v[6:7], v[4:5], v[6:7]
	v_add_nc_u64_e32 v[6:7], -1, v[6:7]
; %bb.11773:                            ;   in Loop: Header=BB6_9788 Depth=3
	s_or_b32 exec_lo, exec_lo, s73
	v_add_nc_u32_e32 v5, 0xffffff81, v13
	v_lshrrev_b32_e32 v7, 23, v4
	s_mov_b32 s13, exec_lo
	s_delay_alu instid0(VALU_DEP_2) | instskip(NEXT) | instid1(VALU_DEP_1)
	v_cndmask_b32_e64 v5, v5, 0xffffff82, vcc_lo
	v_add3_u32 v13, v98, v5, v7
	v_and_b32_e32 v5, 0x1fffff, v6
                                        ; implicit-def: $vgpr6
	s_delay_alu instid0(VALU_DEP_1) | instskip(SKIP_1) | instid1(VALU_DEP_2)
	v_dual_add_nc_u32 v7, 14, v13 :: v_dual_add_nc_u32 v4, v5, v4
	v_mov_b32_e32 v5, v21
	v_cmpx_ne_u32_e32 0, v7
	s_xor_b32 s13, exec_lo, s13
; %bb.11774:                            ;   in Loop: Header=BB6_9788 Depth=3
	s_delay_alu instid0(VALU_DEP_2) | instskip(SKIP_1) | instid1(VALU_DEP_1)
	v_cmp_lt_u64_e32 vcc_lo, 0xffffff, v[4:5]
	v_add_nc_u32_e32 v6, 15, v13
	v_cndmask_b32_e32 v6, v7, v6, vcc_lo
	v_cndmask_b32_e64 v7, 0, 1, vcc_lo
	s_delay_alu instid0(VALU_DEP_1)
	v_lshrrev_b64 v[4:5], v7, v[4:5]
; %bb.11775:                            ;   in Loop: Header=BB6_9788 Depth=3
	s_and_not1_saveexec_b32 s13, s13
; %bb.11776:                            ;   in Loop: Header=BB6_9788 Depth=3
	s_delay_alu instid0(VALU_DEP_1)
	v_bfe_u32 v6, v4, 23, 1
; %bb.11777:                            ;   in Loop: Header=BB6_9788 Depth=3
	s_or_b32 exec_lo, exec_lo, s13
	s_delay_alu instid0(VALU_DEP_2) | instskip(NEXT) | instid1(VALU_DEP_2)
	v_lshrrev_b64 v[4:5], 21, v[4:5]
	v_cmp_gt_i32_e32 vcc_lo, 32, v6
	v_min_i32_e32 v7, 31, v6
	v_cmp_eq_u32_e64 s13, 0, v6
	s_delay_alu instid0(VALU_DEP_2) | instskip(SKIP_1) | instid1(VALU_DEP_2)
	v_dual_cndmask_b32 v5, 0, v5, vcc_lo :: v_dual_lshlrev_b32 v7, 2, v7
	v_cndmask_b32_e32 v4, 3, v4, vcc_lo
	v_and_b32_e32 v7, 0xfc, v7
	s_delay_alu instid0(VALU_DEP_2) | instskip(NEXT) | instid1(VALU_DEP_2)
	v_cmp_eq_u64_e32 vcc_lo, 0, v[4:5]
	v_and_or_b32 v4, v4, 3, v7
	s_and_b32 s13, s13, vcc_lo
	s_delay_alu instid0(VALU_DEP_1) | instid1(SALU_CYCLE_1)
	v_cndmask_b32_e64 v4, v4, 0, s13
	s_delay_alu instid0(VALU_DEP_1)
	v_or_b32_e32 v98, v4, v12
.LBB6_11778:                            ;   in Loop: Header=BB6_9788 Depth=3
	s_or_b32 exec_lo, exec_lo, s72
                                        ; implicit-def: $vgpr12
.LBB6_11779:                            ;   in Loop: Header=BB6_9788 Depth=3
	s_and_not1_saveexec_b32 s13, s43
; %bb.11780:                            ;   in Loop: Header=BB6_9788 Depth=3
	v_or_b32_e32 v98, 0x7b, v12
; %bb.11781:                            ;   in Loop: Header=BB6_9788 Depth=3
	s_or_b32 exec_lo, exec_lo, s13
                                        ; implicit-def: $vgpr6
                                        ; implicit-def: $vgpr4_vgpr5
                                        ; implicit-def: $vgpr7
.LBB6_11782:                            ;   in Loop: Header=BB6_9788 Depth=3
	s_and_not1_saveexec_b32 s13, s42
	s_cbranch_execz .LBB6_11788
; %bb.11783:                            ;   in Loop: Header=BB6_9788 Depth=3
	s_mov_b32 s42, exec_lo
                                        ; implicit-def: $vgpr98
	v_cmpx_ne_u64_e32 0, v[4:5]
	s_xor_b32 s42, exec_lo, s42
; %bb.11784:                            ;   in Loop: Header=BB6_9788 Depth=3
	v_or_b32_e32 v98, 0x7f, v7
                                        ; implicit-def: $vgpr6
; %bb.11785:                            ;   in Loop: Header=BB6_9788 Depth=3
	s_and_not1_saveexec_b32 s42, s42
; %bb.11786:                            ;   in Loop: Header=BB6_9788 Depth=3
	v_cmp_lt_i32_e32 vcc_lo, -1, v6
	v_mov_b32_e32 v4, 0x7c
	s_delay_alu instid0(VALU_DEP_1)
	v_cndmask_b32_e32 v98, 0xfc, v4, vcc_lo
; %bb.11787:                            ;   in Loop: Header=BB6_9788 Depth=3
	s_or_b32 exec_lo, exec_lo, s42
.LBB6_11788:                            ;   in Loop: Header=BB6_9788 Depth=3
	s_delay_alu instid0(SALU_CYCLE_1) | instskip(SKIP_3) | instid1(VALU_DEP_2)
	s_or_b32 exec_lo, exec_lo, s13
	v_dual_mov_b32 v5, 0 :: v_dual_lshrrev_b32 v4, 16, v0
	v_mov_b32_e32 v6, 0
	s_mov_b32 s42, exec_lo
	v_and_b32_e32 v7, 0xff, v4
	s_delay_alu instid0(VALU_DEP_1)
	v_cmpx_ne_u16_e32 0, v7
	s_cbranch_execz .LBB6_11798
; %bb.11789:                            ;   in Loop: Header=BB6_9788 Depth=3
	v_bfrev_b32_e32 v6, 1
	s_mov_b32 s43, exec_lo
	v_cmpx_ne_u16_e32 0x80, v7
	s_cbranch_execz .LBB6_11797
; %bb.11790:                            ;   in Loop: Header=BB6_9788 Depth=3
	v_and_b32_e32 v6, 0x7c0000, v0
	v_bfe_u32 v7, v0, 16, 2
	s_delay_alu instid0(VALU_DEP_2) | instskip(SKIP_1) | instid1(SALU_CYCLE_1)
	v_cmp_ne_u32_e32 vcc_lo, 0x7c0000, v6
                                        ; implicit-def: $vgpr6
	s_and_saveexec_b32 s13, vcc_lo
	s_xor_b32 s13, exec_lo, s13
	s_cbranch_execz .LBB6_11794
; %bb.11791:                            ;   in Loop: Header=BB6_9788 Depth=3
	v_bfe_u32 v6, v0, 18, 5
	s_mov_b32 s72, exec_lo
	s_delay_alu instid0(VALU_DEP_1)
	v_cmpx_eq_u32_e32 0, v6
; %bb.11792:                            ;   in Loop: Header=BB6_9788 Depth=3
	v_clz_i32_u32_e32 v6, v7
	s_delay_alu instid0(VALU_DEP_1) | instskip(NEXT) | instid1(VALU_DEP_1)
	v_min_u32_e32 v6, 32, v6
	v_subrev_nc_u32_e32 v7, 29, v6
	s_delay_alu instid0(VALU_DEP_1) | instskip(NEXT) | instid1(VALU_DEP_1)
	v_lshlrev_b64_e32 v[12:13], v7, v[4:5]
	v_dual_sub_nc_u32 v6, 30, v6 :: v_dual_bitop2_b32 v7, 3, v12 bitop3:0x40
; %bb.11793:                            ;   in Loop: Header=BB6_9788 Depth=3
	s_or_b32 exec_lo, exec_lo, s72
	v_lshlrev_b32_e32 v4, 24, v4
	s_delay_alu instid0(VALU_DEP_1) | instskip(NEXT) | instid1(VALU_DEP_1)
	v_and_b32_e32 v4, 0x80000000, v4
	v_lshl_add_u32 v4, v6, 23, v4
	s_delay_alu instid0(VALU_DEP_1) | instskip(NEXT) | instid1(VALU_DEP_1)
	v_lshl_or_b32 v4, v7, 21, v4
                                        ; implicit-def: $vgpr7
	v_add_nc_u32_e32 v6, 0x38000000, v4
                                        ; implicit-def: $vgpr4
.LBB6_11794:                            ;   in Loop: Header=BB6_9788 Depth=3
	s_and_not1_saveexec_b32 s72, s13
; %bb.11795:                            ;   in Loop: Header=BB6_9788 Depth=3
	v_bfe_i32 v4, v4, 0, 8
	v_cmp_eq_u32_e32 vcc_lo, 0, v7
	s_delay_alu instid0(VALU_DEP_2) | instskip(SKIP_1) | instid1(VALU_DEP_1)
	v_cmp_lt_i16_e64 s13, -1, v4
	v_mov_b32_e32 v4, 0x7f800000
	v_cndmask_b32_e64 v4, 0xff800000, v4, s13
	s_delay_alu instid0(VALU_DEP_1)
	v_cndmask_b32_e32 v6, 0x7f800001, v4, vcc_lo
; %bb.11796:                            ;   in Loop: Header=BB6_9788 Depth=3
	s_or_b32 exec_lo, exec_lo, s72
.LBB6_11797:                            ;   in Loop: Header=BB6_9788 Depth=3
	s_delay_alu instid0(SALU_CYCLE_1)
	s_or_b32 exec_lo, exec_lo, s43
.LBB6_11798:                            ;   in Loop: Header=BB6_9788 Depth=3
	s_delay_alu instid0(SALU_CYCLE_1) | instskip(SKIP_2) | instid1(VALU_DEP_1)
	s_or_b32 exec_lo, exec_lo, s42
	v_lshrrev_b32_e32 v4, 16, v8
	s_mov_b32 s42, exec_lo
	v_and_b32_e32 v7, 0xff, v4
	s_delay_alu instid0(VALU_DEP_1)
	v_cmpx_ne_u16_e32 0, v7
	s_cbranch_execz .LBB6_11808
; %bb.11799:                            ;   in Loop: Header=BB6_9788 Depth=3
	v_bfrev_b32_e32 v5, 1
	s_mov_b32 s43, exec_lo
	v_cmpx_ne_u16_e32 0x80, v7
	s_cbranch_execz .LBB6_11807
; %bb.11800:                            ;   in Loop: Header=BB6_9788 Depth=3
	v_and_b32_e32 v5, 0x7c0000, v8
	v_bfe_u32 v7, v8, 16, 2
	s_delay_alu instid0(VALU_DEP_2) | instskip(SKIP_1) | instid1(SALU_CYCLE_1)
	v_cmp_ne_u32_e32 vcc_lo, 0x7c0000, v5
                                        ; implicit-def: $vgpr5
	s_and_saveexec_b32 s13, vcc_lo
	s_xor_b32 s13, exec_lo, s13
	s_cbranch_execz .LBB6_11804
; %bb.11801:                            ;   in Loop: Header=BB6_9788 Depth=3
	v_bfe_u32 v5, v8, 18, 5
	s_mov_b32 s72, exec_lo
	s_delay_alu instid0(VALU_DEP_1)
	v_cmpx_eq_u32_e32 0, v5
; %bb.11802:                            ;   in Loop: Header=BB6_9788 Depth=3
	v_clz_i32_u32_e32 v5, v7
	s_delay_alu instid0(VALU_DEP_1) | instskip(NEXT) | instid1(VALU_DEP_1)
	v_min_u32_e32 v5, 32, v5
	v_subrev_nc_u32_e32 v7, 29, v5
	s_delay_alu instid0(VALU_DEP_1) | instskip(NEXT) | instid1(VALU_DEP_1)
	v_lshlrev_b64_e32 v[12:13], v7, v[4:5]
	v_dual_sub_nc_u32 v5, 30, v5 :: v_dual_bitop2_b32 v7, 3, v12 bitop3:0x40
; %bb.11803:                            ;   in Loop: Header=BB6_9788 Depth=3
	s_or_b32 exec_lo, exec_lo, s72
	v_lshlrev_b32_e32 v4, 24, v4
	s_delay_alu instid0(VALU_DEP_1) | instskip(NEXT) | instid1(VALU_DEP_1)
	v_and_b32_e32 v4, 0x80000000, v4
	v_lshl_add_u32 v4, v5, 23, v4
	s_delay_alu instid0(VALU_DEP_1) | instskip(NEXT) | instid1(VALU_DEP_1)
	v_lshl_or_b32 v4, v7, 21, v4
                                        ; implicit-def: $vgpr7
	v_add_nc_u32_e32 v5, 0x38000000, v4
                                        ; implicit-def: $vgpr4
.LBB6_11804:                            ;   in Loop: Header=BB6_9788 Depth=3
	s_and_not1_saveexec_b32 s72, s13
; %bb.11805:                            ;   in Loop: Header=BB6_9788 Depth=3
	v_bfe_i32 v4, v4, 0, 8
	v_cmp_eq_u32_e32 vcc_lo, 0, v7
	s_delay_alu instid0(VALU_DEP_2) | instskip(SKIP_1) | instid1(VALU_DEP_1)
	v_cmp_lt_i16_e64 s13, -1, v4
	v_mov_b32_e32 v4, 0x7f800000
	v_cndmask_b32_e64 v4, 0xff800000, v4, s13
	s_delay_alu instid0(VALU_DEP_1)
	v_cndmask_b32_e32 v5, 0x7f800001, v4, vcc_lo
; %bb.11806:                            ;   in Loop: Header=BB6_9788 Depth=3
	s_or_b32 exec_lo, exec_lo, s72
.LBB6_11807:                            ;   in Loop: Header=BB6_9788 Depth=3
	s_delay_alu instid0(SALU_CYCLE_1)
	s_or_b32 exec_lo, exec_lo, s43
.LBB6_11808:                            ;   in Loop: Header=BB6_9788 Depth=3
	s_delay_alu instid0(SALU_CYCLE_1) | instskip(NEXT) | instid1(VALU_DEP_1)
	s_or_b32 exec_lo, exec_lo, s42
	v_dual_mul_f32 v6, v6, v5 :: v_dual_mov_b32 v13, v21
	v_mov_b32_e32 v5, v21
                                        ; implicit-def: $vgpr99
	s_mov_b32 s13, exec_lo
	s_delay_alu instid0(VALU_DEP_2) | instskip(SKIP_2) | instid1(VALU_DEP_3)
	v_and_b32_e32 v12, 0x7f800000, v6
	v_and_b32_e32 v4, 0x7fffff, v6
	v_lshrrev_b32_e32 v7, 24, v6
	v_cmpx_ne_u64_e32 0x7f800000, v[12:13]
	s_xor_b32 s42, exec_lo, s13
	s_cbranch_execz .LBB6_11822
; %bb.11809:                            ;   in Loop: Header=BB6_9788 Depth=3
	v_and_b32_e32 v12, 0x7fffffff, v6
	v_mov_b32_e32 v13, v21
                                        ; implicit-def: $vgpr99
	s_delay_alu instid0(VALU_DEP_1) | instskip(SKIP_2) | instid1(SALU_CYCLE_1)
	v_cmp_gt_u64_e32 vcc_lo, 0x47600001, v[12:13]
	v_and_b32_e32 v12, 0x80, v7
	s_and_saveexec_b32 s13, vcc_lo
	s_xor_b32 s43, exec_lo, s13
	s_cbranch_execz .LBB6_11819
; %bb.11810:                            ;   in Loop: Header=BB6_9788 Depth=3
	v_mov_b32_e32 v99, 0
	s_mov_b32 s72, exec_lo
	v_cmpx_ne_u32_e32 0, v6
	s_cbranch_execz .LBB6_11818
; %bb.11811:                            ;   in Loop: Header=BB6_9788 Depth=3
	v_bfe_u32 v13, v6, 23, 8
	v_or_b32_e32 v7, 0x800000, v4
	s_delay_alu instid0(VALU_DEP_2) | instskip(SKIP_2) | instid1(VALU_DEP_2)
	v_cmp_gt_u32_e64 s13, 0x72, v13
	v_sub_nc_u32_e32 v6, 0x71, v13
	v_cmp_eq_u32_e32 vcc_lo, 0, v13
	v_dual_cndmask_b32 v6, 0, v6, s13 :: v_dual_cndmask_b32 v4, v7, v4, vcc_lo
	s_delay_alu instid0(VALU_DEP_1) | instskip(NEXT) | instid1(VALU_DEP_1)
	v_cndmask_b32_e64 v99, v6, 0x70, vcc_lo
	v_dual_add_nc_u32 v6, 21, v99 :: v_dual_add_nc_u32 v100, 20, v99
	s_delay_alu instid0(VALU_DEP_1) | instskip(NEXT) | instid1(VALU_DEP_2)
	v_lshlrev_b64_e64 v[6:7], v6, -1
	v_lshlrev_b64_e64 v[100:101], v100, 1
	s_delay_alu instid0(VALU_DEP_2) | instskip(SKIP_1) | instid1(VALU_DEP_4)
	v_bfi_b32 v6, v6, 0, v4
	v_lshrrev_b64 v[4:5], v99, v[4:5]
	v_bfi_b32 v7, v7, 0, 0
	s_delay_alu instid0(VALU_DEP_1) | instskip(NEXT) | instid1(VALU_DEP_3)
	v_cmp_eq_u64_e64 s13, v[6:7], v[100:101]
	v_mov_b64_e32 v[6:7], v[4:5]
	s_and_saveexec_b32 s73, s13
; %bb.11812:                            ;   in Loop: Header=BB6_9788 Depth=3
	v_bfe_u32 v6, v4, 21, 1
	v_mov_b32_e32 v7, v21
	s_delay_alu instid0(VALU_DEP_1) | instskip(NEXT) | instid1(VALU_DEP_1)
	v_add_nc_u64_e32 v[6:7], v[4:5], v[6:7]
	v_add_nc_u64_e32 v[6:7], -1, v[6:7]
; %bb.11813:                            ;   in Loop: Header=BB6_9788 Depth=3
	s_or_b32 exec_lo, exec_lo, s73
	v_add_nc_u32_e32 v5, 0xffffff81, v13
	v_lshrrev_b32_e32 v7, 23, v4
	s_mov_b32 s13, exec_lo
	s_delay_alu instid0(VALU_DEP_2) | instskip(NEXT) | instid1(VALU_DEP_1)
	v_cndmask_b32_e64 v5, v5, 0xffffff82, vcc_lo
	v_add3_u32 v13, v99, v5, v7
	v_and_b32_e32 v5, 0x1fffff, v6
                                        ; implicit-def: $vgpr6
	s_delay_alu instid0(VALU_DEP_1) | instskip(SKIP_1) | instid1(VALU_DEP_2)
	v_dual_add_nc_u32 v7, 14, v13 :: v_dual_add_nc_u32 v4, v5, v4
	v_mov_b32_e32 v5, v21
	v_cmpx_ne_u32_e32 0, v7
	s_xor_b32 s13, exec_lo, s13
; %bb.11814:                            ;   in Loop: Header=BB6_9788 Depth=3
	s_delay_alu instid0(VALU_DEP_2) | instskip(SKIP_1) | instid1(VALU_DEP_1)
	v_cmp_lt_u64_e32 vcc_lo, 0xffffff, v[4:5]
	v_add_nc_u32_e32 v6, 15, v13
	v_cndmask_b32_e32 v6, v7, v6, vcc_lo
	v_cndmask_b32_e64 v7, 0, 1, vcc_lo
	s_delay_alu instid0(VALU_DEP_1)
	v_lshrrev_b64 v[4:5], v7, v[4:5]
; %bb.11815:                            ;   in Loop: Header=BB6_9788 Depth=3
	s_and_not1_saveexec_b32 s13, s13
; %bb.11816:                            ;   in Loop: Header=BB6_9788 Depth=3
	s_delay_alu instid0(VALU_DEP_1)
	v_bfe_u32 v6, v4, 23, 1
; %bb.11817:                            ;   in Loop: Header=BB6_9788 Depth=3
	s_or_b32 exec_lo, exec_lo, s13
	s_delay_alu instid0(VALU_DEP_2) | instskip(NEXT) | instid1(VALU_DEP_2)
	v_lshrrev_b64 v[4:5], 21, v[4:5]
	v_cmp_gt_i32_e32 vcc_lo, 32, v6
	v_min_i32_e32 v7, 31, v6
	v_cmp_eq_u32_e64 s13, 0, v6
	s_delay_alu instid0(VALU_DEP_2) | instskip(SKIP_1) | instid1(VALU_DEP_2)
	v_dual_cndmask_b32 v5, 0, v5, vcc_lo :: v_dual_lshlrev_b32 v7, 2, v7
	v_cndmask_b32_e32 v4, 3, v4, vcc_lo
	v_and_b32_e32 v7, 0xfc, v7
	s_delay_alu instid0(VALU_DEP_2) | instskip(NEXT) | instid1(VALU_DEP_2)
	v_cmp_eq_u64_e32 vcc_lo, 0, v[4:5]
	v_and_or_b32 v4, v4, 3, v7
	s_and_b32 s13, s13, vcc_lo
	s_delay_alu instid0(VALU_DEP_1) | instid1(SALU_CYCLE_1)
	v_cndmask_b32_e64 v4, v4, 0, s13
	s_delay_alu instid0(VALU_DEP_1)
	v_or_b32_e32 v99, v4, v12
.LBB6_11818:                            ;   in Loop: Header=BB6_9788 Depth=3
	s_or_b32 exec_lo, exec_lo, s72
                                        ; implicit-def: $vgpr12
.LBB6_11819:                            ;   in Loop: Header=BB6_9788 Depth=3
	s_and_not1_saveexec_b32 s13, s43
; %bb.11820:                            ;   in Loop: Header=BB6_9788 Depth=3
	v_or_b32_e32 v99, 0x7b, v12
; %bb.11821:                            ;   in Loop: Header=BB6_9788 Depth=3
	s_or_b32 exec_lo, exec_lo, s13
                                        ; implicit-def: $vgpr6
                                        ; implicit-def: $vgpr4_vgpr5
                                        ; implicit-def: $vgpr7
.LBB6_11822:                            ;   in Loop: Header=BB6_9788 Depth=3
	s_and_not1_saveexec_b32 s13, s42
	s_cbranch_execz .LBB6_11828
; %bb.11823:                            ;   in Loop: Header=BB6_9788 Depth=3
	s_mov_b32 s42, exec_lo
                                        ; implicit-def: $vgpr99
	v_cmpx_ne_u64_e32 0, v[4:5]
	s_xor_b32 s42, exec_lo, s42
; %bb.11824:                            ;   in Loop: Header=BB6_9788 Depth=3
	v_or_b32_e32 v99, 0x7f, v7
                                        ; implicit-def: $vgpr6
; %bb.11825:                            ;   in Loop: Header=BB6_9788 Depth=3
	s_and_not1_saveexec_b32 s42, s42
; %bb.11826:                            ;   in Loop: Header=BB6_9788 Depth=3
	v_cmp_lt_i32_e32 vcc_lo, -1, v6
	v_mov_b32_e32 v4, 0x7c
	s_delay_alu instid0(VALU_DEP_1)
	v_cndmask_b32_e32 v99, 0xfc, v4, vcc_lo
; %bb.11827:                            ;   in Loop: Header=BB6_9788 Depth=3
	s_or_b32 exec_lo, exec_lo, s42
.LBB6_11828:                            ;   in Loop: Header=BB6_9788 Depth=3
	s_delay_alu instid0(SALU_CYCLE_1)
	s_or_b32 exec_lo, exec_lo, s13
	v_dual_mov_b32 v5, 0 :: v_dual_mov_b32 v6, 0
	s_mov_b32 s42, exec_lo
	v_cmpx_lt_u32_e32 0xffffff, v0
	s_cbranch_execz .LBB6_11838
; %bb.11829:                            ;   in Loop: Header=BB6_9788 Depth=3
	v_lshrrev_b32_e32 v4, 24, v0
	v_bfrev_b32_e32 v6, 1
	s_mov_b32 s43, exec_lo
	s_delay_alu instid0(VALU_DEP_2)
	v_cmpx_ne_u32_e32 0x80, v4
	s_cbranch_execz .LBB6_11837
; %bb.11830:                            ;   in Loop: Header=BB6_9788 Depth=3
	v_and_b32_e32 v6, 0x7c000000, v0
	v_bfe_u32 v7, v0, 24, 2
	s_delay_alu instid0(VALU_DEP_2) | instskip(SKIP_1) | instid1(SALU_CYCLE_1)
	v_cmp_ne_u32_e32 vcc_lo, 0x7c000000, v6
                                        ; implicit-def: $vgpr6
	s_and_saveexec_b32 s13, vcc_lo
	s_xor_b32 s13, exec_lo, s13
	s_cbranch_execz .LBB6_11834
; %bb.11831:                            ;   in Loop: Header=BB6_9788 Depth=3
	v_bfe_u32 v6, v0, 26, 5
	s_mov_b32 s72, exec_lo
	s_delay_alu instid0(VALU_DEP_1)
	v_cmpx_eq_u32_e32 0, v6
; %bb.11832:                            ;   in Loop: Header=BB6_9788 Depth=3
	v_clz_i32_u32_e32 v6, v7
	s_delay_alu instid0(VALU_DEP_1) | instskip(NEXT) | instid1(VALU_DEP_1)
	v_min_u32_e32 v6, 32, v6
	v_subrev_nc_u32_e32 v7, 29, v6
	s_delay_alu instid0(VALU_DEP_1) | instskip(NEXT) | instid1(VALU_DEP_1)
	v_lshlrev_b64_e32 v[12:13], v7, v[4:5]
	v_dual_sub_nc_u32 v6, 30, v6 :: v_dual_bitop2_b32 v7, 3, v12 bitop3:0x40
; %bb.11833:                            ;   in Loop: Header=BB6_9788 Depth=3
	s_or_b32 exec_lo, exec_lo, s72
	v_and_b32_e32 v4, 0x80000000, v0
	s_delay_alu instid0(VALU_DEP_1) | instskip(NEXT) | instid1(VALU_DEP_1)
	v_lshl_add_u32 v4, v6, 23, v4
	v_lshl_or_b32 v4, v7, 21, v4
                                        ; implicit-def: $vgpr7
	s_delay_alu instid0(VALU_DEP_1)
	v_add_nc_u32_e32 v6, 0x38000000, v4
.LBB6_11834:                            ;   in Loop: Header=BB6_9788 Depth=3
	s_and_not1_saveexec_b32 s72, s13
; %bb.11835:                            ;   in Loop: Header=BB6_9788 Depth=3
	v_cmp_lt_i32_e64 s13, -1, v0
	v_mov_b32_e32 v4, 0x7f800000
	v_cmp_eq_u32_e32 vcc_lo, 0, v7
	s_delay_alu instid0(VALU_DEP_2) | instskip(NEXT) | instid1(VALU_DEP_1)
	v_cndmask_b32_e64 v4, 0xff800000, v4, s13
	v_cndmask_b32_e32 v6, 0x7f800001, v4, vcc_lo
; %bb.11836:                            ;   in Loop: Header=BB6_9788 Depth=3
	s_or_b32 exec_lo, exec_lo, s72
.LBB6_11837:                            ;   in Loop: Header=BB6_9788 Depth=3
	s_delay_alu instid0(SALU_CYCLE_1)
	s_or_b32 exec_lo, exec_lo, s43
.LBB6_11838:                            ;   in Loop: Header=BB6_9788 Depth=3
	s_delay_alu instid0(SALU_CYCLE_1) | instskip(NEXT) | instid1(SALU_CYCLE_1)
	s_or_b32 exec_lo, exec_lo, s42
	s_mov_b32 s42, exec_lo
	v_cmpx_lt_u32_e32 0xffffff, v8
	s_cbranch_execz .LBB6_11848
; %bb.11839:                            ;   in Loop: Header=BB6_9788 Depth=3
	v_lshrrev_b32_e32 v4, 24, v8
	v_bfrev_b32_e32 v5, 1
	s_mov_b32 s43, exec_lo
	s_delay_alu instid0(VALU_DEP_2)
	v_cmpx_ne_u32_e32 0x80, v4
	s_cbranch_execz .LBB6_11847
; %bb.11840:                            ;   in Loop: Header=BB6_9788 Depth=3
	v_and_b32_e32 v5, 0x7c000000, v8
	v_bfe_u32 v7, v8, 24, 2
	s_delay_alu instid0(VALU_DEP_2) | instskip(SKIP_1) | instid1(SALU_CYCLE_1)
	v_cmp_ne_u32_e32 vcc_lo, 0x7c000000, v5
                                        ; implicit-def: $vgpr5
	s_and_saveexec_b32 s13, vcc_lo
	s_xor_b32 s13, exec_lo, s13
	s_cbranch_execz .LBB6_11844
; %bb.11841:                            ;   in Loop: Header=BB6_9788 Depth=3
	v_bfe_u32 v5, v8, 26, 5
	s_mov_b32 s72, exec_lo
	s_delay_alu instid0(VALU_DEP_1)
	v_cmpx_eq_u32_e32 0, v5
; %bb.11842:                            ;   in Loop: Header=BB6_9788 Depth=3
	v_clz_i32_u32_e32 v5, v7
	s_delay_alu instid0(VALU_DEP_1) | instskip(NEXT) | instid1(VALU_DEP_1)
	v_min_u32_e32 v7, 32, v5
	v_subrev_nc_u32_e32 v5, 29, v7
	s_delay_alu instid0(VALU_DEP_1) | instskip(NEXT) | instid1(VALU_DEP_1)
	v_lshlrev_b64_e32 v[4:5], v5, v[4:5]
	v_dual_sub_nc_u32 v5, 30, v7 :: v_dual_bitop2_b32 v7, 3, v4 bitop3:0x40
; %bb.11843:                            ;   in Loop: Header=BB6_9788 Depth=3
	s_or_b32 exec_lo, exec_lo, s72
	v_and_b32_e32 v4, 0x80000000, v8
	s_delay_alu instid0(VALU_DEP_1) | instskip(NEXT) | instid1(VALU_DEP_1)
	v_lshl_add_u32 v4, v5, 23, v4
	v_lshl_or_b32 v4, v7, 21, v4
                                        ; implicit-def: $vgpr7
	s_delay_alu instid0(VALU_DEP_1)
	v_add_nc_u32_e32 v5, 0x38000000, v4
.LBB6_11844:                            ;   in Loop: Header=BB6_9788 Depth=3
	s_and_not1_saveexec_b32 s72, s13
; %bb.11845:                            ;   in Loop: Header=BB6_9788 Depth=3
	v_cmp_lt_i32_e64 s13, -1, v8
	v_mov_b32_e32 v4, 0x7f800000
	v_cmp_eq_u32_e32 vcc_lo, 0, v7
	s_delay_alu instid0(VALU_DEP_2) | instskip(NEXT) | instid1(VALU_DEP_1)
	v_cndmask_b32_e64 v4, 0xff800000, v4, s13
	v_cndmask_b32_e32 v5, 0x7f800001, v4, vcc_lo
; %bb.11846:                            ;   in Loop: Header=BB6_9788 Depth=3
	s_or_b32 exec_lo, exec_lo, s72
.LBB6_11847:                            ;   in Loop: Header=BB6_9788 Depth=3
	s_delay_alu instid0(SALU_CYCLE_1)
	s_or_b32 exec_lo, exec_lo, s43
.LBB6_11848:                            ;   in Loop: Header=BB6_9788 Depth=3
	s_delay_alu instid0(SALU_CYCLE_1) | instskip(NEXT) | instid1(VALU_DEP_1)
	s_or_b32 exec_lo, exec_lo, s42
	v_dual_mul_f32 v6, v6, v5 :: v_dual_mov_b32 v13, v21
	v_mov_b32_e32 v5, v21
                                        ; implicit-def: $vgpr100
	s_mov_b32 s13, exec_lo
	s_delay_alu instid0(VALU_DEP_2) | instskip(SKIP_2) | instid1(VALU_DEP_3)
	v_and_b32_e32 v12, 0x7f800000, v6
	v_and_b32_e32 v4, 0x7fffff, v6
	v_lshrrev_b32_e32 v7, 24, v6
	v_cmpx_ne_u64_e32 0x7f800000, v[12:13]
	s_xor_b32 s42, exec_lo, s13
	s_cbranch_execz .LBB6_11862
; %bb.11849:                            ;   in Loop: Header=BB6_9788 Depth=3
	v_and_b32_e32 v12, 0x7fffffff, v6
	v_mov_b32_e32 v13, v21
                                        ; implicit-def: $vgpr100
	s_delay_alu instid0(VALU_DEP_1) | instskip(SKIP_2) | instid1(SALU_CYCLE_1)
	v_cmp_gt_u64_e32 vcc_lo, 0x47600001, v[12:13]
	v_and_b32_e32 v12, 0x80, v7
	s_and_saveexec_b32 s13, vcc_lo
	s_xor_b32 s43, exec_lo, s13
	s_cbranch_execz .LBB6_11859
; %bb.11850:                            ;   in Loop: Header=BB6_9788 Depth=3
	v_mov_b32_e32 v100, 0
	s_mov_b32 s72, exec_lo
	v_cmpx_ne_u32_e32 0, v6
	s_cbranch_execz .LBB6_11858
; %bb.11851:                            ;   in Loop: Header=BB6_9788 Depth=3
	v_bfe_u32 v13, v6, 23, 8
	v_or_b32_e32 v7, 0x800000, v4
	s_delay_alu instid0(VALU_DEP_2) | instskip(SKIP_2) | instid1(VALU_DEP_2)
	v_cmp_gt_u32_e64 s13, 0x72, v13
	v_sub_nc_u32_e32 v6, 0x71, v13
	v_cmp_eq_u32_e32 vcc_lo, 0, v13
	v_dual_cndmask_b32 v6, 0, v6, s13 :: v_dual_cndmask_b32 v4, v7, v4, vcc_lo
	s_delay_alu instid0(VALU_DEP_1) | instskip(NEXT) | instid1(VALU_DEP_1)
	v_cndmask_b32_e64 v100, v6, 0x70, vcc_lo
	v_dual_add_nc_u32 v6, 21, v100 :: v_dual_add_nc_u32 v101, 20, v100
	s_delay_alu instid0(VALU_DEP_1) | instskip(NEXT) | instid1(VALU_DEP_2)
	v_lshlrev_b64_e64 v[6:7], v6, -1
	v_lshlrev_b64_e64 v[102:103], v101, 1
	s_delay_alu instid0(VALU_DEP_2) | instskip(SKIP_1) | instid1(VALU_DEP_4)
	v_bfi_b32 v6, v6, 0, v4
	v_lshrrev_b64 v[4:5], v100, v[4:5]
	v_bfi_b32 v7, v7, 0, 0
	s_delay_alu instid0(VALU_DEP_1) | instskip(NEXT) | instid1(VALU_DEP_3)
	v_cmp_eq_u64_e64 s13, v[6:7], v[102:103]
	v_mov_b64_e32 v[6:7], v[4:5]
	s_and_saveexec_b32 s73, s13
; %bb.11852:                            ;   in Loop: Header=BB6_9788 Depth=3
	v_bfe_u32 v6, v4, 21, 1
	v_mov_b32_e32 v7, v21
	s_delay_alu instid0(VALU_DEP_1) | instskip(NEXT) | instid1(VALU_DEP_1)
	v_add_nc_u64_e32 v[6:7], v[4:5], v[6:7]
	v_add_nc_u64_e32 v[6:7], -1, v[6:7]
; %bb.11853:                            ;   in Loop: Header=BB6_9788 Depth=3
	s_or_b32 exec_lo, exec_lo, s73
	v_add_nc_u32_e32 v5, 0xffffff81, v13
	v_lshrrev_b32_e32 v7, 23, v4
	s_mov_b32 s13, exec_lo
	s_delay_alu instid0(VALU_DEP_2) | instskip(NEXT) | instid1(VALU_DEP_1)
	v_cndmask_b32_e64 v5, v5, 0xffffff82, vcc_lo
	v_add3_u32 v13, v100, v5, v7
	v_and_b32_e32 v5, 0x1fffff, v6
                                        ; implicit-def: $vgpr6
	s_delay_alu instid0(VALU_DEP_1) | instskip(SKIP_1) | instid1(VALU_DEP_2)
	v_dual_add_nc_u32 v7, 14, v13 :: v_dual_add_nc_u32 v4, v5, v4
	v_mov_b32_e32 v5, v21
	v_cmpx_ne_u32_e32 0, v7
	s_xor_b32 s13, exec_lo, s13
; %bb.11854:                            ;   in Loop: Header=BB6_9788 Depth=3
	s_delay_alu instid0(VALU_DEP_2) | instskip(SKIP_1) | instid1(VALU_DEP_1)
	v_cmp_lt_u64_e32 vcc_lo, 0xffffff, v[4:5]
	v_add_nc_u32_e32 v6, 15, v13
	v_cndmask_b32_e32 v6, v7, v6, vcc_lo
	v_cndmask_b32_e64 v7, 0, 1, vcc_lo
	s_delay_alu instid0(VALU_DEP_1)
	v_lshrrev_b64 v[4:5], v7, v[4:5]
; %bb.11855:                            ;   in Loop: Header=BB6_9788 Depth=3
	s_and_not1_saveexec_b32 s13, s13
; %bb.11856:                            ;   in Loop: Header=BB6_9788 Depth=3
	s_delay_alu instid0(VALU_DEP_1)
	v_bfe_u32 v6, v4, 23, 1
; %bb.11857:                            ;   in Loop: Header=BB6_9788 Depth=3
	s_or_b32 exec_lo, exec_lo, s13
	s_delay_alu instid0(VALU_DEP_2) | instskip(NEXT) | instid1(VALU_DEP_2)
	v_lshrrev_b64 v[4:5], 21, v[4:5]
	v_cmp_gt_i32_e32 vcc_lo, 32, v6
	v_min_i32_e32 v7, 31, v6
	v_cmp_eq_u32_e64 s13, 0, v6
	s_delay_alu instid0(VALU_DEP_2) | instskip(SKIP_1) | instid1(VALU_DEP_2)
	v_dual_cndmask_b32 v5, 0, v5, vcc_lo :: v_dual_lshlrev_b32 v7, 2, v7
	v_cndmask_b32_e32 v4, 3, v4, vcc_lo
	v_and_b32_e32 v7, 0xfc, v7
	s_delay_alu instid0(VALU_DEP_2) | instskip(NEXT) | instid1(VALU_DEP_2)
	v_cmp_eq_u64_e32 vcc_lo, 0, v[4:5]
	v_and_or_b32 v4, v4, 3, v7
	s_and_b32 s13, s13, vcc_lo
	s_delay_alu instid0(VALU_DEP_1) | instid1(SALU_CYCLE_1)
	v_cndmask_b32_e64 v4, v4, 0, s13
	s_delay_alu instid0(VALU_DEP_1)
	v_or_b32_e32 v100, v4, v12
.LBB6_11858:                            ;   in Loop: Header=BB6_9788 Depth=3
	s_or_b32 exec_lo, exec_lo, s72
                                        ; implicit-def: $vgpr12
.LBB6_11859:                            ;   in Loop: Header=BB6_9788 Depth=3
	s_and_not1_saveexec_b32 s13, s43
; %bb.11860:                            ;   in Loop: Header=BB6_9788 Depth=3
	v_or_b32_e32 v100, 0x7b, v12
; %bb.11861:                            ;   in Loop: Header=BB6_9788 Depth=3
	s_or_b32 exec_lo, exec_lo, s13
                                        ; implicit-def: $vgpr6
                                        ; implicit-def: $vgpr4_vgpr5
                                        ; implicit-def: $vgpr7
.LBB6_11862:                            ;   in Loop: Header=BB6_9788 Depth=3
	s_and_not1_saveexec_b32 s13, s42
	s_cbranch_execz .LBB6_11868
; %bb.11863:                            ;   in Loop: Header=BB6_9788 Depth=3
	s_mov_b32 s42, exec_lo
                                        ; implicit-def: $vgpr100
	v_cmpx_ne_u64_e32 0, v[4:5]
	s_xor_b32 s42, exec_lo, s42
; %bb.11864:                            ;   in Loop: Header=BB6_9788 Depth=3
	v_or_b32_e32 v100, 0x7f, v7
                                        ; implicit-def: $vgpr6
; %bb.11865:                            ;   in Loop: Header=BB6_9788 Depth=3
	s_and_not1_saveexec_b32 s42, s42
; %bb.11866:                            ;   in Loop: Header=BB6_9788 Depth=3
	v_cmp_lt_i32_e32 vcc_lo, -1, v6
	v_mov_b32_e32 v4, 0x7c
	s_delay_alu instid0(VALU_DEP_1)
	v_cndmask_b32_e32 v100, 0xfc, v4, vcc_lo
; %bb.11867:                            ;   in Loop: Header=BB6_9788 Depth=3
	s_or_b32 exec_lo, exec_lo, s42
.LBB6_11868:                            ;   in Loop: Header=BB6_9788 Depth=3
	s_delay_alu instid0(SALU_CYCLE_1) | instskip(SKIP_4) | instid1(VALU_DEP_3)
	s_or_b32 exec_lo, exec_lo, s13
	v_and_b32_e32 v12, 0xff, v1
	v_dual_mov_b32 v4, v1 :: v_dual_mov_b32 v5, v21
	v_dual_mov_b32 v7, 0 :: v_dual_mov_b32 v6, 0
	s_mov_b32 s42, exec_lo
	v_cmpx_ne_u16_e32 0, v12
	s_cbranch_execz .LBB6_11878
; %bb.11869:                            ;   in Loop: Header=BB6_9788 Depth=3
	v_bfrev_b32_e32 v6, 1
	s_mov_b32 s43, exec_lo
	v_cmpx_ne_u16_e32 0x80, v12
	s_cbranch_execz .LBB6_11877
; %bb.11870:                            ;   in Loop: Header=BB6_9788 Depth=3
	v_and_b32_e32 v6, 0x7c, v1
	v_and_b32_e32 v12, 3, v1
	s_delay_alu instid0(VALU_DEP_2) | instskip(SKIP_1) | instid1(SALU_CYCLE_1)
	v_cmp_ne_u32_e32 vcc_lo, 0x7c, v6
                                        ; implicit-def: $vgpr6
	s_and_saveexec_b32 s13, vcc_lo
	s_xor_b32 s13, exec_lo, s13
	s_cbranch_execz .LBB6_11874
; %bb.11871:                            ;   in Loop: Header=BB6_9788 Depth=3
	v_bfe_u32 v6, v1, 2, 5
	s_mov_b32 s72, exec_lo
	s_delay_alu instid0(VALU_DEP_1)
	v_cmpx_eq_u32_e32 0, v6
; %bb.11872:                            ;   in Loop: Header=BB6_9788 Depth=3
	v_clz_i32_u32_e32 v6, v12
	s_delay_alu instid0(VALU_DEP_1) | instskip(NEXT) | instid1(VALU_DEP_1)
	v_min_u32_e32 v6, 32, v6
	v_subrev_nc_u32_e32 v12, 29, v6
	s_delay_alu instid0(VALU_DEP_1) | instskip(NEXT) | instid1(VALU_DEP_1)
	v_lshlrev_b64_e32 v[12:13], v12, v[4:5]
	v_dual_sub_nc_u32 v6, 30, v6 :: v_dual_bitop2_b32 v12, 3, v12 bitop3:0x40
; %bb.11873:                            ;   in Loop: Header=BB6_9788 Depth=3
	s_or_b32 exec_lo, exec_lo, s72
	v_lshlrev_b32_e32 v5, 24, v1
	s_delay_alu instid0(VALU_DEP_1) | instskip(NEXT) | instid1(VALU_DEP_1)
	v_and_b32_e32 v5, 0x80000000, v5
	v_lshl_add_u32 v5, v6, 23, v5
	s_delay_alu instid0(VALU_DEP_1) | instskip(NEXT) | instid1(VALU_DEP_1)
	v_lshl_or_b32 v5, v12, 21, v5
                                        ; implicit-def: $vgpr12
	v_add_nc_u32_e32 v6, 0x38000000, v5
.LBB6_11874:                            ;   in Loop: Header=BB6_9788 Depth=3
	s_and_not1_saveexec_b32 s72, s13
; %bb.11875:                            ;   in Loop: Header=BB6_9788 Depth=3
	v_bfe_i32 v5, v1, 0, 8
	v_cmp_eq_u32_e32 vcc_lo, 0, v12
	s_delay_alu instid0(VALU_DEP_2) | instskip(SKIP_1) | instid1(VALU_DEP_1)
	v_cmp_lt_i16_e64 s13, -1, v5
	v_mov_b32_e32 v5, 0x7f800000
	v_cndmask_b32_e64 v5, 0xff800000, v5, s13
	s_delay_alu instid0(VALU_DEP_1)
	v_cndmask_b32_e32 v6, 0x7f800001, v5, vcc_lo
; %bb.11876:                            ;   in Loop: Header=BB6_9788 Depth=3
	s_or_b32 exec_lo, exec_lo, s72
.LBB6_11877:                            ;   in Loop: Header=BB6_9788 Depth=3
	s_delay_alu instid0(SALU_CYCLE_1)
	s_or_b32 exec_lo, exec_lo, s43
.LBB6_11878:                            ;   in Loop: Header=BB6_9788 Depth=3
	s_delay_alu instid0(SALU_CYCLE_1) | instskip(SKIP_2) | instid1(VALU_DEP_1)
	s_or_b32 exec_lo, exec_lo, s42
	v_and_b32_e32 v5, 0xff, v9
	s_mov_b32 s42, exec_lo
	v_cmpx_ne_u16_e32 0, v5
	s_cbranch_execz .LBB6_11888
; %bb.11879:                            ;   in Loop: Header=BB6_9788 Depth=3
	v_bfrev_b32_e32 v7, 1
	s_mov_b32 s43, exec_lo
	v_cmpx_ne_u16_e32 0x80, v5
	s_cbranch_execz .LBB6_11887
; %bb.11880:                            ;   in Loop: Header=BB6_9788 Depth=3
	v_and_b32_e32 v7, 0x7c, v9
	v_and_b32_e32 v5, 3, v9
	s_delay_alu instid0(VALU_DEP_2) | instskip(SKIP_1) | instid1(SALU_CYCLE_1)
	v_cmp_ne_u32_e32 vcc_lo, 0x7c, v7
                                        ; implicit-def: $vgpr7
	s_and_saveexec_b32 s13, vcc_lo
	s_xor_b32 s13, exec_lo, s13
	s_cbranch_execz .LBB6_11884
; %bb.11881:                            ;   in Loop: Header=BB6_9788 Depth=3
	v_bfe_u32 v7, v9, 2, 5
	s_mov_b32 s72, exec_lo
	s_delay_alu instid0(VALU_DEP_1)
	v_cmpx_eq_u32_e32 0, v7
; %bb.11882:                            ;   in Loop: Header=BB6_9788 Depth=3
	v_clz_i32_u32_e32 v5, v5
	v_dual_mov_b32 v12, v9 :: v_dual_mov_b32 v13, v21
	s_delay_alu instid0(VALU_DEP_2) | instskip(NEXT) | instid1(VALU_DEP_1)
	v_min_u32_e32 v5, 32, v5
	v_subrev_nc_u32_e32 v7, 29, v5
	s_delay_alu instid0(VALU_DEP_1) | instskip(NEXT) | instid1(VALU_DEP_1)
	v_lshlrev_b64_e32 v[12:13], v7, v[12:13]
	v_dual_sub_nc_u32 v7, 30, v5 :: v_dual_bitop2_b32 v5, 3, v12 bitop3:0x40
; %bb.11883:                            ;   in Loop: Header=BB6_9788 Depth=3
	s_or_b32 exec_lo, exec_lo, s72
	v_lshlrev_b32_e32 v12, 24, v9
	s_delay_alu instid0(VALU_DEP_1) | instskip(NEXT) | instid1(VALU_DEP_1)
	v_and_b32_e32 v12, 0x80000000, v12
	v_lshl_add_u32 v7, v7, 23, v12
	s_delay_alu instid0(VALU_DEP_1) | instskip(NEXT) | instid1(VALU_DEP_1)
	v_lshl_or_b32 v5, v5, 21, v7
	v_add_nc_u32_e32 v7, 0x38000000, v5
                                        ; implicit-def: $vgpr5
.LBB6_11884:                            ;   in Loop: Header=BB6_9788 Depth=3
	s_and_not1_saveexec_b32 s72, s13
; %bb.11885:                            ;   in Loop: Header=BB6_9788 Depth=3
	v_bfe_i32 v7, v9, 0, 8
	v_cmp_eq_u32_e32 vcc_lo, 0, v5
	v_mov_b32_e32 v5, 0x7f800000
	s_delay_alu instid0(VALU_DEP_3) | instskip(NEXT) | instid1(VALU_DEP_1)
	v_cmp_lt_i16_e64 s13, -1, v7
	v_cndmask_b32_e64 v5, 0xff800000, v5, s13
	s_delay_alu instid0(VALU_DEP_1)
	v_cndmask_b32_e32 v7, 0x7f800001, v5, vcc_lo
; %bb.11886:                            ;   in Loop: Header=BB6_9788 Depth=3
	s_or_b32 exec_lo, exec_lo, s72
.LBB6_11887:                            ;   in Loop: Header=BB6_9788 Depth=3
	s_delay_alu instid0(SALU_CYCLE_1)
	s_or_b32 exec_lo, exec_lo, s43
.LBB6_11888:                            ;   in Loop: Header=BB6_9788 Depth=3
	s_delay_alu instid0(SALU_CYCLE_1) | instskip(NEXT) | instid1(VALU_DEP_1)
	s_or_b32 exec_lo, exec_lo, s42
	v_dual_mul_f32 v13, v6, v7 :: v_dual_mov_b32 v103, v21
	v_mov_b32_e32 v7, v21
                                        ; implicit-def: $vgpr12
	s_mov_b32 s13, exec_lo
	s_delay_alu instid0(VALU_DEP_2) | instskip(SKIP_2) | instid1(VALU_DEP_3)
	v_and_b32_e32 v102, 0x7f800000, v13
	v_and_b32_e32 v6, 0x7fffff, v13
	v_lshrrev_b32_e32 v5, 24, v13
	v_cmpx_ne_u64_e32 0x7f800000, v[102:103]
	s_xor_b32 s42, exec_lo, s13
	s_cbranch_execz .LBB6_11902
; %bb.11889:                            ;   in Loop: Header=BB6_9788 Depth=3
	v_and_b32_e32 v102, 0x7fffffff, v13
	v_mov_b32_e32 v103, v21
	v_and_b32_e32 v5, 0x80, v5
                                        ; implicit-def: $vgpr12
	s_mov_b32 s13, exec_lo
	s_delay_alu instid0(VALU_DEP_2)
	v_cmpx_gt_u64_e32 0x47600001, v[102:103]
	s_xor_b32 s43, exec_lo, s13
	s_cbranch_execz .LBB6_11899
; %bb.11890:                            ;   in Loop: Header=BB6_9788 Depth=3
	v_mov_b32_e32 v12, 0
	s_mov_b32 s72, exec_lo
	v_cmpx_ne_u32_e32 0, v13
	s_cbranch_execz .LBB6_11898
; %bb.11891:                            ;   in Loop: Header=BB6_9788 Depth=3
	v_bfe_u32 v101, v13, 23, 8
	v_or_b32_e32 v13, 0x800000, v6
	s_delay_alu instid0(VALU_DEP_2) | instskip(SKIP_2) | instid1(VALU_DEP_2)
	v_cmp_gt_u32_e64 s13, 0x72, v101
	v_sub_nc_u32_e32 v12, 0x71, v101
	v_cmp_eq_u32_e32 vcc_lo, 0, v101
	v_dual_cndmask_b32 v12, 0, v12, s13 :: v_dual_cndmask_b32 v6, v13, v6, vcc_lo
	s_delay_alu instid0(VALU_DEP_1) | instskip(NEXT) | instid1(VALU_DEP_1)
	v_cndmask_b32_e64 v102, v12, 0x70, vcc_lo
	v_dual_add_nc_u32 v12, 21, v102 :: v_dual_add_nc_u32 v103, 20, v102
	s_delay_alu instid0(VALU_DEP_1) | instskip(NEXT) | instid1(VALU_DEP_2)
	v_lshlrev_b64_e64 v[12:13], v12, -1
	v_lshlrev_b64_e64 v[112:113], v103, 1
	s_delay_alu instid0(VALU_DEP_2) | instskip(SKIP_1) | instid1(VALU_DEP_4)
	v_bfi_b32 v12, v12, 0, v6
	v_lshrrev_b64 v[6:7], v102, v[6:7]
	v_bfi_b32 v13, v13, 0, 0
	s_delay_alu instid0(VALU_DEP_1) | instskip(NEXT) | instid1(VALU_DEP_3)
	v_cmp_eq_u64_e64 s13, v[12:13], v[112:113]
	v_mov_b64_e32 v[12:13], v[6:7]
	s_and_saveexec_b32 s73, s13
; %bb.11892:                            ;   in Loop: Header=BB6_9788 Depth=3
	v_bfe_u32 v12, v6, 21, 1
	v_mov_b32_e32 v13, v21
	s_delay_alu instid0(VALU_DEP_1) | instskip(NEXT) | instid1(VALU_DEP_1)
	v_add_nc_u64_e32 v[12:13], v[6:7], v[12:13]
	v_add_nc_u64_e32 v[12:13], -1, v[12:13]
; %bb.11893:                            ;   in Loop: Header=BB6_9788 Depth=3
	s_or_b32 exec_lo, exec_lo, s73
	v_add_nc_u32_e32 v7, 0xffffff81, v101
	v_lshrrev_b32_e32 v13, 23, v6
	s_mov_b32 s13, exec_lo
	s_delay_alu instid0(VALU_DEP_2) | instskip(NEXT) | instid1(VALU_DEP_1)
	v_cndmask_b32_e64 v7, v7, 0xffffff82, vcc_lo
	v_add3_u32 v101, v102, v7, v13
	v_and_b32_e32 v7, 0x1fffff, v12
                                        ; implicit-def: $vgpr12
	s_delay_alu instid0(VALU_DEP_1) | instskip(SKIP_1) | instid1(VALU_DEP_2)
	v_dual_add_nc_u32 v13, 14, v101 :: v_dual_add_nc_u32 v6, v7, v6
	v_mov_b32_e32 v7, v21
	v_cmpx_ne_u32_e32 0, v13
	s_xor_b32 s13, exec_lo, s13
; %bb.11894:                            ;   in Loop: Header=BB6_9788 Depth=3
	s_delay_alu instid0(VALU_DEP_2) | instskip(SKIP_1) | instid1(VALU_DEP_1)
	v_cmp_lt_u64_e32 vcc_lo, 0xffffff, v[6:7]
	v_add_nc_u32_e32 v12, 15, v101
	v_cndmask_b32_e32 v12, v13, v12, vcc_lo
	v_cndmask_b32_e64 v13, 0, 1, vcc_lo
	s_delay_alu instid0(VALU_DEP_1)
	v_lshrrev_b64 v[6:7], v13, v[6:7]
; %bb.11895:                            ;   in Loop: Header=BB6_9788 Depth=3
	s_and_not1_saveexec_b32 s13, s13
; %bb.11896:                            ;   in Loop: Header=BB6_9788 Depth=3
	s_delay_alu instid0(VALU_DEP_1)
	v_bfe_u32 v12, v6, 23, 1
; %bb.11897:                            ;   in Loop: Header=BB6_9788 Depth=3
	s_or_b32 exec_lo, exec_lo, s13
	s_delay_alu instid0(VALU_DEP_2) | instskip(NEXT) | instid1(VALU_DEP_2)
	v_lshrrev_b64 v[6:7], 21, v[6:7]
	v_cmp_gt_i32_e32 vcc_lo, 32, v12
	v_min_i32_e32 v13, 31, v12
	v_cmp_eq_u32_e64 s13, 0, v12
	s_delay_alu instid0(VALU_DEP_2) | instskip(SKIP_1) | instid1(VALU_DEP_2)
	v_dual_cndmask_b32 v7, 0, v7, vcc_lo :: v_dual_lshlrev_b32 v13, 2, v13
	v_cndmask_b32_e32 v6, 3, v6, vcc_lo
	v_and_b32_e32 v13, 0xfc, v13
	s_delay_alu instid0(VALU_DEP_2) | instskip(NEXT) | instid1(VALU_DEP_2)
	v_cmp_eq_u64_e32 vcc_lo, 0, v[6:7]
	v_and_or_b32 v6, v6, 3, v13
	s_and_b32 s13, s13, vcc_lo
	s_delay_alu instid0(VALU_DEP_1) | instid1(SALU_CYCLE_1)
	v_cndmask_b32_e64 v6, v6, 0, s13
	s_delay_alu instid0(VALU_DEP_1)
	v_or_b32_e32 v12, v6, v5
.LBB6_11898:                            ;   in Loop: Header=BB6_9788 Depth=3
	s_or_b32 exec_lo, exec_lo, s72
                                        ; implicit-def: $vgpr5
.LBB6_11899:                            ;   in Loop: Header=BB6_9788 Depth=3
	s_and_not1_saveexec_b32 s13, s43
; %bb.11900:                            ;   in Loop: Header=BB6_9788 Depth=3
	v_or_b32_e32 v12, 0x7b, v5
; %bb.11901:                            ;   in Loop: Header=BB6_9788 Depth=3
	s_or_b32 exec_lo, exec_lo, s13
                                        ; implicit-def: $vgpr13
                                        ; implicit-def: $vgpr6_vgpr7
                                        ; implicit-def: $vgpr5
.LBB6_11902:                            ;   in Loop: Header=BB6_9788 Depth=3
	s_and_not1_saveexec_b32 s13, s42
	s_cbranch_execz .LBB6_11908
; %bb.11903:                            ;   in Loop: Header=BB6_9788 Depth=3
	s_mov_b32 s42, exec_lo
                                        ; implicit-def: $vgpr12
	v_cmpx_ne_u64_e32 0, v[6:7]
	s_xor_b32 s42, exec_lo, s42
; %bb.11904:                            ;   in Loop: Header=BB6_9788 Depth=3
	v_or_b32_e32 v12, 0x7f, v5
                                        ; implicit-def: $vgpr13
; %bb.11905:                            ;   in Loop: Header=BB6_9788 Depth=3
	s_and_not1_saveexec_b32 s42, s42
; %bb.11906:                            ;   in Loop: Header=BB6_9788 Depth=3
	v_cmp_lt_i32_e32 vcc_lo, -1, v13
	v_mov_b32_e32 v5, 0x7c
	s_delay_alu instid0(VALU_DEP_1)
	v_cndmask_b32_e32 v12, 0xfc, v5, vcc_lo
; %bb.11907:                            ;   in Loop: Header=BB6_9788 Depth=3
	s_or_b32 exec_lo, exec_lo, s42
.LBB6_11908:                            ;   in Loop: Header=BB6_9788 Depth=3
	s_delay_alu instid0(SALU_CYCLE_1) | instskip(SKIP_3) | instid1(VALU_DEP_2)
	s_or_b32 exec_lo, exec_lo, s13
	v_lshrrev_b16 v6, 8, v4
	v_dual_mov_b32 v13, 0 :: v_dual_mov_b32 v7, 0
	s_mov_b32 s42, exec_lo
	v_cmpx_ne_u16_e32 0, v6
	s_cbranch_execz .LBB6_11918
; %bb.11909:                            ;   in Loop: Header=BB6_9788 Depth=3
	v_bfrev_b32_e32 v7, 1
	s_mov_b32 s43, exec_lo
	v_cmpx_ne_u16_e32 0x80, v6
	s_cbranch_execz .LBB6_11917
; %bb.11910:                            ;   in Loop: Header=BB6_9788 Depth=3
	v_and_b32_e32 v5, 0xffff, v6
	s_delay_alu instid0(VALU_DEP_1) | instskip(SKIP_1) | instid1(VALU_DEP_2)
	v_and_b32_e32 v7, 0x7c, v5
	v_and_b32_e32 v101, 3, v5
	v_cmp_ne_u32_e32 vcc_lo, 0x7c, v7
                                        ; implicit-def: $vgpr7
	s_and_saveexec_b32 s13, vcc_lo
	s_delay_alu instid0(SALU_CYCLE_1)
	s_xor_b32 s13, exec_lo, s13
	s_cbranch_execz .LBB6_11914
; %bb.11911:                            ;   in Loop: Header=BB6_9788 Depth=3
	v_bfe_u32 v5, v5, 2, 5
	s_mov_b32 s72, exec_lo
	s_delay_alu instid0(VALU_DEP_1)
	v_cmpx_eq_u32_e32 0, v5
	s_cbranch_execz .LBB6_11913
; %bb.11912:                            ;   in Loop: Header=BB6_9788 Depth=3
	v_clz_i32_u32_e32 v5, v101
	s_delay_alu instid0(VALU_DEP_1) | instskip(SKIP_1) | instid1(VALU_DEP_2)
	v_min_u32_e32 v5, 32, v5
	v_mov_b32_e32 v7, v21
	v_subrev_nc_u32_e32 v101, 29, v5
	v_sub_nc_u32_e32 v5, 30, v5
	s_delay_alu instid0(VALU_DEP_2) | instskip(NEXT) | instid1(VALU_DEP_1)
	v_lshlrev_b64_e32 v[6:7], v101, v[6:7]
	v_and_b32_e32 v101, 3, v6
.LBB6_11913:                            ;   in Loop: Header=BB6_9788 Depth=3
	s_or_b32 exec_lo, exec_lo, s72
	v_lshlrev_b32_e32 v4, 16, v4
	s_delay_alu instid0(VALU_DEP_1) | instskip(NEXT) | instid1(VALU_DEP_1)
	v_and_b32_e32 v4, 0x80000000, v4
	v_lshl_add_u32 v4, v5, 23, v4
	s_delay_alu instid0(VALU_DEP_1) | instskip(NEXT) | instid1(VALU_DEP_1)
	v_lshl_or_b32 v4, v101, 21, v4
                                        ; implicit-def: $vgpr101
	v_add_nc_u32_e32 v7, 0x38000000, v4
                                        ; implicit-def: $vgpr4_vgpr5
.LBB6_11914:                            ;   in Loop: Header=BB6_9788 Depth=3
	s_and_not1_saveexec_b32 s72, s13
; %bb.11915:                            ;   in Loop: Header=BB6_9788 Depth=3
	v_cmp_lt_i16_e64 s13, -1, v4
	v_mov_b32_e32 v4, 0x7f800000
	v_cmp_eq_u32_e32 vcc_lo, 0, v101
	s_delay_alu instid0(VALU_DEP_2) | instskip(NEXT) | instid1(VALU_DEP_1)
	v_cndmask_b32_e64 v4, 0xff800000, v4, s13
	v_cndmask_b32_e32 v7, 0x7f800001, v4, vcc_lo
; %bb.11916:                            ;   in Loop: Header=BB6_9788 Depth=3
	s_or_b32 exec_lo, exec_lo, s72
.LBB6_11917:                            ;   in Loop: Header=BB6_9788 Depth=3
	s_delay_alu instid0(SALU_CYCLE_1)
	s_or_b32 exec_lo, exec_lo, s43
.LBB6_11918:                            ;   in Loop: Header=BB6_9788 Depth=3
	s_delay_alu instid0(SALU_CYCLE_1) | instskip(SKIP_2) | instid1(VALU_DEP_1)
	s_or_b32 exec_lo, exec_lo, s42
	v_lshrrev_b16 v4, 8, v9
	s_mov_b32 s42, exec_lo
	v_cmpx_ne_u16_e32 0, v4
	s_cbranch_execz .LBB6_11928
; %bb.11919:                            ;   in Loop: Header=BB6_9788 Depth=3
	v_bfrev_b32_e32 v13, 1
	s_mov_b32 s43, exec_lo
	v_cmpx_ne_u16_e32 0x80, v4
	s_cbranch_execz .LBB6_11927
; %bb.11920:                            ;   in Loop: Header=BB6_9788 Depth=3
	v_and_b32_e32 v6, 0xffff, v4
	s_delay_alu instid0(VALU_DEP_1) | instskip(SKIP_1) | instid1(VALU_DEP_2)
	v_and_b32_e32 v13, 0x7c, v6
	v_and_b32_e32 v5, 3, v6
	v_cmp_ne_u32_e32 vcc_lo, 0x7c, v13
                                        ; implicit-def: $vgpr13
	s_and_saveexec_b32 s13, vcc_lo
	s_delay_alu instid0(SALU_CYCLE_1)
	s_xor_b32 s13, exec_lo, s13
	s_cbranch_execz .LBB6_11924
; %bb.11921:                            ;   in Loop: Header=BB6_9788 Depth=3
	v_bfe_u32 v6, v6, 2, 5
	s_mov_b32 s72, exec_lo
	s_delay_alu instid0(VALU_DEP_1)
	v_cmpx_eq_u32_e32 0, v6
	s_cbranch_execz .LBB6_11923
; %bb.11922:                            ;   in Loop: Header=BB6_9788 Depth=3
	v_clz_i32_u32_e32 v5, v5
	s_delay_alu instid0(VALU_DEP_1) | instskip(SKIP_1) | instid1(VALU_DEP_2)
	v_min_u32_e32 v6, 32, v5
	v_mov_b32_e32 v5, v21
	v_subrev_nc_u32_e32 v13, 29, v6
	v_sub_nc_u32_e32 v6, 30, v6
	s_delay_alu instid0(VALU_DEP_2) | instskip(NEXT) | instid1(VALU_DEP_1)
	v_lshlrev_b64_e32 v[4:5], v13, v[4:5]
	v_and_b32_e32 v5, 3, v4
.LBB6_11923:                            ;   in Loop: Header=BB6_9788 Depth=3
	s_or_b32 exec_lo, exec_lo, s72
	v_lshlrev_b32_e32 v4, 16, v9
	s_delay_alu instid0(VALU_DEP_1) | instskip(NEXT) | instid1(VALU_DEP_1)
	v_and_b32_e32 v4, 0x80000000, v4
	v_lshl_add_u32 v4, v6, 23, v4
	s_delay_alu instid0(VALU_DEP_1) | instskip(NEXT) | instid1(VALU_DEP_1)
	v_lshl_or_b32 v4, v5, 21, v4
                                        ; implicit-def: $vgpr5
	v_add_nc_u32_e32 v13, 0x38000000, v4
.LBB6_11924:                            ;   in Loop: Header=BB6_9788 Depth=3
	s_and_not1_saveexec_b32 s72, s13
; %bb.11925:                            ;   in Loop: Header=BB6_9788 Depth=3
	v_cmp_lt_i16_e64 s13, -1, v9
	v_mov_b32_e32 v4, 0x7f800000
	v_cmp_eq_u32_e32 vcc_lo, 0, v5
	s_delay_alu instid0(VALU_DEP_2) | instskip(NEXT) | instid1(VALU_DEP_1)
	v_cndmask_b32_e64 v4, 0xff800000, v4, s13
	v_cndmask_b32_e32 v13, 0x7f800001, v4, vcc_lo
; %bb.11926:                            ;   in Loop: Header=BB6_9788 Depth=3
	s_or_b32 exec_lo, exec_lo, s72
.LBB6_11927:                            ;   in Loop: Header=BB6_9788 Depth=3
	s_delay_alu instid0(SALU_CYCLE_1)
	s_or_b32 exec_lo, exec_lo, s43
.LBB6_11928:                            ;   in Loop: Header=BB6_9788 Depth=3
	s_delay_alu instid0(SALU_CYCLE_1) | instskip(NEXT) | instid1(VALU_DEP_1)
	s_or_b32 exec_lo, exec_lo, s42
	v_dual_mul_f32 v6, v7, v13 :: v_dual_mov_b32 v103, v21
	v_mov_b32_e32 v5, v21
                                        ; implicit-def: $vgpr13
	s_mov_b32 s13, exec_lo
	s_delay_alu instid0(VALU_DEP_2) | instskip(SKIP_2) | instid1(VALU_DEP_3)
	v_and_b32_e32 v102, 0x7f800000, v6
	v_and_b32_e32 v4, 0x7fffff, v6
	v_lshrrev_b32_e32 v7, 24, v6
	v_cmpx_ne_u64_e32 0x7f800000, v[102:103]
	s_xor_b32 s42, exec_lo, s13
	s_cbranch_execz .LBB6_11942
; %bb.11929:                            ;   in Loop: Header=BB6_9788 Depth=3
	v_and_b32_e32 v102, 0x7fffffff, v6
	v_mov_b32_e32 v103, v21
	v_and_b32_e32 v101, 0x80, v7
                                        ; implicit-def: $vgpr13
	s_mov_b32 s13, exec_lo
	s_delay_alu instid0(VALU_DEP_2)
	v_cmpx_gt_u64_e32 0x47600001, v[102:103]
	s_xor_b32 s43, exec_lo, s13
	s_cbranch_execz .LBB6_11939
; %bb.11930:                            ;   in Loop: Header=BB6_9788 Depth=3
	v_mov_b32_e32 v13, 0
	s_mov_b32 s72, exec_lo
	v_cmpx_ne_u32_e32 0, v6
	s_cbranch_execz .LBB6_11938
; %bb.11931:                            ;   in Loop: Header=BB6_9788 Depth=3
	v_bfe_u32 v13, v6, 23, 8
	v_or_b32_e32 v7, 0x800000, v4
	s_delay_alu instid0(VALU_DEP_2) | instskip(SKIP_2) | instid1(VALU_DEP_2)
	v_cmp_gt_u32_e64 s13, 0x72, v13
	v_sub_nc_u32_e32 v6, 0x71, v13
	v_cmp_eq_u32_e32 vcc_lo, 0, v13
	v_dual_cndmask_b32 v6, 0, v6, s13 :: v_dual_cndmask_b32 v4, v7, v4, vcc_lo
	s_delay_alu instid0(VALU_DEP_1) | instskip(NEXT) | instid1(VALU_DEP_1)
	v_cndmask_b32_e64 v102, v6, 0x70, vcc_lo
	v_dual_add_nc_u32 v6, 21, v102 :: v_dual_add_nc_u32 v103, 20, v102
	s_delay_alu instid0(VALU_DEP_1) | instskip(NEXT) | instid1(VALU_DEP_2)
	v_lshlrev_b64_e64 v[6:7], v6, -1
	v_lshlrev_b64_e64 v[112:113], v103, 1
	s_delay_alu instid0(VALU_DEP_2) | instskip(SKIP_1) | instid1(VALU_DEP_4)
	v_bfi_b32 v6, v6, 0, v4
	v_lshrrev_b64 v[4:5], v102, v[4:5]
	v_bfi_b32 v7, v7, 0, 0
	s_delay_alu instid0(VALU_DEP_1) | instskip(NEXT) | instid1(VALU_DEP_3)
	v_cmp_eq_u64_e64 s13, v[6:7], v[112:113]
	v_mov_b64_e32 v[6:7], v[4:5]
	s_and_saveexec_b32 s73, s13
; %bb.11932:                            ;   in Loop: Header=BB6_9788 Depth=3
	v_bfe_u32 v6, v4, 21, 1
	v_mov_b32_e32 v7, v21
	s_delay_alu instid0(VALU_DEP_1) | instskip(NEXT) | instid1(VALU_DEP_1)
	v_add_nc_u64_e32 v[6:7], v[4:5], v[6:7]
	v_add_nc_u64_e32 v[6:7], -1, v[6:7]
; %bb.11933:                            ;   in Loop: Header=BB6_9788 Depth=3
	s_or_b32 exec_lo, exec_lo, s73
	v_add_nc_u32_e32 v5, 0xffffff81, v13
	v_lshrrev_b32_e32 v7, 23, v4
	s_mov_b32 s13, exec_lo
	s_delay_alu instid0(VALU_DEP_2) | instskip(NEXT) | instid1(VALU_DEP_1)
	v_cndmask_b32_e64 v5, v5, 0xffffff82, vcc_lo
	v_add3_u32 v13, v102, v5, v7
	v_and_b32_e32 v5, 0x1fffff, v6
                                        ; implicit-def: $vgpr6
	s_delay_alu instid0(VALU_DEP_1) | instskip(SKIP_1) | instid1(VALU_DEP_2)
	v_dual_add_nc_u32 v7, 14, v13 :: v_dual_add_nc_u32 v4, v5, v4
	v_mov_b32_e32 v5, v21
	v_cmpx_ne_u32_e32 0, v7
	s_xor_b32 s13, exec_lo, s13
; %bb.11934:                            ;   in Loop: Header=BB6_9788 Depth=3
	s_delay_alu instid0(VALU_DEP_2) | instskip(SKIP_1) | instid1(VALU_DEP_1)
	v_cmp_lt_u64_e32 vcc_lo, 0xffffff, v[4:5]
	v_add_nc_u32_e32 v6, 15, v13
	v_cndmask_b32_e32 v6, v7, v6, vcc_lo
	v_cndmask_b32_e64 v7, 0, 1, vcc_lo
	s_delay_alu instid0(VALU_DEP_1)
	v_lshrrev_b64 v[4:5], v7, v[4:5]
; %bb.11935:                            ;   in Loop: Header=BB6_9788 Depth=3
	s_and_not1_saveexec_b32 s13, s13
; %bb.11936:                            ;   in Loop: Header=BB6_9788 Depth=3
	s_delay_alu instid0(VALU_DEP_1)
	v_bfe_u32 v6, v4, 23, 1
; %bb.11937:                            ;   in Loop: Header=BB6_9788 Depth=3
	s_or_b32 exec_lo, exec_lo, s13
	s_delay_alu instid0(VALU_DEP_2) | instskip(NEXT) | instid1(VALU_DEP_2)
	v_lshrrev_b64 v[4:5], 21, v[4:5]
	v_cmp_gt_i32_e32 vcc_lo, 32, v6
	v_min_i32_e32 v7, 31, v6
	v_cmp_eq_u32_e64 s13, 0, v6
	s_delay_alu instid0(VALU_DEP_2) | instskip(SKIP_1) | instid1(VALU_DEP_2)
	v_dual_cndmask_b32 v5, 0, v5, vcc_lo :: v_dual_lshlrev_b32 v7, 2, v7
	v_cndmask_b32_e32 v4, 3, v4, vcc_lo
	v_and_b32_e32 v7, 0xfc, v7
	s_delay_alu instid0(VALU_DEP_2) | instskip(NEXT) | instid1(VALU_DEP_2)
	v_cmp_eq_u64_e32 vcc_lo, 0, v[4:5]
	v_and_or_b32 v4, v4, 3, v7
	s_and_b32 s13, s13, vcc_lo
	s_delay_alu instid0(VALU_DEP_1) | instid1(SALU_CYCLE_1)
	v_cndmask_b32_e64 v4, v4, 0, s13
	s_delay_alu instid0(VALU_DEP_1)
	v_or_b32_e32 v13, v4, v101
.LBB6_11938:                            ;   in Loop: Header=BB6_9788 Depth=3
	s_or_b32 exec_lo, exec_lo, s72
                                        ; implicit-def: $vgpr101
.LBB6_11939:                            ;   in Loop: Header=BB6_9788 Depth=3
	s_and_not1_saveexec_b32 s13, s43
; %bb.11940:                            ;   in Loop: Header=BB6_9788 Depth=3
	v_or_b32_e32 v13, 0x7b, v101
; %bb.11941:                            ;   in Loop: Header=BB6_9788 Depth=3
	s_or_b32 exec_lo, exec_lo, s13
                                        ; implicit-def: $vgpr6
                                        ; implicit-def: $vgpr4_vgpr5
                                        ; implicit-def: $vgpr7
.LBB6_11942:                            ;   in Loop: Header=BB6_9788 Depth=3
	s_and_not1_saveexec_b32 s13, s42
	s_cbranch_execz .LBB6_11948
; %bb.11943:                            ;   in Loop: Header=BB6_9788 Depth=3
	s_mov_b32 s42, exec_lo
                                        ; implicit-def: $vgpr13
	v_cmpx_ne_u64_e32 0, v[4:5]
	s_xor_b32 s42, exec_lo, s42
; %bb.11944:                            ;   in Loop: Header=BB6_9788 Depth=3
	v_or_b32_e32 v13, 0x7f, v7
                                        ; implicit-def: $vgpr6
; %bb.11945:                            ;   in Loop: Header=BB6_9788 Depth=3
	s_and_not1_saveexec_b32 s42, s42
; %bb.11946:                            ;   in Loop: Header=BB6_9788 Depth=3
	v_cmp_lt_i32_e32 vcc_lo, -1, v6
	v_mov_b32_e32 v4, 0x7c
	s_delay_alu instid0(VALU_DEP_1)
	v_cndmask_b32_e32 v13, 0xfc, v4, vcc_lo
; %bb.11947:                            ;   in Loop: Header=BB6_9788 Depth=3
	s_or_b32 exec_lo, exec_lo, s42
.LBB6_11948:                            ;   in Loop: Header=BB6_9788 Depth=3
	s_delay_alu instid0(SALU_CYCLE_1) | instskip(SKIP_3) | instid1(VALU_DEP_2)
	s_or_b32 exec_lo, exec_lo, s13
	v_dual_mov_b32 v5, 0 :: v_dual_lshrrev_b32 v4, 16, v1
	v_mov_b32_e32 v6, 0
	s_mov_b32 s42, exec_lo
	v_and_b32_e32 v7, 0xff, v4
	s_delay_alu instid0(VALU_DEP_1)
	v_cmpx_ne_u16_e32 0, v7
	s_cbranch_execz .LBB6_11958
; %bb.11949:                            ;   in Loop: Header=BB6_9788 Depth=3
	v_bfrev_b32_e32 v6, 1
	s_mov_b32 s43, exec_lo
	v_cmpx_ne_u16_e32 0x80, v7
	s_cbranch_execz .LBB6_11957
; %bb.11950:                            ;   in Loop: Header=BB6_9788 Depth=3
	v_and_b32_e32 v6, 0x7c0000, v1
	v_bfe_u32 v7, v1, 16, 2
	s_delay_alu instid0(VALU_DEP_2) | instskip(SKIP_1) | instid1(SALU_CYCLE_1)
	v_cmp_ne_u32_e32 vcc_lo, 0x7c0000, v6
                                        ; implicit-def: $vgpr6
	s_and_saveexec_b32 s13, vcc_lo
	s_xor_b32 s13, exec_lo, s13
	s_cbranch_execz .LBB6_11954
; %bb.11951:                            ;   in Loop: Header=BB6_9788 Depth=3
	v_bfe_u32 v6, v1, 18, 5
	s_mov_b32 s72, exec_lo
	s_delay_alu instid0(VALU_DEP_1)
	v_cmpx_eq_u32_e32 0, v6
; %bb.11952:                            ;   in Loop: Header=BB6_9788 Depth=3
	v_clz_i32_u32_e32 v6, v7
	s_delay_alu instid0(VALU_DEP_1) | instskip(NEXT) | instid1(VALU_DEP_1)
	v_min_u32_e32 v6, 32, v6
	v_subrev_nc_u32_e32 v7, 29, v6
	v_sub_nc_u32_e32 v6, 30, v6
	s_delay_alu instid0(VALU_DEP_2) | instskip(NEXT) | instid1(VALU_DEP_1)
	v_lshlrev_b64_e32 v[102:103], v7, v[4:5]
	v_and_b32_e32 v7, 3, v102
; %bb.11953:                            ;   in Loop: Header=BB6_9788 Depth=3
	s_or_b32 exec_lo, exec_lo, s72
	v_lshlrev_b32_e32 v4, 24, v4
	s_delay_alu instid0(VALU_DEP_1) | instskip(NEXT) | instid1(VALU_DEP_1)
	v_and_b32_e32 v4, 0x80000000, v4
	v_lshl_add_u32 v4, v6, 23, v4
	s_delay_alu instid0(VALU_DEP_1) | instskip(NEXT) | instid1(VALU_DEP_1)
	v_lshl_or_b32 v4, v7, 21, v4
                                        ; implicit-def: $vgpr7
	v_add_nc_u32_e32 v6, 0x38000000, v4
                                        ; implicit-def: $vgpr4
.LBB6_11954:                            ;   in Loop: Header=BB6_9788 Depth=3
	s_and_not1_saveexec_b32 s72, s13
; %bb.11955:                            ;   in Loop: Header=BB6_9788 Depth=3
	v_bfe_i32 v4, v4, 0, 8
	v_cmp_eq_u32_e32 vcc_lo, 0, v7
	s_delay_alu instid0(VALU_DEP_2) | instskip(SKIP_1) | instid1(VALU_DEP_1)
	v_cmp_lt_i16_e64 s13, -1, v4
	v_mov_b32_e32 v4, 0x7f800000
	v_cndmask_b32_e64 v4, 0xff800000, v4, s13
	s_delay_alu instid0(VALU_DEP_1)
	v_cndmask_b32_e32 v6, 0x7f800001, v4, vcc_lo
; %bb.11956:                            ;   in Loop: Header=BB6_9788 Depth=3
	s_or_b32 exec_lo, exec_lo, s72
.LBB6_11957:                            ;   in Loop: Header=BB6_9788 Depth=3
	s_delay_alu instid0(SALU_CYCLE_1)
	s_or_b32 exec_lo, exec_lo, s43
.LBB6_11958:                            ;   in Loop: Header=BB6_9788 Depth=3
	s_delay_alu instid0(SALU_CYCLE_1) | instskip(SKIP_2) | instid1(VALU_DEP_1)
	s_or_b32 exec_lo, exec_lo, s42
	v_lshrrev_b32_e32 v4, 16, v9
	s_mov_b32 s42, exec_lo
	v_and_b32_e32 v7, 0xff, v4
	s_delay_alu instid0(VALU_DEP_1)
	v_cmpx_ne_u16_e32 0, v7
	s_cbranch_execz .LBB6_11968
; %bb.11959:                            ;   in Loop: Header=BB6_9788 Depth=3
	v_bfrev_b32_e32 v5, 1
	s_mov_b32 s43, exec_lo
	v_cmpx_ne_u16_e32 0x80, v7
	s_cbranch_execz .LBB6_11967
; %bb.11960:                            ;   in Loop: Header=BB6_9788 Depth=3
	v_and_b32_e32 v5, 0x7c0000, v9
	v_bfe_u32 v7, v9, 16, 2
	s_delay_alu instid0(VALU_DEP_2) | instskip(SKIP_1) | instid1(SALU_CYCLE_1)
	v_cmp_ne_u32_e32 vcc_lo, 0x7c0000, v5
                                        ; implicit-def: $vgpr5
	s_and_saveexec_b32 s13, vcc_lo
	s_xor_b32 s13, exec_lo, s13
	s_cbranch_execz .LBB6_11964
; %bb.11961:                            ;   in Loop: Header=BB6_9788 Depth=3
	v_bfe_u32 v5, v9, 18, 5
	s_mov_b32 s72, exec_lo
	s_delay_alu instid0(VALU_DEP_1)
	v_cmpx_eq_u32_e32 0, v5
; %bb.11962:                            ;   in Loop: Header=BB6_9788 Depth=3
	v_clz_i32_u32_e32 v5, v7
	s_delay_alu instid0(VALU_DEP_1) | instskip(NEXT) | instid1(VALU_DEP_1)
	v_min_u32_e32 v5, 32, v5
	v_subrev_nc_u32_e32 v7, 29, v5
	s_delay_alu instid0(VALU_DEP_1) | instskip(NEXT) | instid1(VALU_DEP_1)
	v_lshlrev_b64_e32 v[102:103], v7, v[4:5]
	v_dual_sub_nc_u32 v5, 30, v5 :: v_dual_bitop2_b32 v7, 3, v102 bitop3:0x40
; %bb.11963:                            ;   in Loop: Header=BB6_9788 Depth=3
	s_or_b32 exec_lo, exec_lo, s72
	v_lshlrev_b32_e32 v4, 24, v4
	s_delay_alu instid0(VALU_DEP_1) | instskip(NEXT) | instid1(VALU_DEP_1)
	v_and_b32_e32 v4, 0x80000000, v4
	v_lshl_add_u32 v4, v5, 23, v4
	s_delay_alu instid0(VALU_DEP_1) | instskip(NEXT) | instid1(VALU_DEP_1)
	v_lshl_or_b32 v4, v7, 21, v4
                                        ; implicit-def: $vgpr7
	v_add_nc_u32_e32 v5, 0x38000000, v4
                                        ; implicit-def: $vgpr4
.LBB6_11964:                            ;   in Loop: Header=BB6_9788 Depth=3
	s_and_not1_saveexec_b32 s72, s13
; %bb.11965:                            ;   in Loop: Header=BB6_9788 Depth=3
	v_bfe_i32 v4, v4, 0, 8
	v_cmp_eq_u32_e32 vcc_lo, 0, v7
	s_delay_alu instid0(VALU_DEP_2) | instskip(SKIP_1) | instid1(VALU_DEP_1)
	v_cmp_lt_i16_e64 s13, -1, v4
	v_mov_b32_e32 v4, 0x7f800000
	v_cndmask_b32_e64 v4, 0xff800000, v4, s13
	s_delay_alu instid0(VALU_DEP_1)
	v_cndmask_b32_e32 v5, 0x7f800001, v4, vcc_lo
; %bb.11966:                            ;   in Loop: Header=BB6_9788 Depth=3
	s_or_b32 exec_lo, exec_lo, s72
.LBB6_11967:                            ;   in Loop: Header=BB6_9788 Depth=3
	s_delay_alu instid0(SALU_CYCLE_1)
	s_or_b32 exec_lo, exec_lo, s43
.LBB6_11968:                            ;   in Loop: Header=BB6_9788 Depth=3
	s_delay_alu instid0(SALU_CYCLE_1) | instskip(NEXT) | instid1(VALU_DEP_1)
	s_or_b32 exec_lo, exec_lo, s42
	v_dual_mul_f32 v6, v6, v5 :: v_dual_mov_b32 v103, v21
	v_mov_b32_e32 v5, v21
                                        ; implicit-def: $vgpr101
	s_mov_b32 s13, exec_lo
	s_delay_alu instid0(VALU_DEP_2) | instskip(SKIP_2) | instid1(VALU_DEP_3)
	v_and_b32_e32 v102, 0x7f800000, v6
	v_and_b32_e32 v4, 0x7fffff, v6
	v_lshrrev_b32_e32 v7, 24, v6
	v_cmpx_ne_u64_e32 0x7f800000, v[102:103]
	s_xor_b32 s42, exec_lo, s13
	s_cbranch_execz .LBB6_11982
; %bb.11969:                            ;   in Loop: Header=BB6_9788 Depth=3
	v_and_b32_e32 v102, 0x7fffffff, v6
	v_mov_b32_e32 v103, v21
                                        ; implicit-def: $vgpr101
	s_delay_alu instid0(VALU_DEP_1) | instskip(SKIP_2) | instid1(SALU_CYCLE_1)
	v_cmp_gt_u64_e32 vcc_lo, 0x47600001, v[102:103]
	v_and_b32_e32 v102, 0x80, v7
	s_and_saveexec_b32 s13, vcc_lo
	s_xor_b32 s43, exec_lo, s13
	s_cbranch_execz .LBB6_11979
; %bb.11970:                            ;   in Loop: Header=BB6_9788 Depth=3
	v_mov_b32_e32 v101, 0
	s_mov_b32 s72, exec_lo
	v_cmpx_ne_u32_e32 0, v6
	s_cbranch_execz .LBB6_11978
; %bb.11971:                            ;   in Loop: Header=BB6_9788 Depth=3
	v_bfe_u32 v101, v6, 23, 8
	v_or_b32_e32 v7, 0x800000, v4
	s_delay_alu instid0(VALU_DEP_2) | instskip(SKIP_2) | instid1(VALU_DEP_2)
	v_cmp_gt_u32_e64 s13, 0x72, v101
	v_sub_nc_u32_e32 v6, 0x71, v101
	v_cmp_eq_u32_e32 vcc_lo, 0, v101
	v_dual_cndmask_b32 v6, 0, v6, s13 :: v_dual_cndmask_b32 v4, v7, v4, vcc_lo
	s_delay_alu instid0(VALU_DEP_1) | instskip(NEXT) | instid1(VALU_DEP_1)
	v_cndmask_b32_e64 v103, v6, 0x70, vcc_lo
	v_dual_add_nc_u32 v6, 21, v103 :: v_dual_add_nc_u32 v112, 20, v103
	s_delay_alu instid0(VALU_DEP_1) | instskip(NEXT) | instid1(VALU_DEP_2)
	v_lshlrev_b64_e64 v[6:7], v6, -1
	v_lshlrev_b64_e64 v[112:113], v112, 1
	s_delay_alu instid0(VALU_DEP_2) | instskip(SKIP_1) | instid1(VALU_DEP_4)
	v_bfi_b32 v6, v6, 0, v4
	v_lshrrev_b64 v[4:5], v103, v[4:5]
	v_bfi_b32 v7, v7, 0, 0
	s_delay_alu instid0(VALU_DEP_1) | instskip(NEXT) | instid1(VALU_DEP_3)
	v_cmp_eq_u64_e64 s13, v[6:7], v[112:113]
	v_mov_b64_e32 v[6:7], v[4:5]
	s_and_saveexec_b32 s73, s13
; %bb.11972:                            ;   in Loop: Header=BB6_9788 Depth=3
	v_bfe_u32 v6, v4, 21, 1
	v_mov_b32_e32 v7, v21
	s_delay_alu instid0(VALU_DEP_1) | instskip(NEXT) | instid1(VALU_DEP_1)
	v_add_nc_u64_e32 v[6:7], v[4:5], v[6:7]
	v_add_nc_u64_e32 v[6:7], -1, v[6:7]
; %bb.11973:                            ;   in Loop: Header=BB6_9788 Depth=3
	s_or_b32 exec_lo, exec_lo, s73
	v_add_nc_u32_e32 v5, 0xffffff81, v101
	v_lshrrev_b32_e32 v7, 23, v4
	s_mov_b32 s13, exec_lo
	s_delay_alu instid0(VALU_DEP_2) | instskip(NEXT) | instid1(VALU_DEP_1)
	v_cndmask_b32_e64 v5, v5, 0xffffff82, vcc_lo
	v_add3_u32 v101, v103, v5, v7
	v_and_b32_e32 v5, 0x1fffff, v6
                                        ; implicit-def: $vgpr6
	s_delay_alu instid0(VALU_DEP_1) | instskip(SKIP_1) | instid1(VALU_DEP_2)
	v_dual_add_nc_u32 v7, 14, v101 :: v_dual_add_nc_u32 v4, v5, v4
	v_mov_b32_e32 v5, v21
	v_cmpx_ne_u32_e32 0, v7
	s_xor_b32 s13, exec_lo, s13
; %bb.11974:                            ;   in Loop: Header=BB6_9788 Depth=3
	s_delay_alu instid0(VALU_DEP_2) | instskip(SKIP_1) | instid1(VALU_DEP_1)
	v_cmp_lt_u64_e32 vcc_lo, 0xffffff, v[4:5]
	v_add_nc_u32_e32 v6, 15, v101
	v_cndmask_b32_e32 v6, v7, v6, vcc_lo
	v_cndmask_b32_e64 v7, 0, 1, vcc_lo
	s_delay_alu instid0(VALU_DEP_1)
	v_lshrrev_b64 v[4:5], v7, v[4:5]
; %bb.11975:                            ;   in Loop: Header=BB6_9788 Depth=3
	s_and_not1_saveexec_b32 s13, s13
; %bb.11976:                            ;   in Loop: Header=BB6_9788 Depth=3
	s_delay_alu instid0(VALU_DEP_1)
	v_bfe_u32 v6, v4, 23, 1
; %bb.11977:                            ;   in Loop: Header=BB6_9788 Depth=3
	s_or_b32 exec_lo, exec_lo, s13
	s_delay_alu instid0(VALU_DEP_2) | instskip(NEXT) | instid1(VALU_DEP_2)
	v_lshrrev_b64 v[4:5], 21, v[4:5]
	v_cmp_gt_i32_e32 vcc_lo, 32, v6
	v_min_i32_e32 v7, 31, v6
	v_cmp_eq_u32_e64 s13, 0, v6
	s_delay_alu instid0(VALU_DEP_2) | instskip(SKIP_1) | instid1(VALU_DEP_2)
	v_dual_cndmask_b32 v5, 0, v5, vcc_lo :: v_dual_lshlrev_b32 v7, 2, v7
	v_cndmask_b32_e32 v4, 3, v4, vcc_lo
	v_and_b32_e32 v7, 0xfc, v7
	s_delay_alu instid0(VALU_DEP_2) | instskip(NEXT) | instid1(VALU_DEP_2)
	v_cmp_eq_u64_e32 vcc_lo, 0, v[4:5]
	v_and_or_b32 v4, v4, 3, v7
	s_and_b32 s13, s13, vcc_lo
	s_delay_alu instid0(VALU_DEP_1) | instid1(SALU_CYCLE_1)
	v_cndmask_b32_e64 v4, v4, 0, s13
	s_delay_alu instid0(VALU_DEP_1)
	v_or_b32_e32 v101, v4, v102
.LBB6_11978:                            ;   in Loop: Header=BB6_9788 Depth=3
	s_or_b32 exec_lo, exec_lo, s72
                                        ; implicit-def: $vgpr102
.LBB6_11979:                            ;   in Loop: Header=BB6_9788 Depth=3
	s_and_not1_saveexec_b32 s13, s43
; %bb.11980:                            ;   in Loop: Header=BB6_9788 Depth=3
	v_or_b32_e32 v101, 0x7b, v102
; %bb.11981:                            ;   in Loop: Header=BB6_9788 Depth=3
	s_or_b32 exec_lo, exec_lo, s13
                                        ; implicit-def: $vgpr6
                                        ; implicit-def: $vgpr4_vgpr5
                                        ; implicit-def: $vgpr7
.LBB6_11982:                            ;   in Loop: Header=BB6_9788 Depth=3
	s_and_not1_saveexec_b32 s13, s42
	s_cbranch_execz .LBB6_11988
; %bb.11983:                            ;   in Loop: Header=BB6_9788 Depth=3
	s_mov_b32 s42, exec_lo
                                        ; implicit-def: $vgpr101
	v_cmpx_ne_u64_e32 0, v[4:5]
	s_xor_b32 s42, exec_lo, s42
; %bb.11984:                            ;   in Loop: Header=BB6_9788 Depth=3
	v_or_b32_e32 v101, 0x7f, v7
                                        ; implicit-def: $vgpr6
; %bb.11985:                            ;   in Loop: Header=BB6_9788 Depth=3
	s_and_not1_saveexec_b32 s42, s42
; %bb.11986:                            ;   in Loop: Header=BB6_9788 Depth=3
	v_cmp_lt_i32_e32 vcc_lo, -1, v6
	v_mov_b32_e32 v4, 0x7c
	s_delay_alu instid0(VALU_DEP_1)
	v_cndmask_b32_e32 v101, 0xfc, v4, vcc_lo
; %bb.11987:                            ;   in Loop: Header=BB6_9788 Depth=3
	s_or_b32 exec_lo, exec_lo, s42
.LBB6_11988:                            ;   in Loop: Header=BB6_9788 Depth=3
	s_delay_alu instid0(SALU_CYCLE_1)
	s_or_b32 exec_lo, exec_lo, s13
	v_dual_mov_b32 v5, 0 :: v_dual_mov_b32 v6, 0
	s_mov_b32 s42, exec_lo
	v_cmpx_lt_u64_e64 s[22:23], v[0:1]
	s_cbranch_execz .LBB6_11998
; %bb.11989:                            ;   in Loop: Header=BB6_9788 Depth=3
	v_lshrrev_b32_e32 v4, 24, v1
	v_bfrev_b32_e32 v6, 1
	s_mov_b32 s43, exec_lo
	s_delay_alu instid0(VALU_DEP_2)
	v_cmpx_ne_u32_e32 0x80, v4
	s_cbranch_execz .LBB6_11997
; %bb.11990:                            ;   in Loop: Header=BB6_9788 Depth=3
	v_and_b32_e32 v6, 0x7c000000, v1
	v_bfe_u32 v7, v1, 24, 2
	s_delay_alu instid0(VALU_DEP_2) | instskip(SKIP_1) | instid1(SALU_CYCLE_1)
	v_cmp_ne_u32_e32 vcc_lo, 0x7c000000, v6
                                        ; implicit-def: $vgpr6
	s_and_saveexec_b32 s13, vcc_lo
	s_xor_b32 s13, exec_lo, s13
	s_cbranch_execz .LBB6_11994
; %bb.11991:                            ;   in Loop: Header=BB6_9788 Depth=3
	v_bfe_u32 v6, v1, 26, 5
	s_mov_b32 s72, exec_lo
	s_delay_alu instid0(VALU_DEP_1)
	v_cmpx_eq_u32_e32 0, v6
; %bb.11992:                            ;   in Loop: Header=BB6_9788 Depth=3
	v_clz_i32_u32_e32 v6, v7
	s_delay_alu instid0(VALU_DEP_1) | instskip(NEXT) | instid1(VALU_DEP_1)
	v_min_u32_e32 v6, 32, v6
	v_subrev_nc_u32_e32 v7, 29, v6
	v_sub_nc_u32_e32 v6, 30, v6
	s_delay_alu instid0(VALU_DEP_2) | instskip(NEXT) | instid1(VALU_DEP_1)
	v_lshlrev_b64_e32 v[102:103], v7, v[4:5]
	v_and_b32_e32 v7, 3, v102
; %bb.11993:                            ;   in Loop: Header=BB6_9788 Depth=3
	s_or_b32 exec_lo, exec_lo, s72
	v_and_b32_e32 v4, 0x80000000, v1
	s_delay_alu instid0(VALU_DEP_1) | instskip(NEXT) | instid1(VALU_DEP_1)
	v_lshl_add_u32 v4, v6, 23, v4
	v_lshl_or_b32 v4, v7, 21, v4
                                        ; implicit-def: $vgpr7
	s_delay_alu instid0(VALU_DEP_1)
	v_add_nc_u32_e32 v6, 0x38000000, v4
.LBB6_11994:                            ;   in Loop: Header=BB6_9788 Depth=3
	s_and_not1_saveexec_b32 s72, s13
; %bb.11995:                            ;   in Loop: Header=BB6_9788 Depth=3
	v_cmp_lt_i64_e64 s13, -1, v[0:1]
	v_mov_b32_e32 v0, 0x7f800000
	v_cmp_eq_u32_e32 vcc_lo, 0, v7
	s_delay_alu instid0(VALU_DEP_2) | instskip(NEXT) | instid1(VALU_DEP_1)
	v_cndmask_b32_e64 v0, 0xff800000, v0, s13
	v_cndmask_b32_e32 v6, 0x7f800001, v0, vcc_lo
; %bb.11996:                            ;   in Loop: Header=BB6_9788 Depth=3
	s_or_b32 exec_lo, exec_lo, s72
.LBB6_11997:                            ;   in Loop: Header=BB6_9788 Depth=3
	s_delay_alu instid0(SALU_CYCLE_1)
	s_or_b32 exec_lo, exec_lo, s43
.LBB6_11998:                            ;   in Loop: Header=BB6_9788 Depth=3
	s_delay_alu instid0(SALU_CYCLE_1) | instskip(NEXT) | instid1(SALU_CYCLE_1)
	s_or_b32 exec_lo, exec_lo, s42
	s_mov_b32 s42, exec_lo
	v_cmpx_lt_u64_e64 s[22:23], v[8:9]
	s_cbranch_execz .LBB6_12008
; %bb.11999:                            ;   in Loop: Header=BB6_9788 Depth=3
	v_lshrrev_b32_e32 v0, 24, v9
	v_bfrev_b32_e32 v5, 1
	s_mov_b32 s43, exec_lo
	s_delay_alu instid0(VALU_DEP_2)
	v_cmpx_ne_u32_e32 0x80, v0
	s_cbranch_execz .LBB6_12007
; %bb.12000:                            ;   in Loop: Header=BB6_9788 Depth=3
	v_and_b32_e32 v4, 0x7c000000, v9
	v_bfe_u32 v1, v9, 24, 2
	s_mov_b32 s13, exec_lo
                                        ; implicit-def: $vgpr5
	s_delay_alu instid0(VALU_DEP_2)
	v_cmpx_ne_u32_e32 0x7c000000, v4
	s_xor_b32 s13, exec_lo, s13
	s_cbranch_execz .LBB6_12004
; %bb.12001:                            ;   in Loop: Header=BB6_9788 Depth=3
	v_bfe_u32 v4, v9, 26, 5
	s_mov_b32 s72, exec_lo
	s_delay_alu instid0(VALU_DEP_1)
	v_cmpx_eq_u32_e32 0, v4
; %bb.12002:                            ;   in Loop: Header=BB6_9788 Depth=3
	v_clz_i32_u32_e32 v1, v1
	s_delay_alu instid0(VALU_DEP_1) | instskip(NEXT) | instid1(VALU_DEP_1)
	v_min_u32_e32 v4, 32, v1
	v_subrev_nc_u32_e32 v1, 29, v4
	v_sub_nc_u32_e32 v4, 30, v4
	s_delay_alu instid0(VALU_DEP_2) | instskip(NEXT) | instid1(VALU_DEP_1)
	v_lshlrev_b64_e32 v[0:1], v1, v[0:1]
	v_and_b32_e32 v1, 3, v0
; %bb.12003:                            ;   in Loop: Header=BB6_9788 Depth=3
	s_or_b32 exec_lo, exec_lo, s72
	v_and_b32_e32 v0, 0x80000000, v9
	s_delay_alu instid0(VALU_DEP_1) | instskip(NEXT) | instid1(VALU_DEP_1)
	v_lshl_add_u32 v0, v4, 23, v0
	v_lshl_or_b32 v0, v1, 21, v0
                                        ; implicit-def: $vgpr1
	s_delay_alu instid0(VALU_DEP_1)
	v_add_nc_u32_e32 v5, 0x38000000, v0
.LBB6_12004:                            ;   in Loop: Header=BB6_9788 Depth=3
	s_and_not1_saveexec_b32 s72, s13
; %bb.12005:                            ;   in Loop: Header=BB6_9788 Depth=3
	v_cmp_lt_i64_e64 s13, -1, v[8:9]
	v_mov_b32_e32 v0, 0x7f800000
	v_cmp_eq_u32_e32 vcc_lo, 0, v1
	s_delay_alu instid0(VALU_DEP_2) | instskip(NEXT) | instid1(VALU_DEP_1)
	v_cndmask_b32_e64 v0, 0xff800000, v0, s13
	v_cndmask_b32_e32 v5, 0x7f800001, v0, vcc_lo
; %bb.12006:                            ;   in Loop: Header=BB6_9788 Depth=3
	s_or_b32 exec_lo, exec_lo, s72
.LBB6_12007:                            ;   in Loop: Header=BB6_9788 Depth=3
	s_delay_alu instid0(SALU_CYCLE_1)
	s_or_b32 exec_lo, exec_lo, s43
.LBB6_12008:                            ;   in Loop: Header=BB6_9788 Depth=3
	s_delay_alu instid0(SALU_CYCLE_1) | instskip(NEXT) | instid1(VALU_DEP_1)
	s_or_b32 exec_lo, exec_lo, s42
	v_dual_mul_f32 v4, v6, v5 :: v_dual_mov_b32 v7, v21
	v_mov_b32_e32 v1, v21
                                        ; implicit-def: $vgpr8
	s_mov_b32 s13, exec_lo
	s_delay_alu instid0(VALU_DEP_2) | instskip(SKIP_2) | instid1(VALU_DEP_3)
	v_and_b32_e32 v6, 0x7f800000, v4
	v_and_b32_e32 v0, 0x7fffff, v4
	v_lshrrev_b32_e32 v5, 24, v4
	v_cmpx_ne_u64_e32 0x7f800000, v[6:7]
	s_xor_b32 s42, exec_lo, s13
	s_cbranch_execz .LBB6_12022
; %bb.12009:                            ;   in Loop: Header=BB6_9788 Depth=3
	v_and_b32_e32 v6, 0x7fffffff, v4
	v_mov_b32_e32 v7, v21
                                        ; implicit-def: $vgpr8
	s_delay_alu instid0(VALU_DEP_1) | instskip(SKIP_2) | instid1(SALU_CYCLE_1)
	v_cmp_gt_u64_e32 vcc_lo, 0x47600001, v[6:7]
	v_and_b32_e32 v6, 0x80, v5
	s_and_saveexec_b32 s13, vcc_lo
	s_xor_b32 s43, exec_lo, s13
	s_cbranch_execz .LBB6_12019
; %bb.12010:                            ;   in Loop: Header=BB6_9788 Depth=3
	v_mov_b32_e32 v8, 0
	s_mov_b32 s72, exec_lo
	v_cmpx_ne_u32_e32 0, v4
	s_cbranch_execz .LBB6_12018
; %bb.12011:                            ;   in Loop: Header=BB6_9788 Depth=3
	v_bfe_u32 v7, v4, 23, 8
	v_or_b32_e32 v5, 0x800000, v0
	s_delay_alu instid0(VALU_DEP_2) | instskip(SKIP_2) | instid1(VALU_DEP_2)
	v_cmp_gt_u32_e64 s13, 0x72, v7
	v_sub_nc_u32_e32 v4, 0x71, v7
	v_cmp_eq_u32_e32 vcc_lo, 0, v7
	v_cndmask_b32_e64 v4, 0, v4, s13
	v_cndmask_b32_e32 v0, v5, v0, vcc_lo
	s_delay_alu instid0(VALU_DEP_2) | instskip(NEXT) | instid1(VALU_DEP_1)
	v_cndmask_b32_e64 v8, v4, 0x70, vcc_lo
	v_dual_add_nc_u32 v4, 21, v8 :: v_dual_add_nc_u32 v9, 20, v8
	s_delay_alu instid0(VALU_DEP_1) | instskip(NEXT) | instid1(VALU_DEP_2)
	v_lshlrev_b64_e64 v[4:5], v4, -1
	v_lshlrev_b64_e64 v[102:103], v9, 1
	s_delay_alu instid0(VALU_DEP_2) | instskip(SKIP_1) | instid1(VALU_DEP_4)
	v_bfi_b32 v4, v4, 0, v0
	v_lshrrev_b64 v[0:1], v8, v[0:1]
	v_bfi_b32 v5, v5, 0, 0
	s_delay_alu instid0(VALU_DEP_1) | instskip(NEXT) | instid1(VALU_DEP_3)
	v_cmp_eq_u64_e64 s13, v[4:5], v[102:103]
	v_mov_b64_e32 v[4:5], v[0:1]
	s_and_saveexec_b32 s73, s13
; %bb.12012:                            ;   in Loop: Header=BB6_9788 Depth=3
	v_bfe_u32 v4, v0, 21, 1
	v_mov_b32_e32 v5, v21
	s_delay_alu instid0(VALU_DEP_1) | instskip(NEXT) | instid1(VALU_DEP_1)
	v_add_nc_u64_e32 v[4:5], v[0:1], v[4:5]
	v_add_nc_u64_e32 v[4:5], -1, v[4:5]
; %bb.12013:                            ;   in Loop: Header=BB6_9788 Depth=3
	s_or_b32 exec_lo, exec_lo, s73
	v_add_nc_u32_e32 v1, 0xffffff81, v7
	v_lshrrev_b32_e32 v5, 23, v0
	s_mov_b32 s13, exec_lo
	s_delay_alu instid0(VALU_DEP_2) | instskip(NEXT) | instid1(VALU_DEP_1)
	v_cndmask_b32_e64 v1, v1, 0xffffff82, vcc_lo
	v_add3_u32 v7, v8, v1, v5
	v_and_b32_e32 v1, 0x1fffff, v4
                                        ; implicit-def: $vgpr4
	s_delay_alu instid0(VALU_DEP_1) | instskip(SKIP_1) | instid1(VALU_DEP_2)
	v_dual_add_nc_u32 v5, 14, v7 :: v_dual_add_nc_u32 v0, v1, v0
	v_mov_b32_e32 v1, v21
	v_cmpx_ne_u32_e32 0, v5
	s_xor_b32 s13, exec_lo, s13
; %bb.12014:                            ;   in Loop: Header=BB6_9788 Depth=3
	s_delay_alu instid0(VALU_DEP_2) | instskip(SKIP_1) | instid1(VALU_DEP_1)
	v_cmp_lt_u64_e32 vcc_lo, 0xffffff, v[0:1]
	v_add_nc_u32_e32 v4, 15, v7
	v_cndmask_b32_e32 v4, v5, v4, vcc_lo
	v_cndmask_b32_e64 v5, 0, 1, vcc_lo
	s_delay_alu instid0(VALU_DEP_1)
	v_lshrrev_b64 v[0:1], v5, v[0:1]
; %bb.12015:                            ;   in Loop: Header=BB6_9788 Depth=3
	s_and_not1_saveexec_b32 s13, s13
; %bb.12016:                            ;   in Loop: Header=BB6_9788 Depth=3
	s_delay_alu instid0(VALU_DEP_1)
	v_bfe_u32 v4, v0, 23, 1
; %bb.12017:                            ;   in Loop: Header=BB6_9788 Depth=3
	s_or_b32 exec_lo, exec_lo, s13
	s_delay_alu instid0(VALU_DEP_2) | instskip(NEXT) | instid1(VALU_DEP_2)
	v_lshrrev_b64 v[0:1], 21, v[0:1]
	v_cmp_gt_i32_e32 vcc_lo, 32, v4
	v_min_i32_e32 v5, 31, v4
	v_cmp_eq_u32_e64 s13, 0, v4
	s_delay_alu instid0(VALU_DEP_4) | instskip(NEXT) | instid1(VALU_DEP_3)
	v_cndmask_b32_e32 v1, 0, v1, vcc_lo
	v_dual_cndmask_b32 v0, 3, v0 :: v_dual_lshlrev_b32 v5, 2, v5
	s_delay_alu instid0(VALU_DEP_1) | instskip(NEXT) | instid1(VALU_DEP_2)
	v_and_b32_e32 v5, 0xfc, v5
	v_cmp_eq_u64_e32 vcc_lo, 0, v[0:1]
	s_delay_alu instid0(VALU_DEP_2)
	v_and_or_b32 v0, v0, 3, v5
	s_and_b32 s13, s13, vcc_lo
	s_delay_alu instid0(VALU_DEP_1) | instid1(SALU_CYCLE_1)
	v_cndmask_b32_e64 v0, v0, 0, s13
	s_delay_alu instid0(VALU_DEP_1)
	v_or_b32_e32 v8, v0, v6
.LBB6_12018:                            ;   in Loop: Header=BB6_9788 Depth=3
	s_or_b32 exec_lo, exec_lo, s72
                                        ; implicit-def: $vgpr6
.LBB6_12019:                            ;   in Loop: Header=BB6_9788 Depth=3
	s_and_not1_saveexec_b32 s13, s43
; %bb.12020:                            ;   in Loop: Header=BB6_9788 Depth=3
	v_or_b32_e32 v8, 0x7b, v6
; %bb.12021:                            ;   in Loop: Header=BB6_9788 Depth=3
	s_or_b32 exec_lo, exec_lo, s13
                                        ; implicit-def: $vgpr4
                                        ; implicit-def: $vgpr0_vgpr1
                                        ; implicit-def: $vgpr5
.LBB6_12022:                            ;   in Loop: Header=BB6_9788 Depth=3
	s_and_not1_saveexec_b32 s13, s42
	s_cbranch_execz .LBB6_12028
; %bb.12023:                            ;   in Loop: Header=BB6_9788 Depth=3
	s_mov_b32 s42, exec_lo
                                        ; implicit-def: $vgpr8
	v_cmpx_ne_u64_e32 0, v[0:1]
	s_xor_b32 s42, exec_lo, s42
; %bb.12024:                            ;   in Loop: Header=BB6_9788 Depth=3
	v_or_b32_e32 v8, 0x7f, v5
                                        ; implicit-def: $vgpr4
; %bb.12025:                            ;   in Loop: Header=BB6_9788 Depth=3
	s_and_not1_saveexec_b32 s42, s42
; %bb.12026:                            ;   in Loop: Header=BB6_9788 Depth=3
	v_cmp_lt_i32_e32 vcc_lo, -1, v4
	v_mov_b32_e32 v0, 0x7c
	s_delay_alu instid0(VALU_DEP_1)
	v_cndmask_b32_e32 v8, 0xfc, v0, vcc_lo
; %bb.12027:                            ;   in Loop: Header=BB6_9788 Depth=3
	s_or_b32 exec_lo, exec_lo, s42
.LBB6_12028:                            ;   in Loop: Header=BB6_9788 Depth=3
	s_delay_alu instid0(SALU_CYCLE_1) | instskip(SKIP_2) | instid1(VALU_DEP_2)
	s_or_b32 exec_lo, exec_lo, s13
	v_and_b32_e32 v1, 0xff, v2
	v_mov_b32_e32 v0, 0
	v_cmp_ne_u16_e32 vcc_lo, 0, v1
	v_mov_b32_e32 v1, 0
	s_and_saveexec_b32 s42, vcc_lo
	s_cbranch_execz .LBB6_12038
; %bb.12029:                            ;   in Loop: Header=BB6_9788 Depth=3
	v_bfe_i32 v5, v2, 0, 8
	v_bfrev_b32_e32 v1, 1
	s_mov_b32 s43, exec_lo
	s_delay_alu instid0(VALU_DEP_2)
	v_cmpx_ne_u16_e32 0xff80, v5
	s_cbranch_execz .LBB6_12037
; %bb.12030:                            ;   in Loop: Header=BB6_9788 Depth=3
	v_and_b32_e32 v1, 0x7c, v2
	v_and_b32_e32 v4, 3, v2
	s_delay_alu instid0(VALU_DEP_2) | instskip(SKIP_1) | instid1(SALU_CYCLE_1)
	v_cmp_ne_u32_e32 vcc_lo, 0x7c, v1
                                        ; implicit-def: $vgpr1
	s_and_saveexec_b32 s13, vcc_lo
	s_xor_b32 s13, exec_lo, s13
	s_cbranch_execz .LBB6_12034
; %bb.12031:                            ;   in Loop: Header=BB6_9788 Depth=3
	v_bfe_u32 v1, v2, 2, 5
	s_mov_b32 s72, exec_lo
	s_delay_alu instid0(VALU_DEP_1)
	v_cmpx_eq_u32_e32 0, v1
; %bb.12032:                            ;   in Loop: Header=BB6_9788 Depth=3
	v_clz_i32_u32_e32 v1, v4
	s_delay_alu instid0(VALU_DEP_1) | instskip(NEXT) | instid1(VALU_DEP_1)
	v_min_u32_e32 v1, 32, v1
	v_subrev_nc_u32_e32 v4, 29, v1
	s_delay_alu instid0(VALU_DEP_1) | instskip(NEXT) | instid1(VALU_DEP_1)
	v_lshlrev_b64_e32 v[4:5], v4, v[2:3]
	v_dual_sub_nc_u32 v1, 30, v1 :: v_dual_bitop2_b32 v4, 3, v4 bitop3:0x40
; %bb.12033:                            ;   in Loop: Header=BB6_9788 Depth=3
	s_or_b32 exec_lo, exec_lo, s72
	v_lshlrev_b32_e32 v5, 24, v2
	s_delay_alu instid0(VALU_DEP_1) | instskip(NEXT) | instid1(VALU_DEP_1)
	v_and_b32_e32 v5, 0x80000000, v5
	v_lshl_add_u32 v1, v1, 23, v5
                                        ; implicit-def: $vgpr5
	s_delay_alu instid0(VALU_DEP_1) | instskip(NEXT) | instid1(VALU_DEP_1)
	v_lshl_or_b32 v1, v4, 21, v1
                                        ; implicit-def: $vgpr4
	v_add_nc_u32_e32 v1, 0x38000000, v1
.LBB6_12034:                            ;   in Loop: Header=BB6_9788 Depth=3
	s_and_not1_saveexec_b32 s72, s13
; %bb.12035:                            ;   in Loop: Header=BB6_9788 Depth=3
	v_cmp_lt_i16_e64 s13, -1, v5
	v_mov_b32_e32 v1, 0x7f800000
	v_cmp_eq_u32_e32 vcc_lo, 0, v4
	s_delay_alu instid0(VALU_DEP_2) | instskip(NEXT) | instid1(VALU_DEP_1)
	v_cndmask_b32_e64 v1, 0xff800000, v1, s13
	v_cndmask_b32_e32 v1, 0x7f800001, v1, vcc_lo
; %bb.12036:                            ;   in Loop: Header=BB6_9788 Depth=3
	s_or_b32 exec_lo, exec_lo, s72
.LBB6_12037:                            ;   in Loop: Header=BB6_9788 Depth=3
	s_delay_alu instid0(SALU_CYCLE_1)
	s_or_b32 exec_lo, exec_lo, s43
.LBB6_12038:                            ;   in Loop: Header=BB6_9788 Depth=3
	s_delay_alu instid0(SALU_CYCLE_1) | instskip(SKIP_2) | instid1(VALU_DEP_1)
	s_or_b32 exec_lo, exec_lo, s42
	v_and_b32_e32 v4, 0xff, v10
	s_mov_b32 s42, exec_lo
	v_cmpx_ne_u16_e32 0, v4
	s_cbranch_execz .LBB6_12048
; %bb.12039:                            ;   in Loop: Header=BB6_9788 Depth=3
	v_bfe_i32 v5, v10, 0, 8
	v_bfrev_b32_e32 v0, 1
	s_mov_b32 s43, exec_lo
	s_delay_alu instid0(VALU_DEP_2)
	v_cmpx_ne_u16_e32 0xff80, v5
	s_cbranch_execz .LBB6_12047
; %bb.12040:                            ;   in Loop: Header=BB6_9788 Depth=3
	v_and_b32_e32 v0, 0x7c, v10
	v_and_b32_e32 v4, 3, v10
	s_delay_alu instid0(VALU_DEP_2) | instskip(SKIP_1) | instid1(SALU_CYCLE_1)
	v_cmp_ne_u32_e32 vcc_lo, 0x7c, v0
                                        ; implicit-def: $vgpr0
	s_and_saveexec_b32 s13, vcc_lo
	s_xor_b32 s13, exec_lo, s13
	s_cbranch_execz .LBB6_12044
; %bb.12041:                            ;   in Loop: Header=BB6_9788 Depth=3
	v_bfe_u32 v0, v10, 2, 5
	s_mov_b32 s72, exec_lo
	s_delay_alu instid0(VALU_DEP_1)
	v_cmpx_eq_u32_e32 0, v0
; %bb.12042:                            ;   in Loop: Header=BB6_9788 Depth=3
	v_clz_i32_u32_e32 v0, v4
	s_delay_alu instid0(VALU_DEP_1) | instskip(NEXT) | instid1(VALU_DEP_1)
	v_min_u32_e32 v0, 32, v0
	v_subrev_nc_u32_e32 v4, 29, v0
	v_sub_nc_u32_e32 v0, 30, v0
	s_delay_alu instid0(VALU_DEP_2) | instskip(NEXT) | instid1(VALU_DEP_1)
	v_lshlrev_b64_e32 v[4:5], v4, v[10:11]
	v_and_b32_e32 v4, 3, v4
; %bb.12043:                            ;   in Loop: Header=BB6_9788 Depth=3
	s_or_b32 exec_lo, exec_lo, s72
	v_lshlrev_b32_e32 v5, 24, v10
	s_delay_alu instid0(VALU_DEP_1) | instskip(NEXT) | instid1(VALU_DEP_1)
	v_and_b32_e32 v5, 0x80000000, v5
	v_lshl_add_u32 v0, v0, 23, v5
                                        ; implicit-def: $vgpr5
	s_delay_alu instid0(VALU_DEP_1) | instskip(NEXT) | instid1(VALU_DEP_1)
	v_lshl_or_b32 v0, v4, 21, v0
                                        ; implicit-def: $vgpr4
	v_add_nc_u32_e32 v0, 0x38000000, v0
.LBB6_12044:                            ;   in Loop: Header=BB6_9788 Depth=3
	s_and_not1_saveexec_b32 s72, s13
; %bb.12045:                            ;   in Loop: Header=BB6_9788 Depth=3
	v_cmp_lt_i16_e64 s13, -1, v5
	v_mov_b32_e32 v0, 0x7f800000
	v_cmp_eq_u32_e32 vcc_lo, 0, v4
	s_delay_alu instid0(VALU_DEP_2) | instskip(NEXT) | instid1(VALU_DEP_1)
	v_cndmask_b32_e64 v0, 0xff800000, v0, s13
	v_cndmask_b32_e32 v0, 0x7f800001, v0, vcc_lo
; %bb.12046:                            ;   in Loop: Header=BB6_9788 Depth=3
	s_or_b32 exec_lo, exec_lo, s72
.LBB6_12047:                            ;   in Loop: Header=BB6_9788 Depth=3
	s_delay_alu instid0(SALU_CYCLE_1)
	s_or_b32 exec_lo, exec_lo, s43
.LBB6_12048:                            ;   in Loop: Header=BB6_9788 Depth=3
	s_delay_alu instid0(SALU_CYCLE_1) | instskip(NEXT) | instid1(VALU_DEP_1)
	s_or_b32 exec_lo, exec_lo, s42
	v_mul_f32_e32 v4, v1, v0
	v_dual_mov_b32 v7, v21 :: v_dual_mov_b32 v1, v21
                                        ; implicit-def: $vgpr9
	s_mov_b32 s13, exec_lo
	s_delay_alu instid0(VALU_DEP_2) | instskip(SKIP_2) | instid1(VALU_DEP_3)
	v_and_b32_e32 v6, 0x7f800000, v4
	v_and_b32_e32 v0, 0x7fffff, v4
	v_lshrrev_b32_e32 v5, 24, v4
	v_cmpx_ne_u64_e32 0x7f800000, v[6:7]
	s_xor_b32 s42, exec_lo, s13
	s_cbranch_execz .LBB6_12062
; %bb.12049:                            ;   in Loop: Header=BB6_9788 Depth=3
	v_and_b32_e32 v6, 0x7fffffff, v4
	v_mov_b32_e32 v7, v21
                                        ; implicit-def: $vgpr9
	s_delay_alu instid0(VALU_DEP_1) | instskip(SKIP_2) | instid1(SALU_CYCLE_1)
	v_cmp_gt_u64_e32 vcc_lo, 0x47600001, v[6:7]
	v_and_b32_e32 v6, 0x80, v5
	s_and_saveexec_b32 s13, vcc_lo
	s_xor_b32 s43, exec_lo, s13
	s_cbranch_execz .LBB6_12059
; %bb.12050:                            ;   in Loop: Header=BB6_9788 Depth=3
	v_mov_b32_e32 v9, 0
	s_mov_b32 s72, exec_lo
	v_cmpx_ne_u32_e32 0, v4
	s_cbranch_execz .LBB6_12058
; %bb.12051:                            ;   in Loop: Header=BB6_9788 Depth=3
	v_bfe_u32 v7, v4, 23, 8
	v_or_b32_e32 v5, 0x800000, v0
	s_delay_alu instid0(VALU_DEP_2) | instskip(SKIP_2) | instid1(VALU_DEP_2)
	v_cmp_gt_u32_e64 s13, 0x72, v7
	v_sub_nc_u32_e32 v4, 0x71, v7
	v_cmp_eq_u32_e32 vcc_lo, 0, v7
	v_cndmask_b32_e64 v4, 0, v4, s13
	s_delay_alu instid0(VALU_DEP_1) | instskip(NEXT) | instid1(VALU_DEP_1)
	v_cndmask_b32_e64 v9, v4, 0x70, vcc_lo
	v_dual_cndmask_b32 v0, v5, v0, vcc_lo :: v_dual_add_nc_u32 v4, 21, v9
	v_add_nc_u32_e32 v102, 20, v9
	s_delay_alu instid0(VALU_DEP_2) | instskip(NEXT) | instid1(VALU_DEP_2)
	v_lshlrev_b64_e64 v[4:5], v4, -1
	v_lshlrev_b64_e64 v[102:103], v102, 1
	s_delay_alu instid0(VALU_DEP_2) | instskip(SKIP_1) | instid1(VALU_DEP_4)
	v_bfi_b32 v4, v4, 0, v0
	v_lshrrev_b64 v[0:1], v9, v[0:1]
	v_bfi_b32 v5, v5, 0, 0
	s_delay_alu instid0(VALU_DEP_1) | instskip(NEXT) | instid1(VALU_DEP_3)
	v_cmp_eq_u64_e64 s13, v[4:5], v[102:103]
	v_mov_b64_e32 v[4:5], v[0:1]
	s_and_saveexec_b32 s73, s13
; %bb.12052:                            ;   in Loop: Header=BB6_9788 Depth=3
	v_bfe_u32 v4, v0, 21, 1
	v_mov_b32_e32 v5, v21
	s_delay_alu instid0(VALU_DEP_1) | instskip(NEXT) | instid1(VALU_DEP_1)
	v_add_nc_u64_e32 v[4:5], v[0:1], v[4:5]
	v_add_nc_u64_e32 v[4:5], -1, v[4:5]
; %bb.12053:                            ;   in Loop: Header=BB6_9788 Depth=3
	s_or_b32 exec_lo, exec_lo, s73
	v_add_nc_u32_e32 v1, 0xffffff81, v7
	v_lshrrev_b32_e32 v5, 23, v0
	s_mov_b32 s13, exec_lo
	s_delay_alu instid0(VALU_DEP_2) | instskip(NEXT) | instid1(VALU_DEP_1)
	v_cndmask_b32_e64 v1, v1, 0xffffff82, vcc_lo
	v_add3_u32 v7, v9, v1, v5
	v_and_b32_e32 v1, 0x1fffff, v4
                                        ; implicit-def: $vgpr4
	s_delay_alu instid0(VALU_DEP_1) | instskip(SKIP_1) | instid1(VALU_DEP_2)
	v_dual_add_nc_u32 v5, 14, v7 :: v_dual_add_nc_u32 v0, v1, v0
	v_mov_b32_e32 v1, v21
	v_cmpx_ne_u32_e32 0, v5
	s_xor_b32 s13, exec_lo, s13
; %bb.12054:                            ;   in Loop: Header=BB6_9788 Depth=3
	s_delay_alu instid0(VALU_DEP_2) | instskip(SKIP_1) | instid1(VALU_DEP_1)
	v_cmp_lt_u64_e32 vcc_lo, 0xffffff, v[0:1]
	v_add_nc_u32_e32 v4, 15, v7
	v_cndmask_b32_e32 v4, v5, v4, vcc_lo
	v_cndmask_b32_e64 v5, 0, 1, vcc_lo
	s_delay_alu instid0(VALU_DEP_1)
	v_lshrrev_b64 v[0:1], v5, v[0:1]
; %bb.12055:                            ;   in Loop: Header=BB6_9788 Depth=3
	s_and_not1_saveexec_b32 s13, s13
; %bb.12056:                            ;   in Loop: Header=BB6_9788 Depth=3
	s_delay_alu instid0(VALU_DEP_1)
	v_bfe_u32 v4, v0, 23, 1
; %bb.12057:                            ;   in Loop: Header=BB6_9788 Depth=3
	s_or_b32 exec_lo, exec_lo, s13
	s_delay_alu instid0(VALU_DEP_2) | instskip(NEXT) | instid1(VALU_DEP_2)
	v_lshrrev_b64 v[0:1], 21, v[0:1]
	v_cmp_gt_i32_e32 vcc_lo, 32, v4
	v_min_i32_e32 v5, 31, v4
	v_cmp_eq_u32_e64 s13, 0, v4
	s_delay_alu instid0(VALU_DEP_4) | instskip(NEXT) | instid1(VALU_DEP_3)
	v_cndmask_b32_e32 v1, 0, v1, vcc_lo
	v_dual_cndmask_b32 v0, 3, v0 :: v_dual_lshlrev_b32 v5, 2, v5
	s_delay_alu instid0(VALU_DEP_1) | instskip(NEXT) | instid1(VALU_DEP_2)
	v_and_b32_e32 v5, 0xfc, v5
	v_cmp_eq_u64_e32 vcc_lo, 0, v[0:1]
	s_delay_alu instid0(VALU_DEP_2)
	v_and_or_b32 v0, v0, 3, v5
	s_and_b32 s13, s13, vcc_lo
	s_delay_alu instid0(VALU_DEP_1) | instid1(SALU_CYCLE_1)
	v_cndmask_b32_e64 v0, v0, 0, s13
	s_delay_alu instid0(VALU_DEP_1)
	v_or_b32_e32 v9, v0, v6
.LBB6_12058:                            ;   in Loop: Header=BB6_9788 Depth=3
	s_or_b32 exec_lo, exec_lo, s72
                                        ; implicit-def: $vgpr6
.LBB6_12059:                            ;   in Loop: Header=BB6_9788 Depth=3
	s_and_not1_saveexec_b32 s13, s43
; %bb.12060:                            ;   in Loop: Header=BB6_9788 Depth=3
	v_or_b32_e32 v9, 0x7b, v6
; %bb.12061:                            ;   in Loop: Header=BB6_9788 Depth=3
	s_or_b32 exec_lo, exec_lo, s13
                                        ; implicit-def: $vgpr4
                                        ; implicit-def: $vgpr0_vgpr1
                                        ; implicit-def: $vgpr5
.LBB6_12062:                            ;   in Loop: Header=BB6_9788 Depth=3
	s_and_not1_saveexec_b32 s13, s42
	s_cbranch_execz .LBB6_12068
; %bb.12063:                            ;   in Loop: Header=BB6_9788 Depth=3
	s_mov_b32 s42, exec_lo
                                        ; implicit-def: $vgpr9
	v_cmpx_ne_u64_e32 0, v[0:1]
	s_xor_b32 s42, exec_lo, s42
; %bb.12064:                            ;   in Loop: Header=BB6_9788 Depth=3
	v_or_b32_e32 v9, 0x7f, v5
                                        ; implicit-def: $vgpr4
; %bb.12065:                            ;   in Loop: Header=BB6_9788 Depth=3
	s_and_not1_saveexec_b32 s42, s42
; %bb.12066:                            ;   in Loop: Header=BB6_9788 Depth=3
	v_cmp_lt_i32_e32 vcc_lo, -1, v4
	v_mov_b32_e32 v0, 0x7c
	s_delay_alu instid0(VALU_DEP_1)
	v_cndmask_b32_e32 v9, 0xfc, v0, vcc_lo
; %bb.12067:                            ;   in Loop: Header=BB6_9788 Depth=3
	s_or_b32 exec_lo, exec_lo, s42
.LBB6_12068:                            ;   in Loop: Header=BB6_9788 Depth=3
	s_delay_alu instid0(SALU_CYCLE_1) | instskip(SKIP_3) | instid1(VALU_DEP_2)
	s_or_b32 exec_lo, exec_lo, s13
	v_lshrrev_b16 v0, 8, v2
	v_dual_mov_b32 v4, 0 :: v_dual_mov_b32 v5, 0
	s_mov_b32 s42, exec_lo
	v_cmpx_ne_u16_e32 0, v0
	s_cbranch_execz .LBB6_12078
; %bb.12069:                            ;   in Loop: Header=BB6_9788 Depth=3
	v_bfrev_b32_e32 v5, 1
	s_mov_b32 s43, exec_lo
	v_cmpx_ne_u16_e32 0x80, v0
	s_cbranch_execz .LBB6_12077
; %bb.12070:                            ;   in Loop: Header=BB6_9788 Depth=3
	v_and_b32_e32 v6, 0xffff, v0
	s_delay_alu instid0(VALU_DEP_1) | instskip(SKIP_1) | instid1(VALU_DEP_2)
	v_and_b32_e32 v5, 0x7c, v6
	v_and_b32_e32 v1, 3, v6
	v_cmp_ne_u32_e32 vcc_lo, 0x7c, v5
                                        ; implicit-def: $vgpr5
	s_and_saveexec_b32 s13, vcc_lo
	s_delay_alu instid0(SALU_CYCLE_1)
	s_xor_b32 s13, exec_lo, s13
	s_cbranch_execz .LBB6_12074
; %bb.12071:                            ;   in Loop: Header=BB6_9788 Depth=3
	v_bfe_u32 v5, v6, 2, 5
	s_mov_b32 s72, exec_lo
	s_delay_alu instid0(VALU_DEP_1)
	v_cmpx_eq_u32_e32 0, v5
	s_cbranch_execz .LBB6_12073
; %bb.12072:                            ;   in Loop: Header=BB6_9788 Depth=3
	v_clz_i32_u32_e32 v1, v1
	s_delay_alu instid0(VALU_DEP_1) | instskip(SKIP_1) | instid1(VALU_DEP_2)
	v_min_u32_e32 v5, 32, v1
	v_mov_b32_e32 v1, v21
	v_subrev_nc_u32_e32 v6, 29, v5
	v_sub_nc_u32_e32 v5, 30, v5
	s_delay_alu instid0(VALU_DEP_2) | instskip(NEXT) | instid1(VALU_DEP_1)
	v_lshlrev_b64_e32 v[0:1], v6, v[0:1]
	v_and_b32_e32 v1, 3, v0
.LBB6_12073:                            ;   in Loop: Header=BB6_9788 Depth=3
	s_or_b32 exec_lo, exec_lo, s72
	v_lshlrev_b32_e32 v0, 16, v2
	s_delay_alu instid0(VALU_DEP_1) | instskip(NEXT) | instid1(VALU_DEP_1)
	v_and_b32_e32 v0, 0x80000000, v0
	v_lshl_add_u32 v0, v5, 23, v0
	s_delay_alu instid0(VALU_DEP_1) | instskip(NEXT) | instid1(VALU_DEP_1)
	v_lshl_or_b32 v0, v1, 21, v0
                                        ; implicit-def: $vgpr1
	v_add_nc_u32_e32 v5, 0x38000000, v0
.LBB6_12074:                            ;   in Loop: Header=BB6_9788 Depth=3
	s_and_not1_saveexec_b32 s72, s13
; %bb.12075:                            ;   in Loop: Header=BB6_9788 Depth=3
	v_cmp_lt_i16_e64 s13, -1, v2
	v_mov_b32_e32 v0, 0x7f800000
	v_cmp_eq_u32_e32 vcc_lo, 0, v1
	s_delay_alu instid0(VALU_DEP_2) | instskip(NEXT) | instid1(VALU_DEP_1)
	v_cndmask_b32_e64 v0, 0xff800000, v0, s13
	v_cndmask_b32_e32 v5, 0x7f800001, v0, vcc_lo
; %bb.12076:                            ;   in Loop: Header=BB6_9788 Depth=3
	s_or_b32 exec_lo, exec_lo, s72
.LBB6_12077:                            ;   in Loop: Header=BB6_9788 Depth=3
	s_delay_alu instid0(SALU_CYCLE_1)
	s_or_b32 exec_lo, exec_lo, s43
.LBB6_12078:                            ;   in Loop: Header=BB6_9788 Depth=3
	s_delay_alu instid0(SALU_CYCLE_1) | instskip(SKIP_2) | instid1(VALU_DEP_1)
	s_or_b32 exec_lo, exec_lo, s42
	v_lshrrev_b16 v0, 8, v10
	s_mov_b32 s42, exec_lo
	v_cmpx_ne_u16_e32 0, v0
	s_cbranch_execz .LBB6_12088
; %bb.12079:                            ;   in Loop: Header=BB6_9788 Depth=3
	v_bfrev_b32_e32 v4, 1
	s_mov_b32 s43, exec_lo
	v_cmpx_ne_u16_e32 0x80, v0
	s_cbranch_execz .LBB6_12087
; %bb.12080:                            ;   in Loop: Header=BB6_9788 Depth=3
	v_and_b32_e32 v6, 0xffff, v0
	s_delay_alu instid0(VALU_DEP_1) | instskip(SKIP_1) | instid1(VALU_DEP_2)
	v_and_b32_e32 v4, 0x7c, v6
	v_and_b32_e32 v1, 3, v6
	v_cmp_ne_u32_e32 vcc_lo, 0x7c, v4
                                        ; implicit-def: $vgpr4
	s_and_saveexec_b32 s13, vcc_lo
	s_delay_alu instid0(SALU_CYCLE_1)
	s_xor_b32 s13, exec_lo, s13
	s_cbranch_execz .LBB6_12084
; %bb.12081:                            ;   in Loop: Header=BB6_9788 Depth=3
	v_bfe_u32 v4, v6, 2, 5
	s_mov_b32 s72, exec_lo
	s_delay_alu instid0(VALU_DEP_1)
	v_cmpx_eq_u32_e32 0, v4
	s_cbranch_execz .LBB6_12083
; %bb.12082:                            ;   in Loop: Header=BB6_9788 Depth=3
	v_clz_i32_u32_e32 v1, v1
	s_delay_alu instid0(VALU_DEP_1) | instskip(SKIP_1) | instid1(VALU_DEP_2)
	v_min_u32_e32 v4, 32, v1
	v_mov_b32_e32 v1, v21
	v_subrev_nc_u32_e32 v6, 29, v4
	v_sub_nc_u32_e32 v4, 30, v4
	s_delay_alu instid0(VALU_DEP_2) | instskip(NEXT) | instid1(VALU_DEP_1)
	v_lshlrev_b64_e32 v[0:1], v6, v[0:1]
	v_and_b32_e32 v1, 3, v0
.LBB6_12083:                            ;   in Loop: Header=BB6_9788 Depth=3
	s_or_b32 exec_lo, exec_lo, s72
	v_lshlrev_b32_e32 v0, 16, v10
	s_delay_alu instid0(VALU_DEP_1) | instskip(NEXT) | instid1(VALU_DEP_1)
	v_and_b32_e32 v0, 0x80000000, v0
	v_lshl_add_u32 v0, v4, 23, v0
	s_delay_alu instid0(VALU_DEP_1) | instskip(NEXT) | instid1(VALU_DEP_1)
	v_lshl_or_b32 v0, v1, 21, v0
                                        ; implicit-def: $vgpr1
	v_add_nc_u32_e32 v4, 0x38000000, v0
.LBB6_12084:                            ;   in Loop: Header=BB6_9788 Depth=3
	s_and_not1_saveexec_b32 s72, s13
; %bb.12085:                            ;   in Loop: Header=BB6_9788 Depth=3
	v_cmp_lt_i16_e64 s13, -1, v10
	v_mov_b32_e32 v0, 0x7f800000
	v_cmp_eq_u32_e32 vcc_lo, 0, v1
	s_delay_alu instid0(VALU_DEP_2) | instskip(NEXT) | instid1(VALU_DEP_1)
	v_cndmask_b32_e64 v0, 0xff800000, v0, s13
	v_cndmask_b32_e32 v4, 0x7f800001, v0, vcc_lo
; %bb.12086:                            ;   in Loop: Header=BB6_9788 Depth=3
	s_or_b32 exec_lo, exec_lo, s72
.LBB6_12087:                            ;   in Loop: Header=BB6_9788 Depth=3
	s_delay_alu instid0(SALU_CYCLE_1)
	s_or_b32 exec_lo, exec_lo, s43
.LBB6_12088:                            ;   in Loop: Header=BB6_9788 Depth=3
	s_delay_alu instid0(SALU_CYCLE_1) | instskip(NEXT) | instid1(VALU_DEP_1)
	s_or_b32 exec_lo, exec_lo, s42
	v_mul_f32_e32 v4, v5, v4
	v_dual_mov_b32 v7, v21 :: v_dual_mov_b32 v1, v21
                                        ; implicit-def: $vgpr102
	s_mov_b32 s13, exec_lo
	s_delay_alu instid0(VALU_DEP_2) | instskip(SKIP_2) | instid1(VALU_DEP_3)
	v_and_b32_e32 v6, 0x7f800000, v4
	v_and_b32_e32 v0, 0x7fffff, v4
	v_lshrrev_b32_e32 v5, 24, v4
	v_cmpx_ne_u64_e32 0x7f800000, v[6:7]
	s_xor_b32 s42, exec_lo, s13
	s_cbranch_execz .LBB6_12102
; %bb.12089:                            ;   in Loop: Header=BB6_9788 Depth=3
	v_and_b32_e32 v6, 0x7fffffff, v4
	v_mov_b32_e32 v7, v21
                                        ; implicit-def: $vgpr102
	s_delay_alu instid0(VALU_DEP_1) | instskip(SKIP_2) | instid1(SALU_CYCLE_1)
	v_cmp_gt_u64_e32 vcc_lo, 0x47600001, v[6:7]
	v_and_b32_e32 v6, 0x80, v5
	s_and_saveexec_b32 s13, vcc_lo
	s_xor_b32 s43, exec_lo, s13
	s_cbranch_execz .LBB6_12099
; %bb.12090:                            ;   in Loop: Header=BB6_9788 Depth=3
	v_mov_b32_e32 v102, 0
	s_mov_b32 s72, exec_lo
	v_cmpx_ne_u32_e32 0, v4
	s_cbranch_execz .LBB6_12098
; %bb.12091:                            ;   in Loop: Header=BB6_9788 Depth=3
	v_bfe_u32 v7, v4, 23, 8
	v_or_b32_e32 v5, 0x800000, v0
	s_delay_alu instid0(VALU_DEP_2) | instskip(SKIP_2) | instid1(VALU_DEP_2)
	v_cmp_gt_u32_e64 s13, 0x72, v7
	v_sub_nc_u32_e32 v4, 0x71, v7
	v_cmp_eq_u32_e32 vcc_lo, 0, v7
	v_cndmask_b32_e64 v4, 0, v4, s13
	s_delay_alu instid0(VALU_DEP_1) | instskip(NEXT) | instid1(VALU_DEP_1)
	v_cndmask_b32_e64 v102, v4, 0x70, vcc_lo
	v_dual_cndmask_b32 v0, v5, v0, vcc_lo :: v_dual_add_nc_u32 v4, 21, v102
	v_add_nc_u32_e32 v103, 20, v102
	s_delay_alu instid0(VALU_DEP_2) | instskip(NEXT) | instid1(VALU_DEP_2)
	v_lshlrev_b64_e64 v[4:5], v4, -1
	v_lshlrev_b64_e64 v[112:113], v103, 1
	s_delay_alu instid0(VALU_DEP_2) | instskip(SKIP_1) | instid1(VALU_DEP_4)
	v_bfi_b32 v4, v4, 0, v0
	v_lshrrev_b64 v[0:1], v102, v[0:1]
	v_bfi_b32 v5, v5, 0, 0
	s_delay_alu instid0(VALU_DEP_1) | instskip(NEXT) | instid1(VALU_DEP_3)
	v_cmp_eq_u64_e64 s13, v[4:5], v[112:113]
	v_mov_b64_e32 v[4:5], v[0:1]
	s_and_saveexec_b32 s73, s13
; %bb.12092:                            ;   in Loop: Header=BB6_9788 Depth=3
	v_bfe_u32 v4, v0, 21, 1
	v_mov_b32_e32 v5, v21
	s_delay_alu instid0(VALU_DEP_1) | instskip(NEXT) | instid1(VALU_DEP_1)
	v_add_nc_u64_e32 v[4:5], v[0:1], v[4:5]
	v_add_nc_u64_e32 v[4:5], -1, v[4:5]
; %bb.12093:                            ;   in Loop: Header=BB6_9788 Depth=3
	s_or_b32 exec_lo, exec_lo, s73
	v_add_nc_u32_e32 v1, 0xffffff81, v7
	v_lshrrev_b32_e32 v5, 23, v0
	s_mov_b32 s13, exec_lo
	s_delay_alu instid0(VALU_DEP_2) | instskip(NEXT) | instid1(VALU_DEP_1)
	v_cndmask_b32_e64 v1, v1, 0xffffff82, vcc_lo
	v_add3_u32 v7, v102, v1, v5
	v_and_b32_e32 v1, 0x1fffff, v4
                                        ; implicit-def: $vgpr4
	s_delay_alu instid0(VALU_DEP_1) | instskip(SKIP_1) | instid1(VALU_DEP_2)
	v_dual_add_nc_u32 v5, 14, v7 :: v_dual_add_nc_u32 v0, v1, v0
	v_mov_b32_e32 v1, v21
	v_cmpx_ne_u32_e32 0, v5
	s_xor_b32 s13, exec_lo, s13
; %bb.12094:                            ;   in Loop: Header=BB6_9788 Depth=3
	s_delay_alu instid0(VALU_DEP_2) | instskip(SKIP_1) | instid1(VALU_DEP_1)
	v_cmp_lt_u64_e32 vcc_lo, 0xffffff, v[0:1]
	v_add_nc_u32_e32 v4, 15, v7
	v_cndmask_b32_e32 v4, v5, v4, vcc_lo
	v_cndmask_b32_e64 v5, 0, 1, vcc_lo
	s_delay_alu instid0(VALU_DEP_1)
	v_lshrrev_b64 v[0:1], v5, v[0:1]
; %bb.12095:                            ;   in Loop: Header=BB6_9788 Depth=3
	s_and_not1_saveexec_b32 s13, s13
; %bb.12096:                            ;   in Loop: Header=BB6_9788 Depth=3
	s_delay_alu instid0(VALU_DEP_1)
	v_bfe_u32 v4, v0, 23, 1
; %bb.12097:                            ;   in Loop: Header=BB6_9788 Depth=3
	s_or_b32 exec_lo, exec_lo, s13
	s_delay_alu instid0(VALU_DEP_2) | instskip(NEXT) | instid1(VALU_DEP_2)
	v_lshrrev_b64 v[0:1], 21, v[0:1]
	v_cmp_gt_i32_e32 vcc_lo, 32, v4
	v_min_i32_e32 v5, 31, v4
	v_cmp_eq_u32_e64 s13, 0, v4
	s_delay_alu instid0(VALU_DEP_4) | instskip(NEXT) | instid1(VALU_DEP_3)
	v_cndmask_b32_e32 v1, 0, v1, vcc_lo
	v_dual_cndmask_b32 v0, 3, v0 :: v_dual_lshlrev_b32 v5, 2, v5
	s_delay_alu instid0(VALU_DEP_1) | instskip(NEXT) | instid1(VALU_DEP_2)
	v_and_b32_e32 v5, 0xfc, v5
	v_cmp_eq_u64_e32 vcc_lo, 0, v[0:1]
	s_delay_alu instid0(VALU_DEP_2)
	v_and_or_b32 v0, v0, 3, v5
	s_and_b32 s13, s13, vcc_lo
	s_delay_alu instid0(VALU_DEP_1) | instid1(SALU_CYCLE_1)
	v_cndmask_b32_e64 v0, v0, 0, s13
	s_delay_alu instid0(VALU_DEP_1)
	v_or_b32_e32 v102, v0, v6
.LBB6_12098:                            ;   in Loop: Header=BB6_9788 Depth=3
	s_or_b32 exec_lo, exec_lo, s72
                                        ; implicit-def: $vgpr6
.LBB6_12099:                            ;   in Loop: Header=BB6_9788 Depth=3
	s_and_not1_saveexec_b32 s13, s43
; %bb.12100:                            ;   in Loop: Header=BB6_9788 Depth=3
	v_or_b32_e32 v102, 0x7b, v6
; %bb.12101:                            ;   in Loop: Header=BB6_9788 Depth=3
	s_or_b32 exec_lo, exec_lo, s13
                                        ; implicit-def: $vgpr4
                                        ; implicit-def: $vgpr0_vgpr1
                                        ; implicit-def: $vgpr5
.LBB6_12102:                            ;   in Loop: Header=BB6_9788 Depth=3
	s_and_not1_saveexec_b32 s13, s42
	s_cbranch_execz .LBB6_12108
; %bb.12103:                            ;   in Loop: Header=BB6_9788 Depth=3
	s_mov_b32 s42, exec_lo
                                        ; implicit-def: $vgpr102
	v_cmpx_ne_u64_e32 0, v[0:1]
	s_xor_b32 s42, exec_lo, s42
; %bb.12104:                            ;   in Loop: Header=BB6_9788 Depth=3
	v_or_b32_e32 v102, 0x7f, v5
                                        ; implicit-def: $vgpr4
; %bb.12105:                            ;   in Loop: Header=BB6_9788 Depth=3
	s_and_not1_saveexec_b32 s42, s42
; %bb.12106:                            ;   in Loop: Header=BB6_9788 Depth=3
	v_cmp_lt_i32_e32 vcc_lo, -1, v4
	v_mov_b32_e32 v0, 0x7c
	s_delay_alu instid0(VALU_DEP_1)
	v_cndmask_b32_e32 v102, 0xfc, v0, vcc_lo
; %bb.12107:                            ;   in Loop: Header=BB6_9788 Depth=3
	s_or_b32 exec_lo, exec_lo, s42
.LBB6_12108:                            ;   in Loop: Header=BB6_9788 Depth=3
	s_delay_alu instid0(SALU_CYCLE_1) | instskip(SKIP_3) | instid1(VALU_DEP_2)
	s_or_b32 exec_lo, exec_lo, s13
	v_dual_mov_b32 v1, 0 :: v_dual_lshrrev_b32 v0, 16, v2
	v_mov_b32_e32 v4, 0
	s_mov_b32 s42, exec_lo
	v_and_b32_e32 v5, 0xff, v0
	s_delay_alu instid0(VALU_DEP_1)
	v_cmpx_ne_u16_e32 0, v5
	s_cbranch_execz .LBB6_12118
; %bb.12109:                            ;   in Loop: Header=BB6_9788 Depth=3
	v_bfrev_b32_e32 v4, 1
	s_mov_b32 s43, exec_lo
	v_cmpx_ne_u16_e32 0x80, v5
	s_cbranch_execz .LBB6_12117
; %bb.12110:                            ;   in Loop: Header=BB6_9788 Depth=3
	v_and_b32_e32 v4, 0x7c0000, v2
	v_bfe_u32 v5, v2, 16, 2
	s_delay_alu instid0(VALU_DEP_2) | instskip(SKIP_1) | instid1(SALU_CYCLE_1)
	v_cmp_ne_u32_e32 vcc_lo, 0x7c0000, v4
                                        ; implicit-def: $vgpr4
	s_and_saveexec_b32 s13, vcc_lo
	s_xor_b32 s13, exec_lo, s13
	s_cbranch_execz .LBB6_12114
; %bb.12111:                            ;   in Loop: Header=BB6_9788 Depth=3
	v_bfe_u32 v4, v2, 18, 5
	s_mov_b32 s72, exec_lo
	s_delay_alu instid0(VALU_DEP_1)
	v_cmpx_eq_u32_e32 0, v4
; %bb.12112:                            ;   in Loop: Header=BB6_9788 Depth=3
	v_clz_i32_u32_e32 v4, v5
	s_delay_alu instid0(VALU_DEP_1) | instskip(NEXT) | instid1(VALU_DEP_1)
	v_min_u32_e32 v4, 32, v4
	v_subrev_nc_u32_e32 v5, 29, v4
	s_delay_alu instid0(VALU_DEP_1) | instskip(NEXT) | instid1(VALU_DEP_1)
	v_lshlrev_b64_e32 v[6:7], v5, v[0:1]
	v_dual_sub_nc_u32 v4, 30, v4 :: v_dual_bitop2_b32 v5, 3, v6 bitop3:0x40
; %bb.12113:                            ;   in Loop: Header=BB6_9788 Depth=3
	s_or_b32 exec_lo, exec_lo, s72
	v_lshlrev_b32_e32 v0, 24, v0
	s_delay_alu instid0(VALU_DEP_1) | instskip(NEXT) | instid1(VALU_DEP_1)
	v_and_b32_e32 v0, 0x80000000, v0
	v_lshl_add_u32 v0, v4, 23, v0
	s_delay_alu instid0(VALU_DEP_1) | instskip(NEXT) | instid1(VALU_DEP_1)
	v_lshl_or_b32 v0, v5, 21, v0
                                        ; implicit-def: $vgpr5
	v_add_nc_u32_e32 v4, 0x38000000, v0
                                        ; implicit-def: $vgpr0
.LBB6_12114:                            ;   in Loop: Header=BB6_9788 Depth=3
	s_and_not1_saveexec_b32 s72, s13
; %bb.12115:                            ;   in Loop: Header=BB6_9788 Depth=3
	v_bfe_i32 v0, v0, 0, 8
	v_cmp_eq_u32_e32 vcc_lo, 0, v5
	s_delay_alu instid0(VALU_DEP_2) | instskip(SKIP_1) | instid1(VALU_DEP_1)
	v_cmp_lt_i16_e64 s13, -1, v0
	v_mov_b32_e32 v0, 0x7f800000
	v_cndmask_b32_e64 v0, 0xff800000, v0, s13
	s_delay_alu instid0(VALU_DEP_1)
	v_cndmask_b32_e32 v4, 0x7f800001, v0, vcc_lo
; %bb.12116:                            ;   in Loop: Header=BB6_9788 Depth=3
	s_or_b32 exec_lo, exec_lo, s72
.LBB6_12117:                            ;   in Loop: Header=BB6_9788 Depth=3
	s_delay_alu instid0(SALU_CYCLE_1)
	s_or_b32 exec_lo, exec_lo, s43
.LBB6_12118:                            ;   in Loop: Header=BB6_9788 Depth=3
	s_delay_alu instid0(SALU_CYCLE_1) | instskip(SKIP_2) | instid1(VALU_DEP_1)
	s_or_b32 exec_lo, exec_lo, s42
	v_lshrrev_b32_e32 v0, 16, v10
	s_mov_b32 s42, exec_lo
	v_and_b32_e32 v5, 0xff, v0
	s_delay_alu instid0(VALU_DEP_1)
	v_cmpx_ne_u16_e32 0, v5
	s_cbranch_execz .LBB6_12128
; %bb.12119:                            ;   in Loop: Header=BB6_9788 Depth=3
	v_bfrev_b32_e32 v1, 1
	s_mov_b32 s43, exec_lo
	v_cmpx_ne_u16_e32 0x80, v5
	s_cbranch_execz .LBB6_12127
; %bb.12120:                            ;   in Loop: Header=BB6_9788 Depth=3
	v_and_b32_e32 v1, 0x7c0000, v10
	v_bfe_u32 v5, v10, 16, 2
	s_delay_alu instid0(VALU_DEP_2) | instskip(SKIP_1) | instid1(SALU_CYCLE_1)
	v_cmp_ne_u32_e32 vcc_lo, 0x7c0000, v1
                                        ; implicit-def: $vgpr1
	s_and_saveexec_b32 s13, vcc_lo
	s_xor_b32 s13, exec_lo, s13
	s_cbranch_execz .LBB6_12124
; %bb.12121:                            ;   in Loop: Header=BB6_9788 Depth=3
	v_bfe_u32 v1, v10, 18, 5
	s_mov_b32 s72, exec_lo
	s_delay_alu instid0(VALU_DEP_1)
	v_cmpx_eq_u32_e32 0, v1
; %bb.12122:                            ;   in Loop: Header=BB6_9788 Depth=3
	v_clz_i32_u32_e32 v1, v5
	s_delay_alu instid0(VALU_DEP_1) | instskip(NEXT) | instid1(VALU_DEP_1)
	v_min_u32_e32 v1, 32, v1
	v_subrev_nc_u32_e32 v5, 29, v1
	s_delay_alu instid0(VALU_DEP_1) | instskip(NEXT) | instid1(VALU_DEP_1)
	v_lshlrev_b64_e32 v[6:7], v5, v[0:1]
	v_dual_sub_nc_u32 v1, 30, v1 :: v_dual_bitop2_b32 v5, 3, v6 bitop3:0x40
; %bb.12123:                            ;   in Loop: Header=BB6_9788 Depth=3
	s_or_b32 exec_lo, exec_lo, s72
	v_lshlrev_b32_e32 v0, 24, v0
	s_delay_alu instid0(VALU_DEP_1) | instskip(NEXT) | instid1(VALU_DEP_1)
	v_and_b32_e32 v0, 0x80000000, v0
	v_lshl_add_u32 v0, v1, 23, v0
	s_delay_alu instid0(VALU_DEP_1) | instskip(NEXT) | instid1(VALU_DEP_1)
	v_lshl_or_b32 v0, v5, 21, v0
                                        ; implicit-def: $vgpr5
	v_add_nc_u32_e32 v1, 0x38000000, v0
                                        ; implicit-def: $vgpr0
.LBB6_12124:                            ;   in Loop: Header=BB6_9788 Depth=3
	s_and_not1_saveexec_b32 s72, s13
; %bb.12125:                            ;   in Loop: Header=BB6_9788 Depth=3
	v_bfe_i32 v0, v0, 0, 8
	v_cmp_eq_u32_e32 vcc_lo, 0, v5
	s_delay_alu instid0(VALU_DEP_2) | instskip(SKIP_1) | instid1(VALU_DEP_1)
	v_cmp_lt_i16_e64 s13, -1, v0
	v_mov_b32_e32 v0, 0x7f800000
	v_cndmask_b32_e64 v0, 0xff800000, v0, s13
	s_delay_alu instid0(VALU_DEP_1)
	v_cndmask_b32_e32 v1, 0x7f800001, v0, vcc_lo
; %bb.12126:                            ;   in Loop: Header=BB6_9788 Depth=3
	s_or_b32 exec_lo, exec_lo, s72
.LBB6_12127:                            ;   in Loop: Header=BB6_9788 Depth=3
	s_delay_alu instid0(SALU_CYCLE_1)
	s_or_b32 exec_lo, exec_lo, s43
.LBB6_12128:                            ;   in Loop: Header=BB6_9788 Depth=3
	s_delay_alu instid0(SALU_CYCLE_1) | instskip(NEXT) | instid1(VALU_DEP_1)
	s_or_b32 exec_lo, exec_lo, s42
	v_dual_mul_f32 v4, v4, v1 :: v_dual_mov_b32 v7, v21
	v_mov_b32_e32 v1, v21
                                        ; implicit-def: $vgpr103
	s_mov_b32 s13, exec_lo
	s_delay_alu instid0(VALU_DEP_2) | instskip(SKIP_2) | instid1(VALU_DEP_3)
	v_and_b32_e32 v6, 0x7f800000, v4
	v_and_b32_e32 v0, 0x7fffff, v4
	v_lshrrev_b32_e32 v5, 24, v4
	v_cmpx_ne_u64_e32 0x7f800000, v[6:7]
	s_xor_b32 s42, exec_lo, s13
	s_cbranch_execz .LBB6_12142
; %bb.12129:                            ;   in Loop: Header=BB6_9788 Depth=3
	v_and_b32_e32 v6, 0x7fffffff, v4
	v_mov_b32_e32 v7, v21
                                        ; implicit-def: $vgpr103
	s_delay_alu instid0(VALU_DEP_1) | instskip(SKIP_2) | instid1(SALU_CYCLE_1)
	v_cmp_gt_u64_e32 vcc_lo, 0x47600001, v[6:7]
	v_and_b32_e32 v6, 0x80, v5
	s_and_saveexec_b32 s13, vcc_lo
	s_xor_b32 s43, exec_lo, s13
	s_cbranch_execz .LBB6_12139
; %bb.12130:                            ;   in Loop: Header=BB6_9788 Depth=3
	v_mov_b32_e32 v103, 0
	s_mov_b32 s72, exec_lo
	v_cmpx_ne_u32_e32 0, v4
	s_cbranch_execz .LBB6_12138
; %bb.12131:                            ;   in Loop: Header=BB6_9788 Depth=3
	v_bfe_u32 v7, v4, 23, 8
	v_or_b32_e32 v5, 0x800000, v0
	s_delay_alu instid0(VALU_DEP_2) | instskip(SKIP_2) | instid1(VALU_DEP_2)
	v_cmp_gt_u32_e64 s13, 0x72, v7
	v_sub_nc_u32_e32 v4, 0x71, v7
	v_cmp_eq_u32_e32 vcc_lo, 0, v7
	v_cndmask_b32_e64 v4, 0, v4, s13
	s_delay_alu instid0(VALU_DEP_1) | instskip(NEXT) | instid1(VALU_DEP_1)
	v_cndmask_b32_e64 v103, v4, 0x70, vcc_lo
	v_dual_cndmask_b32 v0, v5, v0, vcc_lo :: v_dual_add_nc_u32 v4, 21, v103
	v_add_nc_u32_e32 v112, 20, v103
	s_delay_alu instid0(VALU_DEP_2) | instskip(NEXT) | instid1(VALU_DEP_2)
	v_lshlrev_b64_e64 v[4:5], v4, -1
	v_lshlrev_b64_e64 v[112:113], v112, 1
	s_delay_alu instid0(VALU_DEP_2) | instskip(SKIP_1) | instid1(VALU_DEP_4)
	v_bfi_b32 v4, v4, 0, v0
	v_lshrrev_b64 v[0:1], v103, v[0:1]
	v_bfi_b32 v5, v5, 0, 0
	s_delay_alu instid0(VALU_DEP_1) | instskip(NEXT) | instid1(VALU_DEP_3)
	v_cmp_eq_u64_e64 s13, v[4:5], v[112:113]
	v_mov_b64_e32 v[4:5], v[0:1]
	s_and_saveexec_b32 s73, s13
; %bb.12132:                            ;   in Loop: Header=BB6_9788 Depth=3
	v_bfe_u32 v4, v0, 21, 1
	v_mov_b32_e32 v5, v21
	s_delay_alu instid0(VALU_DEP_1) | instskip(NEXT) | instid1(VALU_DEP_1)
	v_add_nc_u64_e32 v[4:5], v[0:1], v[4:5]
	v_add_nc_u64_e32 v[4:5], -1, v[4:5]
; %bb.12133:                            ;   in Loop: Header=BB6_9788 Depth=3
	s_or_b32 exec_lo, exec_lo, s73
	v_add_nc_u32_e32 v1, 0xffffff81, v7
	v_lshrrev_b32_e32 v5, 23, v0
	s_mov_b32 s13, exec_lo
	s_delay_alu instid0(VALU_DEP_2) | instskip(NEXT) | instid1(VALU_DEP_1)
	v_cndmask_b32_e64 v1, v1, 0xffffff82, vcc_lo
	v_add3_u32 v7, v103, v1, v5
	v_and_b32_e32 v1, 0x1fffff, v4
                                        ; implicit-def: $vgpr4
	s_delay_alu instid0(VALU_DEP_1) | instskip(SKIP_1) | instid1(VALU_DEP_2)
	v_dual_add_nc_u32 v5, 14, v7 :: v_dual_add_nc_u32 v0, v1, v0
	v_mov_b32_e32 v1, v21
	v_cmpx_ne_u32_e32 0, v5
	s_xor_b32 s13, exec_lo, s13
; %bb.12134:                            ;   in Loop: Header=BB6_9788 Depth=3
	s_delay_alu instid0(VALU_DEP_2) | instskip(SKIP_1) | instid1(VALU_DEP_1)
	v_cmp_lt_u64_e32 vcc_lo, 0xffffff, v[0:1]
	v_add_nc_u32_e32 v4, 15, v7
	v_cndmask_b32_e32 v4, v5, v4, vcc_lo
	v_cndmask_b32_e64 v5, 0, 1, vcc_lo
	s_delay_alu instid0(VALU_DEP_1)
	v_lshrrev_b64 v[0:1], v5, v[0:1]
; %bb.12135:                            ;   in Loop: Header=BB6_9788 Depth=3
	s_and_not1_saveexec_b32 s13, s13
; %bb.12136:                            ;   in Loop: Header=BB6_9788 Depth=3
	s_delay_alu instid0(VALU_DEP_1)
	v_bfe_u32 v4, v0, 23, 1
; %bb.12137:                            ;   in Loop: Header=BB6_9788 Depth=3
	s_or_b32 exec_lo, exec_lo, s13
	s_delay_alu instid0(VALU_DEP_2) | instskip(NEXT) | instid1(VALU_DEP_2)
	v_lshrrev_b64 v[0:1], 21, v[0:1]
	v_cmp_gt_i32_e32 vcc_lo, 32, v4
	v_min_i32_e32 v5, 31, v4
	v_cmp_eq_u32_e64 s13, 0, v4
	s_delay_alu instid0(VALU_DEP_4) | instskip(NEXT) | instid1(VALU_DEP_3)
	v_cndmask_b32_e32 v1, 0, v1, vcc_lo
	v_dual_cndmask_b32 v0, 3, v0 :: v_dual_lshlrev_b32 v5, 2, v5
	s_delay_alu instid0(VALU_DEP_1) | instskip(NEXT) | instid1(VALU_DEP_2)
	v_and_b32_e32 v5, 0xfc, v5
	v_cmp_eq_u64_e32 vcc_lo, 0, v[0:1]
	s_delay_alu instid0(VALU_DEP_2)
	v_and_or_b32 v0, v0, 3, v5
	s_and_b32 s13, s13, vcc_lo
	s_delay_alu instid0(VALU_DEP_1) | instid1(SALU_CYCLE_1)
	v_cndmask_b32_e64 v0, v0, 0, s13
	s_delay_alu instid0(VALU_DEP_1)
	v_or_b32_e32 v103, v0, v6
.LBB6_12138:                            ;   in Loop: Header=BB6_9788 Depth=3
	s_or_b32 exec_lo, exec_lo, s72
                                        ; implicit-def: $vgpr6
.LBB6_12139:                            ;   in Loop: Header=BB6_9788 Depth=3
	s_and_not1_saveexec_b32 s13, s43
; %bb.12140:                            ;   in Loop: Header=BB6_9788 Depth=3
	v_or_b32_e32 v103, 0x7b, v6
; %bb.12141:                            ;   in Loop: Header=BB6_9788 Depth=3
	s_or_b32 exec_lo, exec_lo, s13
                                        ; implicit-def: $vgpr4
                                        ; implicit-def: $vgpr0_vgpr1
                                        ; implicit-def: $vgpr5
.LBB6_12142:                            ;   in Loop: Header=BB6_9788 Depth=3
	s_and_not1_saveexec_b32 s13, s42
	s_cbranch_execz .LBB6_12148
; %bb.12143:                            ;   in Loop: Header=BB6_9788 Depth=3
	s_mov_b32 s42, exec_lo
                                        ; implicit-def: $vgpr103
	v_cmpx_ne_u64_e32 0, v[0:1]
	s_xor_b32 s42, exec_lo, s42
; %bb.12144:                            ;   in Loop: Header=BB6_9788 Depth=3
	v_or_b32_e32 v103, 0x7f, v5
                                        ; implicit-def: $vgpr4
; %bb.12145:                            ;   in Loop: Header=BB6_9788 Depth=3
	s_and_not1_saveexec_b32 s42, s42
; %bb.12146:                            ;   in Loop: Header=BB6_9788 Depth=3
	v_cmp_lt_i32_e32 vcc_lo, -1, v4
	v_mov_b32_e32 v0, 0x7c
	s_delay_alu instid0(VALU_DEP_1)
	v_cndmask_b32_e32 v103, 0xfc, v0, vcc_lo
; %bb.12147:                            ;   in Loop: Header=BB6_9788 Depth=3
	s_or_b32 exec_lo, exec_lo, s42
.LBB6_12148:                            ;   in Loop: Header=BB6_9788 Depth=3
	s_delay_alu instid0(SALU_CYCLE_1)
	s_or_b32 exec_lo, exec_lo, s13
	v_dual_mov_b32 v1, 0 :: v_dual_mov_b32 v4, 0
	s_mov_b32 s42, exec_lo
	v_cmpx_lt_u32_e32 0xffffff, v2
	s_cbranch_execz .LBB6_12158
; %bb.12149:                            ;   in Loop: Header=BB6_9788 Depth=3
	v_lshrrev_b32_e32 v0, 24, v2
	v_bfrev_b32_e32 v4, 1
	s_mov_b32 s43, exec_lo
	s_delay_alu instid0(VALU_DEP_2)
	v_cmpx_ne_u32_e32 0x80, v0
	s_cbranch_execz .LBB6_12157
; %bb.12150:                            ;   in Loop: Header=BB6_9788 Depth=3
	v_and_b32_e32 v4, 0x7c000000, v2
	v_bfe_u32 v5, v2, 24, 2
	s_delay_alu instid0(VALU_DEP_2) | instskip(SKIP_1) | instid1(SALU_CYCLE_1)
	v_cmp_ne_u32_e32 vcc_lo, 0x7c000000, v4
                                        ; implicit-def: $vgpr4
	s_and_saveexec_b32 s13, vcc_lo
	s_xor_b32 s13, exec_lo, s13
	s_cbranch_execz .LBB6_12154
; %bb.12151:                            ;   in Loop: Header=BB6_9788 Depth=3
	v_bfe_u32 v4, v2, 26, 5
	s_mov_b32 s72, exec_lo
	s_delay_alu instid0(VALU_DEP_1)
	v_cmpx_eq_u32_e32 0, v4
; %bb.12152:                            ;   in Loop: Header=BB6_9788 Depth=3
	v_clz_i32_u32_e32 v4, v5
	s_delay_alu instid0(VALU_DEP_1) | instskip(NEXT) | instid1(VALU_DEP_1)
	v_min_u32_e32 v4, 32, v4
	v_subrev_nc_u32_e32 v5, 29, v4
	s_delay_alu instid0(VALU_DEP_1) | instskip(NEXT) | instid1(VALU_DEP_1)
	v_lshlrev_b64_e32 v[6:7], v5, v[0:1]
	v_dual_sub_nc_u32 v4, 30, v4 :: v_dual_bitop2_b32 v5, 3, v6 bitop3:0x40
; %bb.12153:                            ;   in Loop: Header=BB6_9788 Depth=3
	s_or_b32 exec_lo, exec_lo, s72
	v_and_b32_e32 v0, 0x80000000, v2
	s_delay_alu instid0(VALU_DEP_1) | instskip(NEXT) | instid1(VALU_DEP_1)
	v_lshl_add_u32 v0, v4, 23, v0
	v_lshl_or_b32 v0, v5, 21, v0
                                        ; implicit-def: $vgpr5
	s_delay_alu instid0(VALU_DEP_1)
	v_add_nc_u32_e32 v4, 0x38000000, v0
.LBB6_12154:                            ;   in Loop: Header=BB6_9788 Depth=3
	s_and_not1_saveexec_b32 s72, s13
; %bb.12155:                            ;   in Loop: Header=BB6_9788 Depth=3
	v_cmp_lt_i32_e64 s13, -1, v2
	v_mov_b32_e32 v0, 0x7f800000
	v_cmp_eq_u32_e32 vcc_lo, 0, v5
	s_delay_alu instid0(VALU_DEP_2) | instskip(NEXT) | instid1(VALU_DEP_1)
	v_cndmask_b32_e64 v0, 0xff800000, v0, s13
	v_cndmask_b32_e32 v4, 0x7f800001, v0, vcc_lo
; %bb.12156:                            ;   in Loop: Header=BB6_9788 Depth=3
	s_or_b32 exec_lo, exec_lo, s72
.LBB6_12157:                            ;   in Loop: Header=BB6_9788 Depth=3
	s_delay_alu instid0(SALU_CYCLE_1)
	s_or_b32 exec_lo, exec_lo, s43
.LBB6_12158:                            ;   in Loop: Header=BB6_9788 Depth=3
	s_delay_alu instid0(SALU_CYCLE_1) | instskip(NEXT) | instid1(SALU_CYCLE_1)
	s_or_b32 exec_lo, exec_lo, s42
	s_mov_b32 s42, exec_lo
	v_cmpx_lt_u32_e32 0xffffff, v10
	s_cbranch_execz .LBB6_12168
; %bb.12159:                            ;   in Loop: Header=BB6_9788 Depth=3
	v_lshrrev_b32_e32 v0, 24, v10
	v_bfrev_b32_e32 v1, 1
	s_mov_b32 s43, exec_lo
	s_delay_alu instid0(VALU_DEP_2)
	v_cmpx_ne_u32_e32 0x80, v0
	s_cbranch_execz .LBB6_12167
; %bb.12160:                            ;   in Loop: Header=BB6_9788 Depth=3
	v_and_b32_e32 v1, 0x7c000000, v10
	v_bfe_u32 v5, v10, 24, 2
	s_delay_alu instid0(VALU_DEP_2) | instskip(SKIP_1) | instid1(SALU_CYCLE_1)
	v_cmp_ne_u32_e32 vcc_lo, 0x7c000000, v1
                                        ; implicit-def: $vgpr1
	s_and_saveexec_b32 s13, vcc_lo
	s_xor_b32 s13, exec_lo, s13
	s_cbranch_execz .LBB6_12164
; %bb.12161:                            ;   in Loop: Header=BB6_9788 Depth=3
	v_bfe_u32 v1, v10, 26, 5
	s_mov_b32 s72, exec_lo
	s_delay_alu instid0(VALU_DEP_1)
	v_cmpx_eq_u32_e32 0, v1
; %bb.12162:                            ;   in Loop: Header=BB6_9788 Depth=3
	v_clz_i32_u32_e32 v1, v5
	s_delay_alu instid0(VALU_DEP_1) | instskip(NEXT) | instid1(VALU_DEP_1)
	v_min_u32_e32 v5, 32, v1
	v_subrev_nc_u32_e32 v1, 29, v5
	s_delay_alu instid0(VALU_DEP_1) | instskip(NEXT) | instid1(VALU_DEP_1)
	v_lshlrev_b64_e32 v[0:1], v1, v[0:1]
	v_dual_sub_nc_u32 v1, 30, v5 :: v_dual_bitop2_b32 v5, 3, v0 bitop3:0x40
; %bb.12163:                            ;   in Loop: Header=BB6_9788 Depth=3
	s_or_b32 exec_lo, exec_lo, s72
	v_and_b32_e32 v0, 0x80000000, v10
	s_delay_alu instid0(VALU_DEP_1) | instskip(NEXT) | instid1(VALU_DEP_1)
	v_lshl_add_u32 v0, v1, 23, v0
	v_lshl_or_b32 v0, v5, 21, v0
                                        ; implicit-def: $vgpr5
	s_delay_alu instid0(VALU_DEP_1)
	v_add_nc_u32_e32 v1, 0x38000000, v0
.LBB6_12164:                            ;   in Loop: Header=BB6_9788 Depth=3
	s_and_not1_saveexec_b32 s72, s13
; %bb.12165:                            ;   in Loop: Header=BB6_9788 Depth=3
	v_cmp_lt_i32_e64 s13, -1, v10
	v_mov_b32_e32 v0, 0x7f800000
	v_cmp_eq_u32_e32 vcc_lo, 0, v5
	s_delay_alu instid0(VALU_DEP_2) | instskip(NEXT) | instid1(VALU_DEP_1)
	v_cndmask_b32_e64 v0, 0xff800000, v0, s13
	v_cndmask_b32_e32 v1, 0x7f800001, v0, vcc_lo
; %bb.12166:                            ;   in Loop: Header=BB6_9788 Depth=3
	s_or_b32 exec_lo, exec_lo, s72
.LBB6_12167:                            ;   in Loop: Header=BB6_9788 Depth=3
	s_delay_alu instid0(SALU_CYCLE_1)
	s_or_b32 exec_lo, exec_lo, s43
.LBB6_12168:                            ;   in Loop: Header=BB6_9788 Depth=3
	s_delay_alu instid0(SALU_CYCLE_1) | instskip(NEXT) | instid1(VALU_DEP_1)
	s_or_b32 exec_lo, exec_lo, s42
	v_dual_mul_f32 v4, v4, v1 :: v_dual_mov_b32 v7, v21
	v_mov_b32_e32 v1, v21
                                        ; implicit-def: $vgpr112
	s_mov_b32 s13, exec_lo
	s_delay_alu instid0(VALU_DEP_2) | instskip(SKIP_2) | instid1(VALU_DEP_3)
	v_and_b32_e32 v6, 0x7f800000, v4
	v_and_b32_e32 v0, 0x7fffff, v4
	v_lshrrev_b32_e32 v5, 24, v4
	v_cmpx_ne_u64_e32 0x7f800000, v[6:7]
	s_xor_b32 s42, exec_lo, s13
	s_cbranch_execz .LBB6_12182
; %bb.12169:                            ;   in Loop: Header=BB6_9788 Depth=3
	v_and_b32_e32 v6, 0x7fffffff, v4
	v_mov_b32_e32 v7, v21
                                        ; implicit-def: $vgpr112
	s_delay_alu instid0(VALU_DEP_1) | instskip(SKIP_2) | instid1(SALU_CYCLE_1)
	v_cmp_gt_u64_e32 vcc_lo, 0x47600001, v[6:7]
	v_and_b32_e32 v6, 0x80, v5
	s_and_saveexec_b32 s13, vcc_lo
	s_xor_b32 s43, exec_lo, s13
	s_cbranch_execz .LBB6_12179
; %bb.12170:                            ;   in Loop: Header=BB6_9788 Depth=3
	v_mov_b32_e32 v112, 0
	s_mov_b32 s72, exec_lo
	v_cmpx_ne_u32_e32 0, v4
	s_cbranch_execz .LBB6_12178
; %bb.12171:                            ;   in Loop: Header=BB6_9788 Depth=3
	v_bfe_u32 v7, v4, 23, 8
	v_or_b32_e32 v5, 0x800000, v0
	s_delay_alu instid0(VALU_DEP_2) | instskip(SKIP_2) | instid1(VALU_DEP_2)
	v_cmp_gt_u32_e64 s13, 0x72, v7
	v_sub_nc_u32_e32 v4, 0x71, v7
	v_cmp_eq_u32_e32 vcc_lo, 0, v7
	v_cndmask_b32_e64 v4, 0, v4, s13
	v_cndmask_b32_e32 v0, v5, v0, vcc_lo
	s_delay_alu instid0(VALU_DEP_2) | instskip(NEXT) | instid1(VALU_DEP_1)
	v_cndmask_b32_e64 v112, v4, 0x70, vcc_lo
	v_dual_add_nc_u32 v4, 21, v112 :: v_dual_add_nc_u32 v113, 20, v112
	s_delay_alu instid0(VALU_DEP_1) | instskip(NEXT) | instid1(VALU_DEP_2)
	v_lshlrev_b64_e64 v[4:5], v4, -1
	v_lshlrev_b64_e64 v[114:115], v113, 1
	s_delay_alu instid0(VALU_DEP_2) | instskip(SKIP_1) | instid1(VALU_DEP_4)
	v_bfi_b32 v4, v4, 0, v0
	v_lshrrev_b64 v[0:1], v112, v[0:1]
	v_bfi_b32 v5, v5, 0, 0
	s_delay_alu instid0(VALU_DEP_1) | instskip(NEXT) | instid1(VALU_DEP_3)
	v_cmp_eq_u64_e64 s13, v[4:5], v[114:115]
	v_mov_b64_e32 v[4:5], v[0:1]
	s_and_saveexec_b32 s73, s13
; %bb.12172:                            ;   in Loop: Header=BB6_9788 Depth=3
	v_bfe_u32 v4, v0, 21, 1
	v_mov_b32_e32 v5, v21
	s_delay_alu instid0(VALU_DEP_1) | instskip(NEXT) | instid1(VALU_DEP_1)
	v_add_nc_u64_e32 v[4:5], v[0:1], v[4:5]
	v_add_nc_u64_e32 v[4:5], -1, v[4:5]
; %bb.12173:                            ;   in Loop: Header=BB6_9788 Depth=3
	s_or_b32 exec_lo, exec_lo, s73
	v_add_nc_u32_e32 v1, 0xffffff81, v7
	v_lshrrev_b32_e32 v5, 23, v0
	s_mov_b32 s13, exec_lo
	s_delay_alu instid0(VALU_DEP_2) | instskip(NEXT) | instid1(VALU_DEP_1)
	v_cndmask_b32_e64 v1, v1, 0xffffff82, vcc_lo
	v_add3_u32 v7, v112, v1, v5
	v_and_b32_e32 v1, 0x1fffff, v4
                                        ; implicit-def: $vgpr4
	s_delay_alu instid0(VALU_DEP_1) | instskip(SKIP_1) | instid1(VALU_DEP_2)
	v_dual_add_nc_u32 v5, 14, v7 :: v_dual_add_nc_u32 v0, v1, v0
	v_mov_b32_e32 v1, v21
	v_cmpx_ne_u32_e32 0, v5
	s_xor_b32 s13, exec_lo, s13
; %bb.12174:                            ;   in Loop: Header=BB6_9788 Depth=3
	s_delay_alu instid0(VALU_DEP_2) | instskip(SKIP_1) | instid1(VALU_DEP_1)
	v_cmp_lt_u64_e32 vcc_lo, 0xffffff, v[0:1]
	v_add_nc_u32_e32 v4, 15, v7
	v_cndmask_b32_e32 v4, v5, v4, vcc_lo
	v_cndmask_b32_e64 v5, 0, 1, vcc_lo
	s_delay_alu instid0(VALU_DEP_1)
	v_lshrrev_b64 v[0:1], v5, v[0:1]
; %bb.12175:                            ;   in Loop: Header=BB6_9788 Depth=3
	s_and_not1_saveexec_b32 s13, s13
; %bb.12176:                            ;   in Loop: Header=BB6_9788 Depth=3
	s_delay_alu instid0(VALU_DEP_1)
	v_bfe_u32 v4, v0, 23, 1
; %bb.12177:                            ;   in Loop: Header=BB6_9788 Depth=3
	s_or_b32 exec_lo, exec_lo, s13
	s_delay_alu instid0(VALU_DEP_2) | instskip(NEXT) | instid1(VALU_DEP_2)
	v_lshrrev_b64 v[0:1], 21, v[0:1]
	v_cmp_gt_i32_e32 vcc_lo, 32, v4
	v_min_i32_e32 v5, 31, v4
	v_cmp_eq_u32_e64 s13, 0, v4
	s_delay_alu instid0(VALU_DEP_4) | instskip(NEXT) | instid1(VALU_DEP_3)
	v_cndmask_b32_e32 v1, 0, v1, vcc_lo
	v_dual_cndmask_b32 v0, 3, v0 :: v_dual_lshlrev_b32 v5, 2, v5
	s_delay_alu instid0(VALU_DEP_1) | instskip(NEXT) | instid1(VALU_DEP_2)
	v_and_b32_e32 v5, 0xfc, v5
	v_cmp_eq_u64_e32 vcc_lo, 0, v[0:1]
	s_delay_alu instid0(VALU_DEP_2)
	v_and_or_b32 v0, v0, 3, v5
	s_and_b32 s13, s13, vcc_lo
	s_delay_alu instid0(VALU_DEP_1) | instid1(SALU_CYCLE_1)
	v_cndmask_b32_e64 v0, v0, 0, s13
	s_delay_alu instid0(VALU_DEP_1)
	v_or_b32_e32 v112, v0, v6
.LBB6_12178:                            ;   in Loop: Header=BB6_9788 Depth=3
	s_or_b32 exec_lo, exec_lo, s72
                                        ; implicit-def: $vgpr6
.LBB6_12179:                            ;   in Loop: Header=BB6_9788 Depth=3
	s_and_not1_saveexec_b32 s13, s43
; %bb.12180:                            ;   in Loop: Header=BB6_9788 Depth=3
	v_or_b32_e32 v112, 0x7b, v6
; %bb.12181:                            ;   in Loop: Header=BB6_9788 Depth=3
	s_or_b32 exec_lo, exec_lo, s13
                                        ; implicit-def: $vgpr4
                                        ; implicit-def: $vgpr0_vgpr1
                                        ; implicit-def: $vgpr5
.LBB6_12182:                            ;   in Loop: Header=BB6_9788 Depth=3
	s_and_not1_saveexec_b32 s13, s42
	s_cbranch_execz .LBB6_12188
; %bb.12183:                            ;   in Loop: Header=BB6_9788 Depth=3
	s_mov_b32 s42, exec_lo
                                        ; implicit-def: $vgpr112
	v_cmpx_ne_u64_e32 0, v[0:1]
	s_xor_b32 s42, exec_lo, s42
; %bb.12184:                            ;   in Loop: Header=BB6_9788 Depth=3
	v_or_b32_e32 v112, 0x7f, v5
                                        ; implicit-def: $vgpr4
; %bb.12185:                            ;   in Loop: Header=BB6_9788 Depth=3
	s_and_not1_saveexec_b32 s42, s42
; %bb.12186:                            ;   in Loop: Header=BB6_9788 Depth=3
	v_cmp_lt_i32_e32 vcc_lo, -1, v4
	v_mov_b32_e32 v0, 0x7c
	s_delay_alu instid0(VALU_DEP_1)
	v_cndmask_b32_e32 v112, 0xfc, v0, vcc_lo
; %bb.12187:                            ;   in Loop: Header=BB6_9788 Depth=3
	s_or_b32 exec_lo, exec_lo, s42
.LBB6_12188:                            ;   in Loop: Header=BB6_9788 Depth=3
	s_delay_alu instid0(SALU_CYCLE_1) | instskip(SKIP_4) | instid1(VALU_DEP_3)
	s_or_b32 exec_lo, exec_lo, s13
	v_and_b32_e32 v6, 0xff, v3
	v_dual_mov_b32 v0, v3 :: v_dual_mov_b32 v1, v21
	v_dual_mov_b32 v5, 0 :: v_dual_mov_b32 v4, 0
	s_mov_b32 s42, exec_lo
	v_cmpx_ne_u16_e32 0, v6
	s_cbranch_execz .LBB6_12198
; %bb.12189:                            ;   in Loop: Header=BB6_9788 Depth=3
	v_bfrev_b32_e32 v4, 1
	s_mov_b32 s43, exec_lo
	v_cmpx_ne_u16_e32 0x80, v6
	s_cbranch_execz .LBB6_12197
; %bb.12190:                            ;   in Loop: Header=BB6_9788 Depth=3
	v_and_b32_e32 v4, 0x7c, v3
	v_and_b32_e32 v6, 3, v3
	s_delay_alu instid0(VALU_DEP_2) | instskip(SKIP_1) | instid1(SALU_CYCLE_1)
	v_cmp_ne_u32_e32 vcc_lo, 0x7c, v4
                                        ; implicit-def: $vgpr4
	s_and_saveexec_b32 s13, vcc_lo
	s_xor_b32 s13, exec_lo, s13
	s_cbranch_execz .LBB6_12194
; %bb.12191:                            ;   in Loop: Header=BB6_9788 Depth=3
	v_bfe_u32 v4, v3, 2, 5
	s_mov_b32 s72, exec_lo
	s_delay_alu instid0(VALU_DEP_1)
	v_cmpx_eq_u32_e32 0, v4
; %bb.12192:                            ;   in Loop: Header=BB6_9788 Depth=3
	v_clz_i32_u32_e32 v4, v6
	s_delay_alu instid0(VALU_DEP_1) | instskip(NEXT) | instid1(VALU_DEP_1)
	v_min_u32_e32 v4, 32, v4
	v_subrev_nc_u32_e32 v6, 29, v4
	s_delay_alu instid0(VALU_DEP_1) | instskip(NEXT) | instid1(VALU_DEP_1)
	v_lshlrev_b64_e32 v[6:7], v6, v[0:1]
	v_dual_sub_nc_u32 v4, 30, v4 :: v_dual_bitop2_b32 v6, 3, v6 bitop3:0x40
; %bb.12193:                            ;   in Loop: Header=BB6_9788 Depth=3
	s_or_b32 exec_lo, exec_lo, s72
	v_lshlrev_b32_e32 v1, 24, v3
	s_delay_alu instid0(VALU_DEP_1) | instskip(NEXT) | instid1(VALU_DEP_1)
	v_and_b32_e32 v1, 0x80000000, v1
	v_lshl_add_u32 v1, v4, 23, v1
	s_delay_alu instid0(VALU_DEP_1) | instskip(NEXT) | instid1(VALU_DEP_1)
	v_lshl_or_b32 v1, v6, 21, v1
                                        ; implicit-def: $vgpr6
	v_add_nc_u32_e32 v4, 0x38000000, v1
.LBB6_12194:                            ;   in Loop: Header=BB6_9788 Depth=3
	s_and_not1_saveexec_b32 s72, s13
; %bb.12195:                            ;   in Loop: Header=BB6_9788 Depth=3
	v_bfe_i32 v1, v3, 0, 8
	v_cmp_eq_u32_e32 vcc_lo, 0, v6
	s_delay_alu instid0(VALU_DEP_2) | instskip(SKIP_1) | instid1(VALU_DEP_1)
	v_cmp_lt_i16_e64 s13, -1, v1
	v_mov_b32_e32 v1, 0x7f800000
	v_cndmask_b32_e64 v1, 0xff800000, v1, s13
	s_delay_alu instid0(VALU_DEP_1)
	v_cndmask_b32_e32 v4, 0x7f800001, v1, vcc_lo
; %bb.12196:                            ;   in Loop: Header=BB6_9788 Depth=3
	s_or_b32 exec_lo, exec_lo, s72
.LBB6_12197:                            ;   in Loop: Header=BB6_9788 Depth=3
	s_delay_alu instid0(SALU_CYCLE_1)
	s_or_b32 exec_lo, exec_lo, s43
.LBB6_12198:                            ;   in Loop: Header=BB6_9788 Depth=3
	s_delay_alu instid0(SALU_CYCLE_1) | instskip(SKIP_2) | instid1(VALU_DEP_1)
	s_or_b32 exec_lo, exec_lo, s42
	v_and_b32_e32 v1, 0xff, v11
	s_mov_b32 s42, exec_lo
	v_cmpx_ne_u16_e32 0, v1
	s_cbranch_execz .LBB6_12208
; %bb.12199:                            ;   in Loop: Header=BB6_9788 Depth=3
	v_bfrev_b32_e32 v5, 1
	s_mov_b32 s43, exec_lo
	v_cmpx_ne_u16_e32 0x80, v1
	s_cbranch_execz .LBB6_12207
; %bb.12200:                            ;   in Loop: Header=BB6_9788 Depth=3
	v_and_b32_e32 v5, 0x7c, v11
	v_and_b32_e32 v1, 3, v11
	s_delay_alu instid0(VALU_DEP_2) | instskip(SKIP_1) | instid1(SALU_CYCLE_1)
	v_cmp_ne_u32_e32 vcc_lo, 0x7c, v5
                                        ; implicit-def: $vgpr5
	s_and_saveexec_b32 s13, vcc_lo
	s_xor_b32 s13, exec_lo, s13
	s_cbranch_execz .LBB6_12204
; %bb.12201:                            ;   in Loop: Header=BB6_9788 Depth=3
	v_bfe_u32 v5, v11, 2, 5
	s_mov_b32 s72, exec_lo
	s_delay_alu instid0(VALU_DEP_1)
	v_cmpx_eq_u32_e32 0, v5
; %bb.12202:                            ;   in Loop: Header=BB6_9788 Depth=3
	v_clz_i32_u32_e32 v1, v1
	v_dual_mov_b32 v6, v11 :: v_dual_mov_b32 v7, v21
	s_delay_alu instid0(VALU_DEP_2) | instskip(NEXT) | instid1(VALU_DEP_1)
	v_min_u32_e32 v1, 32, v1
	v_subrev_nc_u32_e32 v5, 29, v1
	s_delay_alu instid0(VALU_DEP_1) | instskip(NEXT) | instid1(VALU_DEP_1)
	v_lshlrev_b64_e32 v[6:7], v5, v[6:7]
	v_dual_sub_nc_u32 v5, 30, v1 :: v_dual_bitop2_b32 v1, 3, v6 bitop3:0x40
; %bb.12203:                            ;   in Loop: Header=BB6_9788 Depth=3
	s_or_b32 exec_lo, exec_lo, s72
	v_lshlrev_b32_e32 v6, 24, v11
	s_delay_alu instid0(VALU_DEP_1) | instskip(NEXT) | instid1(VALU_DEP_1)
	v_and_b32_e32 v6, 0x80000000, v6
	v_lshl_add_u32 v5, v5, 23, v6
	s_delay_alu instid0(VALU_DEP_1) | instskip(NEXT) | instid1(VALU_DEP_1)
	v_lshl_or_b32 v1, v1, 21, v5
	v_add_nc_u32_e32 v5, 0x38000000, v1
                                        ; implicit-def: $vgpr1
.LBB6_12204:                            ;   in Loop: Header=BB6_9788 Depth=3
	s_and_not1_saveexec_b32 s72, s13
; %bb.12205:                            ;   in Loop: Header=BB6_9788 Depth=3
	v_bfe_i32 v5, v11, 0, 8
	v_cmp_eq_u32_e32 vcc_lo, 0, v1
	v_mov_b32_e32 v1, 0x7f800000
	s_delay_alu instid0(VALU_DEP_3) | instskip(NEXT) | instid1(VALU_DEP_1)
	v_cmp_lt_i16_e64 s13, -1, v5
	v_cndmask_b32_e64 v1, 0xff800000, v1, s13
	s_delay_alu instid0(VALU_DEP_1)
	v_cndmask_b32_e32 v5, 0x7f800001, v1, vcc_lo
; %bb.12206:                            ;   in Loop: Header=BB6_9788 Depth=3
	s_or_b32 exec_lo, exec_lo, s72
.LBB6_12207:                            ;   in Loop: Header=BB6_9788 Depth=3
	s_delay_alu instid0(SALU_CYCLE_1)
	s_or_b32 exec_lo, exec_lo, s43
.LBB6_12208:                            ;   in Loop: Header=BB6_9788 Depth=3
	s_delay_alu instid0(SALU_CYCLE_1) | instskip(NEXT) | instid1(VALU_DEP_1)
	s_or_b32 exec_lo, exec_lo, s42
	v_dual_mul_f32 v7, v4, v5 :: v_dual_mov_b32 v115, v21
	v_mov_b32_e32 v5, v21
                                        ; implicit-def: $vgpr6
	s_mov_b32 s13, exec_lo
	s_delay_alu instid0(VALU_DEP_2) | instskip(SKIP_2) | instid1(VALU_DEP_3)
	v_and_b32_e32 v114, 0x7f800000, v7
	v_and_b32_e32 v4, 0x7fffff, v7
	v_lshrrev_b32_e32 v1, 24, v7
	v_cmpx_ne_u64_e32 0x7f800000, v[114:115]
	s_xor_b32 s42, exec_lo, s13
	s_cbranch_execz .LBB6_12222
; %bb.12209:                            ;   in Loop: Header=BB6_9788 Depth=3
	v_and_b32_e32 v114, 0x7fffffff, v7
	v_mov_b32_e32 v115, v21
	v_and_b32_e32 v1, 0x80, v1
                                        ; implicit-def: $vgpr6
	s_mov_b32 s13, exec_lo
	s_delay_alu instid0(VALU_DEP_2)
	v_cmpx_gt_u64_e32 0x47600001, v[114:115]
	s_xor_b32 s43, exec_lo, s13
	s_cbranch_execz .LBB6_12219
; %bb.12210:                            ;   in Loop: Header=BB6_9788 Depth=3
	v_mov_b32_e32 v6, 0
	s_mov_b32 s72, exec_lo
	v_cmpx_ne_u32_e32 0, v7
	s_cbranch_execz .LBB6_12218
; %bb.12211:                            ;   in Loop: Header=BB6_9788 Depth=3
	v_bfe_u32 v113, v7, 23, 8
	v_or_b32_e32 v7, 0x800000, v4
	s_delay_alu instid0(VALU_DEP_2) | instskip(SKIP_2) | instid1(VALU_DEP_2)
	v_cmp_gt_u32_e64 s13, 0x72, v113
	v_sub_nc_u32_e32 v6, 0x71, v113
	v_cmp_eq_u32_e32 vcc_lo, 0, v113
	v_dual_cndmask_b32 v6, 0, v6, s13 :: v_dual_cndmask_b32 v4, v7, v4, vcc_lo
	s_delay_alu instid0(VALU_DEP_1) | instskip(NEXT) | instid1(VALU_DEP_1)
	v_cndmask_b32_e64 v114, v6, 0x70, vcc_lo
	v_dual_add_nc_u32 v6, 21, v114 :: v_dual_add_nc_u32 v115, 20, v114
	s_delay_alu instid0(VALU_DEP_1) | instskip(NEXT) | instid1(VALU_DEP_2)
	v_lshlrev_b64_e64 v[6:7], v6, -1
	v_lshlrev_b64_e64 v[116:117], v115, 1
	s_delay_alu instid0(VALU_DEP_2) | instskip(SKIP_1) | instid1(VALU_DEP_4)
	v_bfi_b32 v6, v6, 0, v4
	v_lshrrev_b64 v[4:5], v114, v[4:5]
	v_bfi_b32 v7, v7, 0, 0
	s_delay_alu instid0(VALU_DEP_1) | instskip(NEXT) | instid1(VALU_DEP_3)
	v_cmp_eq_u64_e64 s13, v[6:7], v[116:117]
	v_mov_b64_e32 v[6:7], v[4:5]
	s_and_saveexec_b32 s73, s13
; %bb.12212:                            ;   in Loop: Header=BB6_9788 Depth=3
	v_bfe_u32 v6, v4, 21, 1
	v_mov_b32_e32 v7, v21
	s_delay_alu instid0(VALU_DEP_1) | instskip(NEXT) | instid1(VALU_DEP_1)
	v_add_nc_u64_e32 v[6:7], v[4:5], v[6:7]
	v_add_nc_u64_e32 v[6:7], -1, v[6:7]
; %bb.12213:                            ;   in Loop: Header=BB6_9788 Depth=3
	s_or_b32 exec_lo, exec_lo, s73
	v_add_nc_u32_e32 v5, 0xffffff81, v113
	v_lshrrev_b32_e32 v7, 23, v4
	s_mov_b32 s13, exec_lo
	s_delay_alu instid0(VALU_DEP_2) | instskip(NEXT) | instid1(VALU_DEP_1)
	v_cndmask_b32_e64 v5, v5, 0xffffff82, vcc_lo
	v_add3_u32 v113, v114, v5, v7
	v_and_b32_e32 v5, 0x1fffff, v6
                                        ; implicit-def: $vgpr6
	s_delay_alu instid0(VALU_DEP_1) | instskip(SKIP_1) | instid1(VALU_DEP_2)
	v_dual_add_nc_u32 v7, 14, v113 :: v_dual_add_nc_u32 v4, v5, v4
	v_mov_b32_e32 v5, v21
	v_cmpx_ne_u32_e32 0, v7
	s_xor_b32 s13, exec_lo, s13
; %bb.12214:                            ;   in Loop: Header=BB6_9788 Depth=3
	s_delay_alu instid0(VALU_DEP_2) | instskip(SKIP_1) | instid1(VALU_DEP_1)
	v_cmp_lt_u64_e32 vcc_lo, 0xffffff, v[4:5]
	v_add_nc_u32_e32 v6, 15, v113
	v_cndmask_b32_e32 v6, v7, v6, vcc_lo
	v_cndmask_b32_e64 v7, 0, 1, vcc_lo
	s_delay_alu instid0(VALU_DEP_1)
	v_lshrrev_b64 v[4:5], v7, v[4:5]
; %bb.12215:                            ;   in Loop: Header=BB6_9788 Depth=3
	s_and_not1_saveexec_b32 s13, s13
; %bb.12216:                            ;   in Loop: Header=BB6_9788 Depth=3
	s_delay_alu instid0(VALU_DEP_1)
	v_bfe_u32 v6, v4, 23, 1
; %bb.12217:                            ;   in Loop: Header=BB6_9788 Depth=3
	s_or_b32 exec_lo, exec_lo, s13
	s_delay_alu instid0(VALU_DEP_2) | instskip(NEXT) | instid1(VALU_DEP_2)
	v_lshrrev_b64 v[4:5], 21, v[4:5]
	v_cmp_gt_i32_e32 vcc_lo, 32, v6
	v_min_i32_e32 v7, 31, v6
	v_cmp_eq_u32_e64 s13, 0, v6
	s_delay_alu instid0(VALU_DEP_2) | instskip(SKIP_1) | instid1(VALU_DEP_2)
	v_dual_cndmask_b32 v5, 0, v5, vcc_lo :: v_dual_lshlrev_b32 v7, 2, v7
	v_cndmask_b32_e32 v4, 3, v4, vcc_lo
	v_and_b32_e32 v7, 0xfc, v7
	s_delay_alu instid0(VALU_DEP_2) | instskip(NEXT) | instid1(VALU_DEP_2)
	v_cmp_eq_u64_e32 vcc_lo, 0, v[4:5]
	v_and_or_b32 v4, v4, 3, v7
	s_and_b32 s13, s13, vcc_lo
	s_delay_alu instid0(VALU_DEP_1) | instid1(SALU_CYCLE_1)
	v_cndmask_b32_e64 v4, v4, 0, s13
	s_delay_alu instid0(VALU_DEP_1)
	v_or_b32_e32 v6, v4, v1
.LBB6_12218:                            ;   in Loop: Header=BB6_9788 Depth=3
	s_or_b32 exec_lo, exec_lo, s72
                                        ; implicit-def: $vgpr1
.LBB6_12219:                            ;   in Loop: Header=BB6_9788 Depth=3
	s_and_not1_saveexec_b32 s13, s43
; %bb.12220:                            ;   in Loop: Header=BB6_9788 Depth=3
	v_or_b32_e32 v6, 0x7b, v1
; %bb.12221:                            ;   in Loop: Header=BB6_9788 Depth=3
	s_or_b32 exec_lo, exec_lo, s13
                                        ; implicit-def: $vgpr7
                                        ; implicit-def: $vgpr4_vgpr5
                                        ; implicit-def: $vgpr1
.LBB6_12222:                            ;   in Loop: Header=BB6_9788 Depth=3
	s_and_not1_saveexec_b32 s13, s42
	s_cbranch_execz .LBB6_12228
; %bb.12223:                            ;   in Loop: Header=BB6_9788 Depth=3
	s_mov_b32 s42, exec_lo
                                        ; implicit-def: $vgpr6
	v_cmpx_ne_u64_e32 0, v[4:5]
	s_xor_b32 s42, exec_lo, s42
; %bb.12224:                            ;   in Loop: Header=BB6_9788 Depth=3
	v_or_b32_e32 v6, 0x7f, v1
                                        ; implicit-def: $vgpr7
; %bb.12225:                            ;   in Loop: Header=BB6_9788 Depth=3
	s_and_not1_saveexec_b32 s42, s42
; %bb.12226:                            ;   in Loop: Header=BB6_9788 Depth=3
	v_cmp_lt_i32_e32 vcc_lo, -1, v7
	v_mov_b32_e32 v1, 0x7c
	s_delay_alu instid0(VALU_DEP_1)
	v_cndmask_b32_e32 v6, 0xfc, v1, vcc_lo
; %bb.12227:                            ;   in Loop: Header=BB6_9788 Depth=3
	s_or_b32 exec_lo, exec_lo, s42
.LBB6_12228:                            ;   in Loop: Header=BB6_9788 Depth=3
	s_delay_alu instid0(SALU_CYCLE_1) | instskip(SKIP_3) | instid1(VALU_DEP_2)
	s_or_b32 exec_lo, exec_lo, s13
	v_lshrrev_b16 v4, 8, v0
	v_dual_mov_b32 v7, 0 :: v_dual_mov_b32 v5, 0
	s_mov_b32 s42, exec_lo
	v_cmpx_ne_u16_e32 0, v4
	s_cbranch_execz .LBB6_12238
; %bb.12229:                            ;   in Loop: Header=BB6_9788 Depth=3
	v_bfrev_b32_e32 v5, 1
	s_mov_b32 s43, exec_lo
	v_cmpx_ne_u16_e32 0x80, v4
	s_cbranch_execz .LBB6_12237
; %bb.12230:                            ;   in Loop: Header=BB6_9788 Depth=3
	v_and_b32_e32 v1, 0xffff, v4
	s_delay_alu instid0(VALU_DEP_1) | instskip(SKIP_1) | instid1(VALU_DEP_2)
	v_and_b32_e32 v5, 0x7c, v1
	v_and_b32_e32 v113, 3, v1
	v_cmp_ne_u32_e32 vcc_lo, 0x7c, v5
                                        ; implicit-def: $vgpr5
	s_and_saveexec_b32 s13, vcc_lo
	s_delay_alu instid0(SALU_CYCLE_1)
	s_xor_b32 s13, exec_lo, s13
	s_cbranch_execz .LBB6_12234
; %bb.12231:                            ;   in Loop: Header=BB6_9788 Depth=3
	v_bfe_u32 v1, v1, 2, 5
	s_mov_b32 s72, exec_lo
	s_delay_alu instid0(VALU_DEP_1)
	v_cmpx_eq_u32_e32 0, v1
	s_cbranch_execz .LBB6_12233
; %bb.12232:                            ;   in Loop: Header=BB6_9788 Depth=3
	v_clz_i32_u32_e32 v1, v113
	s_delay_alu instid0(VALU_DEP_1) | instskip(SKIP_1) | instid1(VALU_DEP_2)
	v_min_u32_e32 v1, 32, v1
	v_mov_b32_e32 v5, v21
	v_subrev_nc_u32_e32 v113, 29, v1
	v_sub_nc_u32_e32 v1, 30, v1
	s_delay_alu instid0(VALU_DEP_2) | instskip(NEXT) | instid1(VALU_DEP_1)
	v_lshlrev_b64_e32 v[4:5], v113, v[4:5]
	v_and_b32_e32 v113, 3, v4
.LBB6_12233:                            ;   in Loop: Header=BB6_9788 Depth=3
	s_or_b32 exec_lo, exec_lo, s72
	v_lshlrev_b32_e32 v0, 16, v0
	s_delay_alu instid0(VALU_DEP_1) | instskip(NEXT) | instid1(VALU_DEP_1)
	v_and_b32_e32 v0, 0x80000000, v0
	v_lshl_add_u32 v0, v1, 23, v0
	s_delay_alu instid0(VALU_DEP_1) | instskip(NEXT) | instid1(VALU_DEP_1)
	v_lshl_or_b32 v0, v113, 21, v0
                                        ; implicit-def: $vgpr113
	v_add_nc_u32_e32 v5, 0x38000000, v0
                                        ; implicit-def: $vgpr0_vgpr1
.LBB6_12234:                            ;   in Loop: Header=BB6_9788 Depth=3
	s_and_not1_saveexec_b32 s72, s13
; %bb.12235:                            ;   in Loop: Header=BB6_9788 Depth=3
	v_cmp_lt_i16_e64 s13, -1, v0
	v_mov_b32_e32 v0, 0x7f800000
	v_cmp_eq_u32_e32 vcc_lo, 0, v113
	s_delay_alu instid0(VALU_DEP_2) | instskip(NEXT) | instid1(VALU_DEP_1)
	v_cndmask_b32_e64 v0, 0xff800000, v0, s13
	v_cndmask_b32_e32 v5, 0x7f800001, v0, vcc_lo
; %bb.12236:                            ;   in Loop: Header=BB6_9788 Depth=3
	s_or_b32 exec_lo, exec_lo, s72
.LBB6_12237:                            ;   in Loop: Header=BB6_9788 Depth=3
	s_delay_alu instid0(SALU_CYCLE_1)
	s_or_b32 exec_lo, exec_lo, s43
.LBB6_12238:                            ;   in Loop: Header=BB6_9788 Depth=3
	s_delay_alu instid0(SALU_CYCLE_1) | instskip(SKIP_2) | instid1(VALU_DEP_1)
	s_or_b32 exec_lo, exec_lo, s42
	v_lshrrev_b16 v0, 8, v11
	s_mov_b32 s42, exec_lo
	v_cmpx_ne_u16_e32 0, v0
	s_cbranch_execz .LBB6_12248
; %bb.12239:                            ;   in Loop: Header=BB6_9788 Depth=3
	v_bfrev_b32_e32 v7, 1
	s_mov_b32 s43, exec_lo
	v_cmpx_ne_u16_e32 0x80, v0
	s_cbranch_execz .LBB6_12247
; %bb.12240:                            ;   in Loop: Header=BB6_9788 Depth=3
	v_and_b32_e32 v4, 0xffff, v0
	s_delay_alu instid0(VALU_DEP_1) | instskip(SKIP_1) | instid1(VALU_DEP_2)
	v_and_b32_e32 v7, 0x7c, v4
	v_and_b32_e32 v1, 3, v4
	v_cmp_ne_u32_e32 vcc_lo, 0x7c, v7
                                        ; implicit-def: $vgpr7
	s_and_saveexec_b32 s13, vcc_lo
	s_delay_alu instid0(SALU_CYCLE_1)
	s_xor_b32 s13, exec_lo, s13
	s_cbranch_execz .LBB6_12244
; %bb.12241:                            ;   in Loop: Header=BB6_9788 Depth=3
	v_bfe_u32 v4, v4, 2, 5
	s_mov_b32 s72, exec_lo
	s_delay_alu instid0(VALU_DEP_1)
	v_cmpx_eq_u32_e32 0, v4
	s_cbranch_execz .LBB6_12243
; %bb.12242:                            ;   in Loop: Header=BB6_9788 Depth=3
	v_clz_i32_u32_e32 v1, v1
	s_delay_alu instid0(VALU_DEP_1) | instskip(SKIP_1) | instid1(VALU_DEP_2)
	v_min_u32_e32 v4, 32, v1
	v_mov_b32_e32 v1, v21
	v_subrev_nc_u32_e32 v7, 29, v4
	v_sub_nc_u32_e32 v4, 30, v4
	s_delay_alu instid0(VALU_DEP_2) | instskip(NEXT) | instid1(VALU_DEP_1)
	v_lshlrev_b64_e32 v[0:1], v7, v[0:1]
	v_and_b32_e32 v1, 3, v0
.LBB6_12243:                            ;   in Loop: Header=BB6_9788 Depth=3
	s_or_b32 exec_lo, exec_lo, s72
	v_lshlrev_b32_e32 v0, 16, v11
	s_delay_alu instid0(VALU_DEP_1) | instskip(NEXT) | instid1(VALU_DEP_1)
	v_and_b32_e32 v0, 0x80000000, v0
	v_lshl_add_u32 v0, v4, 23, v0
	s_delay_alu instid0(VALU_DEP_1) | instskip(NEXT) | instid1(VALU_DEP_1)
	v_lshl_or_b32 v0, v1, 21, v0
                                        ; implicit-def: $vgpr1
	v_add_nc_u32_e32 v7, 0x38000000, v0
.LBB6_12244:                            ;   in Loop: Header=BB6_9788 Depth=3
	s_and_not1_saveexec_b32 s72, s13
; %bb.12245:                            ;   in Loop: Header=BB6_9788 Depth=3
	v_cmp_lt_i16_e64 s13, -1, v11
	v_mov_b32_e32 v0, 0x7f800000
	v_cmp_eq_u32_e32 vcc_lo, 0, v1
	s_delay_alu instid0(VALU_DEP_2) | instskip(NEXT) | instid1(VALU_DEP_1)
	v_cndmask_b32_e64 v0, 0xff800000, v0, s13
	v_cndmask_b32_e32 v7, 0x7f800001, v0, vcc_lo
; %bb.12246:                            ;   in Loop: Header=BB6_9788 Depth=3
	s_or_b32 exec_lo, exec_lo, s72
.LBB6_12247:                            ;   in Loop: Header=BB6_9788 Depth=3
	s_delay_alu instid0(SALU_CYCLE_1)
	s_or_b32 exec_lo, exec_lo, s43
.LBB6_12248:                            ;   in Loop: Header=BB6_9788 Depth=3
	s_delay_alu instid0(SALU_CYCLE_1) | instskip(NEXT) | instid1(VALU_DEP_1)
	s_or_b32 exec_lo, exec_lo, s42
	v_mul_f32_e32 v4, v5, v7
	v_dual_mov_b32 v115, v21 :: v_dual_mov_b32 v1, v21
                                        ; implicit-def: $vgpr7
	s_mov_b32 s13, exec_lo
	s_delay_alu instid0(VALU_DEP_2) | instskip(SKIP_2) | instid1(VALU_DEP_3)
	v_and_b32_e32 v114, 0x7f800000, v4
	v_and_b32_e32 v0, 0x7fffff, v4
	v_lshrrev_b32_e32 v5, 24, v4
	v_cmpx_ne_u64_e32 0x7f800000, v[114:115]
	s_xor_b32 s42, exec_lo, s13
	s_cbranch_execz .LBB6_12262
; %bb.12249:                            ;   in Loop: Header=BB6_9788 Depth=3
	v_and_b32_e32 v114, 0x7fffffff, v4
	v_mov_b32_e32 v115, v21
	v_and_b32_e32 v113, 0x80, v5
                                        ; implicit-def: $vgpr7
	s_mov_b32 s13, exec_lo
	s_delay_alu instid0(VALU_DEP_2)
	v_cmpx_gt_u64_e32 0x47600001, v[114:115]
	s_xor_b32 s43, exec_lo, s13
	s_cbranch_execz .LBB6_12259
; %bb.12250:                            ;   in Loop: Header=BB6_9788 Depth=3
	v_mov_b32_e32 v7, 0
	s_mov_b32 s72, exec_lo
	v_cmpx_ne_u32_e32 0, v4
	s_cbranch_execz .LBB6_12258
; %bb.12251:                            ;   in Loop: Header=BB6_9788 Depth=3
	v_bfe_u32 v7, v4, 23, 8
	v_or_b32_e32 v5, 0x800000, v0
	s_delay_alu instid0(VALU_DEP_2) | instskip(SKIP_2) | instid1(VALU_DEP_2)
	v_cmp_gt_u32_e64 s13, 0x72, v7
	v_sub_nc_u32_e32 v4, 0x71, v7
	v_cmp_eq_u32_e32 vcc_lo, 0, v7
	v_cndmask_b32_e64 v4, 0, v4, s13
	s_delay_alu instid0(VALU_DEP_1) | instskip(NEXT) | instid1(VALU_DEP_1)
	v_cndmask_b32_e64 v114, v4, 0x70, vcc_lo
	v_dual_cndmask_b32 v0, v5, v0, vcc_lo :: v_dual_add_nc_u32 v4, 21, v114
	v_add_nc_u32_e32 v115, 20, v114
	s_delay_alu instid0(VALU_DEP_2) | instskip(NEXT) | instid1(VALU_DEP_2)
	v_lshlrev_b64_e64 v[4:5], v4, -1
	v_lshlrev_b64_e64 v[116:117], v115, 1
	s_delay_alu instid0(VALU_DEP_2) | instskip(SKIP_1) | instid1(VALU_DEP_4)
	v_bfi_b32 v4, v4, 0, v0
	v_lshrrev_b64 v[0:1], v114, v[0:1]
	v_bfi_b32 v5, v5, 0, 0
	s_delay_alu instid0(VALU_DEP_1) | instskip(NEXT) | instid1(VALU_DEP_3)
	v_cmp_eq_u64_e64 s13, v[4:5], v[116:117]
	v_mov_b64_e32 v[4:5], v[0:1]
	s_and_saveexec_b32 s73, s13
; %bb.12252:                            ;   in Loop: Header=BB6_9788 Depth=3
	v_bfe_u32 v4, v0, 21, 1
	v_mov_b32_e32 v5, v21
	s_delay_alu instid0(VALU_DEP_1) | instskip(NEXT) | instid1(VALU_DEP_1)
	v_add_nc_u64_e32 v[4:5], v[0:1], v[4:5]
	v_add_nc_u64_e32 v[4:5], -1, v[4:5]
; %bb.12253:                            ;   in Loop: Header=BB6_9788 Depth=3
	s_or_b32 exec_lo, exec_lo, s73
	v_add_nc_u32_e32 v1, 0xffffff81, v7
	v_lshrrev_b32_e32 v5, 23, v0
	s_mov_b32 s13, exec_lo
	s_delay_alu instid0(VALU_DEP_2) | instskip(NEXT) | instid1(VALU_DEP_1)
	v_cndmask_b32_e64 v1, v1, 0xffffff82, vcc_lo
	v_add3_u32 v7, v114, v1, v5
	v_and_b32_e32 v1, 0x1fffff, v4
                                        ; implicit-def: $vgpr4
	s_delay_alu instid0(VALU_DEP_1) | instskip(SKIP_1) | instid1(VALU_DEP_2)
	v_dual_add_nc_u32 v5, 14, v7 :: v_dual_add_nc_u32 v0, v1, v0
	v_mov_b32_e32 v1, v21
	v_cmpx_ne_u32_e32 0, v5
	s_xor_b32 s13, exec_lo, s13
; %bb.12254:                            ;   in Loop: Header=BB6_9788 Depth=3
	s_delay_alu instid0(VALU_DEP_2) | instskip(SKIP_1) | instid1(VALU_DEP_1)
	v_cmp_lt_u64_e32 vcc_lo, 0xffffff, v[0:1]
	v_add_nc_u32_e32 v4, 15, v7
	v_cndmask_b32_e32 v4, v5, v4, vcc_lo
	v_cndmask_b32_e64 v5, 0, 1, vcc_lo
	s_delay_alu instid0(VALU_DEP_1)
	v_lshrrev_b64 v[0:1], v5, v[0:1]
; %bb.12255:                            ;   in Loop: Header=BB6_9788 Depth=3
	s_and_not1_saveexec_b32 s13, s13
; %bb.12256:                            ;   in Loop: Header=BB6_9788 Depth=3
	s_delay_alu instid0(VALU_DEP_1)
	v_bfe_u32 v4, v0, 23, 1
; %bb.12257:                            ;   in Loop: Header=BB6_9788 Depth=3
	s_or_b32 exec_lo, exec_lo, s13
	s_delay_alu instid0(VALU_DEP_2) | instskip(NEXT) | instid1(VALU_DEP_2)
	v_lshrrev_b64 v[0:1], 21, v[0:1]
	v_cmp_gt_i32_e32 vcc_lo, 32, v4
	v_min_i32_e32 v5, 31, v4
	v_cmp_eq_u32_e64 s13, 0, v4
	s_delay_alu instid0(VALU_DEP_4) | instskip(NEXT) | instid1(VALU_DEP_3)
	v_cndmask_b32_e32 v1, 0, v1, vcc_lo
	v_dual_cndmask_b32 v0, 3, v0 :: v_dual_lshlrev_b32 v5, 2, v5
	s_delay_alu instid0(VALU_DEP_1) | instskip(NEXT) | instid1(VALU_DEP_2)
	v_and_b32_e32 v5, 0xfc, v5
	v_cmp_eq_u64_e32 vcc_lo, 0, v[0:1]
	s_delay_alu instid0(VALU_DEP_2)
	v_and_or_b32 v0, v0, 3, v5
	s_and_b32 s13, s13, vcc_lo
	s_delay_alu instid0(VALU_DEP_1) | instid1(SALU_CYCLE_1)
	v_cndmask_b32_e64 v0, v0, 0, s13
	s_delay_alu instid0(VALU_DEP_1)
	v_or_b32_e32 v7, v0, v113
.LBB6_12258:                            ;   in Loop: Header=BB6_9788 Depth=3
	s_or_b32 exec_lo, exec_lo, s72
                                        ; implicit-def: $vgpr113
.LBB6_12259:                            ;   in Loop: Header=BB6_9788 Depth=3
	s_and_not1_saveexec_b32 s13, s43
; %bb.12260:                            ;   in Loop: Header=BB6_9788 Depth=3
	v_or_b32_e32 v7, 0x7b, v113
; %bb.12261:                            ;   in Loop: Header=BB6_9788 Depth=3
	s_or_b32 exec_lo, exec_lo, s13
                                        ; implicit-def: $vgpr4
                                        ; implicit-def: $vgpr0_vgpr1
                                        ; implicit-def: $vgpr5
.LBB6_12262:                            ;   in Loop: Header=BB6_9788 Depth=3
	s_and_not1_saveexec_b32 s13, s42
	s_cbranch_execz .LBB6_12268
; %bb.12263:                            ;   in Loop: Header=BB6_9788 Depth=3
	s_mov_b32 s42, exec_lo
                                        ; implicit-def: $vgpr7
	v_cmpx_ne_u64_e32 0, v[0:1]
	s_xor_b32 s42, exec_lo, s42
; %bb.12264:                            ;   in Loop: Header=BB6_9788 Depth=3
	v_or_b32_e32 v7, 0x7f, v5
                                        ; implicit-def: $vgpr4
; %bb.12265:                            ;   in Loop: Header=BB6_9788 Depth=3
	s_and_not1_saveexec_b32 s42, s42
; %bb.12266:                            ;   in Loop: Header=BB6_9788 Depth=3
	v_cmp_lt_i32_e32 vcc_lo, -1, v4
	v_mov_b32_e32 v0, 0x7c
	s_delay_alu instid0(VALU_DEP_1)
	v_cndmask_b32_e32 v7, 0xfc, v0, vcc_lo
; %bb.12267:                            ;   in Loop: Header=BB6_9788 Depth=3
	s_or_b32 exec_lo, exec_lo, s42
.LBB6_12268:                            ;   in Loop: Header=BB6_9788 Depth=3
	s_delay_alu instid0(SALU_CYCLE_1) | instskip(SKIP_3) | instid1(VALU_DEP_2)
	s_or_b32 exec_lo, exec_lo, s13
	v_dual_mov_b32 v1, 0 :: v_dual_lshrrev_b32 v0, 16, v3
	v_mov_b32_e32 v4, 0
	s_mov_b32 s42, exec_lo
	v_and_b32_e32 v5, 0xff, v0
	s_delay_alu instid0(VALU_DEP_1)
	v_cmpx_ne_u16_e32 0, v5
	s_cbranch_execz .LBB6_12278
; %bb.12269:                            ;   in Loop: Header=BB6_9788 Depth=3
	v_bfrev_b32_e32 v4, 1
	s_mov_b32 s43, exec_lo
	v_cmpx_ne_u16_e32 0x80, v5
	s_cbranch_execz .LBB6_12277
; %bb.12270:                            ;   in Loop: Header=BB6_9788 Depth=3
	v_and_b32_e32 v4, 0x7c0000, v3
	v_bfe_u32 v5, v3, 16, 2
	s_delay_alu instid0(VALU_DEP_2) | instskip(SKIP_1) | instid1(SALU_CYCLE_1)
	v_cmp_ne_u32_e32 vcc_lo, 0x7c0000, v4
                                        ; implicit-def: $vgpr4
	s_and_saveexec_b32 s13, vcc_lo
	s_xor_b32 s13, exec_lo, s13
	s_cbranch_execz .LBB6_12274
; %bb.12271:                            ;   in Loop: Header=BB6_9788 Depth=3
	v_bfe_u32 v4, v3, 18, 5
	s_mov_b32 s72, exec_lo
	s_delay_alu instid0(VALU_DEP_1)
	v_cmpx_eq_u32_e32 0, v4
; %bb.12272:                            ;   in Loop: Header=BB6_9788 Depth=3
	v_clz_i32_u32_e32 v4, v5
	s_delay_alu instid0(VALU_DEP_1) | instskip(NEXT) | instid1(VALU_DEP_1)
	v_min_u32_e32 v4, 32, v4
	v_subrev_nc_u32_e32 v5, 29, v4
	s_delay_alu instid0(VALU_DEP_1) | instskip(NEXT) | instid1(VALU_DEP_1)
	v_lshlrev_b64_e32 v[114:115], v5, v[0:1]
	v_dual_sub_nc_u32 v4, 30, v4 :: v_dual_bitop2_b32 v5, 3, v114 bitop3:0x40
; %bb.12273:                            ;   in Loop: Header=BB6_9788 Depth=3
	s_or_b32 exec_lo, exec_lo, s72
	v_lshlrev_b32_e32 v0, 24, v0
	s_delay_alu instid0(VALU_DEP_1) | instskip(NEXT) | instid1(VALU_DEP_1)
	v_and_b32_e32 v0, 0x80000000, v0
	v_lshl_add_u32 v0, v4, 23, v0
	s_delay_alu instid0(VALU_DEP_1) | instskip(NEXT) | instid1(VALU_DEP_1)
	v_lshl_or_b32 v0, v5, 21, v0
                                        ; implicit-def: $vgpr5
	v_add_nc_u32_e32 v4, 0x38000000, v0
                                        ; implicit-def: $vgpr0
.LBB6_12274:                            ;   in Loop: Header=BB6_9788 Depth=3
	s_and_not1_saveexec_b32 s72, s13
; %bb.12275:                            ;   in Loop: Header=BB6_9788 Depth=3
	v_bfe_i32 v0, v0, 0, 8
	v_cmp_eq_u32_e32 vcc_lo, 0, v5
	s_delay_alu instid0(VALU_DEP_2) | instskip(SKIP_1) | instid1(VALU_DEP_1)
	v_cmp_lt_i16_e64 s13, -1, v0
	v_mov_b32_e32 v0, 0x7f800000
	v_cndmask_b32_e64 v0, 0xff800000, v0, s13
	s_delay_alu instid0(VALU_DEP_1)
	v_cndmask_b32_e32 v4, 0x7f800001, v0, vcc_lo
; %bb.12276:                            ;   in Loop: Header=BB6_9788 Depth=3
	s_or_b32 exec_lo, exec_lo, s72
.LBB6_12277:                            ;   in Loop: Header=BB6_9788 Depth=3
	s_delay_alu instid0(SALU_CYCLE_1)
	s_or_b32 exec_lo, exec_lo, s43
.LBB6_12278:                            ;   in Loop: Header=BB6_9788 Depth=3
	s_delay_alu instid0(SALU_CYCLE_1) | instskip(SKIP_2) | instid1(VALU_DEP_1)
	s_or_b32 exec_lo, exec_lo, s42
	v_lshrrev_b32_e32 v0, 16, v11
	s_mov_b32 s42, exec_lo
	v_and_b32_e32 v5, 0xff, v0
	s_delay_alu instid0(VALU_DEP_1)
	v_cmpx_ne_u16_e32 0, v5
	s_cbranch_execz .LBB6_12288
; %bb.12279:                            ;   in Loop: Header=BB6_9788 Depth=3
	v_bfrev_b32_e32 v1, 1
	s_mov_b32 s43, exec_lo
	v_cmpx_ne_u16_e32 0x80, v5
	s_cbranch_execz .LBB6_12287
; %bb.12280:                            ;   in Loop: Header=BB6_9788 Depth=3
	v_and_b32_e32 v1, 0x7c0000, v11
	v_bfe_u32 v5, v11, 16, 2
	s_delay_alu instid0(VALU_DEP_2) | instskip(SKIP_1) | instid1(SALU_CYCLE_1)
	v_cmp_ne_u32_e32 vcc_lo, 0x7c0000, v1
                                        ; implicit-def: $vgpr1
	s_and_saveexec_b32 s13, vcc_lo
	s_xor_b32 s13, exec_lo, s13
	s_cbranch_execz .LBB6_12284
; %bb.12281:                            ;   in Loop: Header=BB6_9788 Depth=3
	v_bfe_u32 v1, v11, 18, 5
	s_mov_b32 s72, exec_lo
	s_delay_alu instid0(VALU_DEP_1)
	v_cmpx_eq_u32_e32 0, v1
; %bb.12282:                            ;   in Loop: Header=BB6_9788 Depth=3
	v_clz_i32_u32_e32 v1, v5
	s_delay_alu instid0(VALU_DEP_1) | instskip(NEXT) | instid1(VALU_DEP_1)
	v_min_u32_e32 v1, 32, v1
	v_subrev_nc_u32_e32 v5, 29, v1
	s_delay_alu instid0(VALU_DEP_1) | instskip(NEXT) | instid1(VALU_DEP_1)
	v_lshlrev_b64_e32 v[114:115], v5, v[0:1]
	v_dual_sub_nc_u32 v1, 30, v1 :: v_dual_bitop2_b32 v5, 3, v114 bitop3:0x40
; %bb.12283:                            ;   in Loop: Header=BB6_9788 Depth=3
	s_or_b32 exec_lo, exec_lo, s72
	v_lshlrev_b32_e32 v0, 24, v0
	s_delay_alu instid0(VALU_DEP_1) | instskip(NEXT) | instid1(VALU_DEP_1)
	v_and_b32_e32 v0, 0x80000000, v0
	v_lshl_add_u32 v0, v1, 23, v0
	s_delay_alu instid0(VALU_DEP_1) | instskip(NEXT) | instid1(VALU_DEP_1)
	v_lshl_or_b32 v0, v5, 21, v0
                                        ; implicit-def: $vgpr5
	v_add_nc_u32_e32 v1, 0x38000000, v0
                                        ; implicit-def: $vgpr0
.LBB6_12284:                            ;   in Loop: Header=BB6_9788 Depth=3
	s_and_not1_saveexec_b32 s72, s13
; %bb.12285:                            ;   in Loop: Header=BB6_9788 Depth=3
	v_bfe_i32 v0, v0, 0, 8
	v_cmp_eq_u32_e32 vcc_lo, 0, v5
	s_delay_alu instid0(VALU_DEP_2) | instskip(SKIP_1) | instid1(VALU_DEP_1)
	v_cmp_lt_i16_e64 s13, -1, v0
	v_mov_b32_e32 v0, 0x7f800000
	v_cndmask_b32_e64 v0, 0xff800000, v0, s13
	s_delay_alu instid0(VALU_DEP_1)
	v_cndmask_b32_e32 v1, 0x7f800001, v0, vcc_lo
; %bb.12286:                            ;   in Loop: Header=BB6_9788 Depth=3
	s_or_b32 exec_lo, exec_lo, s72
.LBB6_12287:                            ;   in Loop: Header=BB6_9788 Depth=3
	s_delay_alu instid0(SALU_CYCLE_1)
	s_or_b32 exec_lo, exec_lo, s43
.LBB6_12288:                            ;   in Loop: Header=BB6_9788 Depth=3
	s_delay_alu instid0(SALU_CYCLE_1) | instskip(NEXT) | instid1(VALU_DEP_1)
	s_or_b32 exec_lo, exec_lo, s42
	v_dual_mul_f32 v5, v4, v1 :: v_dual_mov_b32 v115, v21
	v_mov_b32_e32 v1, v21
                                        ; implicit-def: $vgpr4
	s_mov_b32 s13, exec_lo
	s_delay_alu instid0(VALU_DEP_2) | instskip(SKIP_2) | instid1(VALU_DEP_3)
	v_and_b32_e32 v114, 0x7f800000, v5
	v_and_b32_e32 v0, 0x7fffff, v5
	v_lshrrev_b32_e32 v113, 24, v5
	v_cmpx_ne_u64_e32 0x7f800000, v[114:115]
	s_xor_b32 s42, exec_lo, s13
	s_cbranch_execz .LBB6_12302
; %bb.12289:                            ;   in Loop: Header=BB6_9788 Depth=3
	v_and_b32_e32 v114, 0x7fffffff, v5
	v_mov_b32_e32 v115, v21
	v_and_b32_e32 v113, 0x80, v113
                                        ; implicit-def: $vgpr4
	s_mov_b32 s13, exec_lo
	s_delay_alu instid0(VALU_DEP_2)
	v_cmpx_gt_u64_e32 0x47600001, v[114:115]
	s_xor_b32 s43, exec_lo, s13
	s_cbranch_execz .LBB6_12299
; %bb.12290:                            ;   in Loop: Header=BB6_9788 Depth=3
	v_mov_b32_e32 v4, 0
	s_mov_b32 s72, exec_lo
	v_cmpx_ne_u32_e32 0, v5
	s_cbranch_execz .LBB6_12298
; %bb.12291:                            ;   in Loop: Header=BB6_9788 Depth=3
	v_bfe_u32 v114, v5, 23, 8
	v_or_b32_e32 v5, 0x800000, v0
	s_delay_alu instid0(VALU_DEP_2) | instskip(SKIP_2) | instid1(VALU_DEP_2)
	v_cmp_gt_u32_e64 s13, 0x72, v114
	v_sub_nc_u32_e32 v4, 0x71, v114
	v_cmp_eq_u32_e32 vcc_lo, 0, v114
	v_cndmask_b32_e64 v4, 0, v4, s13
	s_delay_alu instid0(VALU_DEP_1) | instskip(NEXT) | instid1(VALU_DEP_1)
	v_cndmask_b32_e64 v115, v4, 0x70, vcc_lo
	v_dual_cndmask_b32 v0, v5, v0, vcc_lo :: v_dual_add_nc_u32 v4, 21, v115
	v_add_nc_u32_e32 v116, 20, v115
	s_delay_alu instid0(VALU_DEP_2) | instskip(NEXT) | instid1(VALU_DEP_2)
	v_lshlrev_b64_e64 v[4:5], v4, -1
	v_lshlrev_b64_e64 v[116:117], v116, 1
	s_delay_alu instid0(VALU_DEP_2) | instskip(SKIP_1) | instid1(VALU_DEP_4)
	v_bfi_b32 v4, v4, 0, v0
	v_lshrrev_b64 v[0:1], v115, v[0:1]
	v_bfi_b32 v5, v5, 0, 0
	s_delay_alu instid0(VALU_DEP_1) | instskip(NEXT) | instid1(VALU_DEP_3)
	v_cmp_eq_u64_e64 s13, v[4:5], v[116:117]
	v_mov_b64_e32 v[4:5], v[0:1]
	s_and_saveexec_b32 s73, s13
; %bb.12292:                            ;   in Loop: Header=BB6_9788 Depth=3
	v_bfe_u32 v4, v0, 21, 1
	v_mov_b32_e32 v5, v21
	s_delay_alu instid0(VALU_DEP_1) | instskip(NEXT) | instid1(VALU_DEP_1)
	v_add_nc_u64_e32 v[4:5], v[0:1], v[4:5]
	v_add_nc_u64_e32 v[4:5], -1, v[4:5]
; %bb.12293:                            ;   in Loop: Header=BB6_9788 Depth=3
	s_or_b32 exec_lo, exec_lo, s73
	v_add_nc_u32_e32 v1, 0xffffff81, v114
	v_lshrrev_b32_e32 v5, 23, v0
	s_mov_b32 s13, exec_lo
	s_delay_alu instid0(VALU_DEP_2) | instskip(NEXT) | instid1(VALU_DEP_1)
	v_cndmask_b32_e64 v1, v1, 0xffffff82, vcc_lo
	v_add3_u32 v114, v115, v1, v5
	v_and_b32_e32 v1, 0x1fffff, v4
                                        ; implicit-def: $vgpr4
	s_delay_alu instid0(VALU_DEP_1) | instskip(SKIP_1) | instid1(VALU_DEP_2)
	v_dual_add_nc_u32 v5, 14, v114 :: v_dual_add_nc_u32 v0, v1, v0
	v_mov_b32_e32 v1, v21
	v_cmpx_ne_u32_e32 0, v5
	s_xor_b32 s13, exec_lo, s13
; %bb.12294:                            ;   in Loop: Header=BB6_9788 Depth=3
	s_delay_alu instid0(VALU_DEP_2) | instskip(SKIP_1) | instid1(VALU_DEP_1)
	v_cmp_lt_u64_e32 vcc_lo, 0xffffff, v[0:1]
	v_add_nc_u32_e32 v4, 15, v114
	v_cndmask_b32_e32 v4, v5, v4, vcc_lo
	v_cndmask_b32_e64 v5, 0, 1, vcc_lo
	s_delay_alu instid0(VALU_DEP_1)
	v_lshrrev_b64 v[0:1], v5, v[0:1]
; %bb.12295:                            ;   in Loop: Header=BB6_9788 Depth=3
	s_and_not1_saveexec_b32 s13, s13
; %bb.12296:                            ;   in Loop: Header=BB6_9788 Depth=3
	s_delay_alu instid0(VALU_DEP_1)
	v_bfe_u32 v4, v0, 23, 1
; %bb.12297:                            ;   in Loop: Header=BB6_9788 Depth=3
	s_or_b32 exec_lo, exec_lo, s13
	s_delay_alu instid0(VALU_DEP_2) | instskip(NEXT) | instid1(VALU_DEP_2)
	v_lshrrev_b64 v[0:1], 21, v[0:1]
	v_cmp_gt_i32_e32 vcc_lo, 32, v4
	v_min_i32_e32 v5, 31, v4
	v_cmp_eq_u32_e64 s13, 0, v4
	s_delay_alu instid0(VALU_DEP_4) | instskip(NEXT) | instid1(VALU_DEP_3)
	v_cndmask_b32_e32 v1, 0, v1, vcc_lo
	v_dual_cndmask_b32 v0, 3, v0 :: v_dual_lshlrev_b32 v5, 2, v5
	s_delay_alu instid0(VALU_DEP_1) | instskip(NEXT) | instid1(VALU_DEP_2)
	v_and_b32_e32 v5, 0xfc, v5
	v_cmp_eq_u64_e32 vcc_lo, 0, v[0:1]
	s_delay_alu instid0(VALU_DEP_2)
	v_and_or_b32 v0, v0, 3, v5
	s_and_b32 s13, s13, vcc_lo
	s_delay_alu instid0(VALU_DEP_1) | instid1(SALU_CYCLE_1)
	v_cndmask_b32_e64 v0, v0, 0, s13
	s_delay_alu instid0(VALU_DEP_1)
	v_or_b32_e32 v4, v0, v113
.LBB6_12298:                            ;   in Loop: Header=BB6_9788 Depth=3
	s_or_b32 exec_lo, exec_lo, s72
                                        ; implicit-def: $vgpr113
.LBB6_12299:                            ;   in Loop: Header=BB6_9788 Depth=3
	s_and_not1_saveexec_b32 s13, s43
; %bb.12300:                            ;   in Loop: Header=BB6_9788 Depth=3
	v_or_b32_e32 v4, 0x7b, v113
; %bb.12301:                            ;   in Loop: Header=BB6_9788 Depth=3
	s_or_b32 exec_lo, exec_lo, s13
                                        ; implicit-def: $vgpr5
                                        ; implicit-def: $vgpr0_vgpr1
                                        ; implicit-def: $vgpr113
.LBB6_12302:                            ;   in Loop: Header=BB6_9788 Depth=3
	s_and_not1_saveexec_b32 s13, s42
	s_cbranch_execz .LBB6_12308
; %bb.12303:                            ;   in Loop: Header=BB6_9788 Depth=3
	s_mov_b32 s42, exec_lo
                                        ; implicit-def: $vgpr4
	v_cmpx_ne_u64_e32 0, v[0:1]
	s_xor_b32 s42, exec_lo, s42
; %bb.12304:                            ;   in Loop: Header=BB6_9788 Depth=3
	v_or_b32_e32 v4, 0x7f, v113
                                        ; implicit-def: $vgpr5
; %bb.12305:                            ;   in Loop: Header=BB6_9788 Depth=3
	s_and_not1_saveexec_b32 s42, s42
; %bb.12306:                            ;   in Loop: Header=BB6_9788 Depth=3
	v_cmp_lt_i32_e32 vcc_lo, -1, v5
	v_mov_b32_e32 v0, 0x7c
	s_delay_alu instid0(VALU_DEP_1)
	v_cndmask_b32_e32 v4, 0xfc, v0, vcc_lo
; %bb.12307:                            ;   in Loop: Header=BB6_9788 Depth=3
	s_or_b32 exec_lo, exec_lo, s42
.LBB6_12308:                            ;   in Loop: Header=BB6_9788 Depth=3
	s_delay_alu instid0(SALU_CYCLE_1)
	s_or_b32 exec_lo, exec_lo, s13
	v_dual_mov_b32 v1, 0 :: v_dual_mov_b32 v5, 0
	s_mov_b32 s42, exec_lo
	v_cmpx_lt_u64_e64 s[22:23], v[2:3]
	s_cbranch_execz .LBB6_12318
; %bb.12309:                            ;   in Loop: Header=BB6_9788 Depth=3
	v_lshrrev_b32_e32 v0, 24, v3
	v_bfrev_b32_e32 v5, 1
	s_mov_b32 s43, exec_lo
	s_delay_alu instid0(VALU_DEP_2)
	v_cmpx_ne_u32_e32 0x80, v0
	s_cbranch_execz .LBB6_12317
; %bb.12310:                            ;   in Loop: Header=BB6_9788 Depth=3
	v_and_b32_e32 v5, 0x7c000000, v3
	v_bfe_u32 v113, v3, 24, 2
	s_delay_alu instid0(VALU_DEP_2) | instskip(SKIP_1) | instid1(SALU_CYCLE_1)
	v_cmp_ne_u32_e32 vcc_lo, 0x7c000000, v5
                                        ; implicit-def: $vgpr5
	s_and_saveexec_b32 s13, vcc_lo
	s_xor_b32 s13, exec_lo, s13
	s_cbranch_execz .LBB6_12314
; %bb.12311:                            ;   in Loop: Header=BB6_9788 Depth=3
	v_bfe_u32 v2, v3, 26, 5
	s_mov_b32 s72, exec_lo
	s_delay_alu instid0(VALU_DEP_1)
	v_cmpx_eq_u32_e32 0, v2
; %bb.12312:                            ;   in Loop: Header=BB6_9788 Depth=3
	v_clz_i32_u32_e32 v2, v113
	s_delay_alu instid0(VALU_DEP_1) | instskip(NEXT) | instid1(VALU_DEP_1)
	v_min_u32_e32 v2, 32, v2
	v_subrev_nc_u32_e32 v5, 29, v2
	v_sub_nc_u32_e32 v2, 30, v2
	s_delay_alu instid0(VALU_DEP_2) | instskip(NEXT) | instid1(VALU_DEP_1)
	v_lshlrev_b64_e32 v[114:115], v5, v[0:1]
	v_and_b32_e32 v113, 3, v114
; %bb.12313:                            ;   in Loop: Header=BB6_9788 Depth=3
	s_or_b32 exec_lo, exec_lo, s72
	v_and_b32_e32 v0, 0x80000000, v3
	s_delay_alu instid0(VALU_DEP_1) | instskip(NEXT) | instid1(VALU_DEP_1)
	v_lshl_add_u32 v0, v2, 23, v0
                                        ; implicit-def: $vgpr2_vgpr3
	v_lshl_or_b32 v0, v113, 21, v0
                                        ; implicit-def: $vgpr113
	s_delay_alu instid0(VALU_DEP_1)
	v_add_nc_u32_e32 v5, 0x38000000, v0
.LBB6_12314:                            ;   in Loop: Header=BB6_9788 Depth=3
	s_and_not1_saveexec_b32 s72, s13
; %bb.12315:                            ;   in Loop: Header=BB6_9788 Depth=3
	v_cmp_lt_i64_e64 s13, -1, v[2:3]
	v_mov_b32_e32 v0, 0x7f800000
	v_cmp_eq_u32_e32 vcc_lo, 0, v113
	s_delay_alu instid0(VALU_DEP_2) | instskip(NEXT) | instid1(VALU_DEP_1)
	v_cndmask_b32_e64 v0, 0xff800000, v0, s13
	v_cndmask_b32_e32 v5, 0x7f800001, v0, vcc_lo
; %bb.12316:                            ;   in Loop: Header=BB6_9788 Depth=3
	s_or_b32 exec_lo, exec_lo, s72
.LBB6_12317:                            ;   in Loop: Header=BB6_9788 Depth=3
	s_delay_alu instid0(SALU_CYCLE_1)
	s_or_b32 exec_lo, exec_lo, s43
.LBB6_12318:                            ;   in Loop: Header=BB6_9788 Depth=3
	s_delay_alu instid0(SALU_CYCLE_1) | instskip(NEXT) | instid1(SALU_CYCLE_1)
	s_or_b32 exec_lo, exec_lo, s42
	s_mov_b32 s42, exec_lo
	v_cmpx_lt_u64_e64 s[22:23], v[10:11]
	s_cbranch_execz .LBB6_12328
; %bb.12319:                            ;   in Loop: Header=BB6_9788 Depth=3
	v_lshrrev_b32_e32 v0, 24, v11
	v_bfrev_b32_e32 v1, 1
	s_mov_b32 s43, exec_lo
	s_delay_alu instid0(VALU_DEP_2)
	v_cmpx_ne_u32_e32 0x80, v0
	s_cbranch_execz .LBB6_12327
; %bb.12320:                            ;   in Loop: Header=BB6_9788 Depth=3
	v_and_b32_e32 v1, 0x7c000000, v11
	v_bfe_u32 v2, v11, 24, 2
	s_delay_alu instid0(VALU_DEP_2) | instskip(SKIP_1) | instid1(SALU_CYCLE_1)
	v_cmp_ne_u32_e32 vcc_lo, 0x7c000000, v1
                                        ; implicit-def: $vgpr1
	s_and_saveexec_b32 s13, vcc_lo
	s_xor_b32 s13, exec_lo, s13
	s_cbranch_execz .LBB6_12324
; %bb.12321:                            ;   in Loop: Header=BB6_9788 Depth=3
	v_bfe_u32 v1, v11, 26, 5
	s_mov_b32 s72, exec_lo
	s_delay_alu instid0(VALU_DEP_1)
	v_cmpx_eq_u32_e32 0, v1
; %bb.12322:                            ;   in Loop: Header=BB6_9788 Depth=3
	v_clz_i32_u32_e32 v1, v2
	s_delay_alu instid0(VALU_DEP_1) | instskip(NEXT) | instid1(VALU_DEP_1)
	v_min_u32_e32 v2, 32, v1
	v_subrev_nc_u32_e32 v1, 29, v2
	s_delay_alu instid0(VALU_DEP_1) | instskip(NEXT) | instid1(VALU_DEP_1)
	v_lshlrev_b64_e32 v[0:1], v1, v[0:1]
	v_dual_sub_nc_u32 v1, 30, v2 :: v_dual_bitop2_b32 v2, 3, v0 bitop3:0x40
; %bb.12323:                            ;   in Loop: Header=BB6_9788 Depth=3
	s_or_b32 exec_lo, exec_lo, s72
	v_and_b32_e32 v0, 0x80000000, v11
                                        ; implicit-def: $vgpr10_vgpr11
	s_delay_alu instid0(VALU_DEP_1) | instskip(NEXT) | instid1(VALU_DEP_1)
	v_lshl_add_u32 v0, v1, 23, v0
	v_lshl_or_b32 v0, v2, 21, v0
                                        ; implicit-def: $vgpr2
	s_delay_alu instid0(VALU_DEP_1)
	v_add_nc_u32_e32 v1, 0x38000000, v0
.LBB6_12324:                            ;   in Loop: Header=BB6_9788 Depth=3
	s_and_not1_saveexec_b32 s72, s13
; %bb.12325:                            ;   in Loop: Header=BB6_9788 Depth=3
	v_cmp_lt_i64_e64 s13, -1, v[10:11]
	v_mov_b32_e32 v0, 0x7f800000
	v_cmp_eq_u32_e32 vcc_lo, 0, v2
	s_delay_alu instid0(VALU_DEP_2) | instskip(NEXT) | instid1(VALU_DEP_1)
	v_cndmask_b32_e64 v0, 0xff800000, v0, s13
	v_cndmask_b32_e32 v1, 0x7f800001, v0, vcc_lo
; %bb.12326:                            ;   in Loop: Header=BB6_9788 Depth=3
	s_or_b32 exec_lo, exec_lo, s72
.LBB6_12327:                            ;   in Loop: Header=BB6_9788 Depth=3
	s_delay_alu instid0(SALU_CYCLE_1)
	s_or_b32 exec_lo, exec_lo, s43
.LBB6_12328:                            ;   in Loop: Header=BB6_9788 Depth=3
	s_delay_alu instid0(SALU_CYCLE_1) | instskip(NEXT) | instid1(VALU_DEP_1)
	s_or_b32 exec_lo, exec_lo, s42
	v_mul_f32_e32 v3, v5, v1
	v_dual_mov_b32 v11, v21 :: v_dual_mov_b32 v1, v21
                                        ; implicit-def: $vgpr2
	s_mov_b32 s13, exec_lo
	s_delay_alu instid0(VALU_DEP_2) | instskip(SKIP_2) | instid1(VALU_DEP_3)
	v_and_b32_e32 v10, 0x7f800000, v3
	v_and_b32_e32 v0, 0x7fffff, v3
	v_lshrrev_b32_e32 v5, 24, v3
	v_cmpx_ne_u64_e32 0x7f800000, v[10:11]
	s_xor_b32 s42, exec_lo, s13
	s_cbranch_execz .LBB6_12342
; %bb.12329:                            ;   in Loop: Header=BB6_9788 Depth=3
	v_and_b32_e32 v10, 0x7fffffff, v3
	v_mov_b32_e32 v11, v21
	v_and_b32_e32 v5, 0x80, v5
                                        ; implicit-def: $vgpr2
	s_mov_b32 s13, exec_lo
	s_delay_alu instid0(VALU_DEP_2)
	v_cmpx_gt_u64_e32 0x47600001, v[10:11]
	s_xor_b32 s43, exec_lo, s13
	s_cbranch_execz .LBB6_12339
; %bb.12330:                            ;   in Loop: Header=BB6_9788 Depth=3
	v_mov_b32_e32 v2, 0
	s_mov_b32 s72, exec_lo
	v_cmpx_ne_u32_e32 0, v3
	s_cbranch_execz .LBB6_12338
; %bb.12331:                            ;   in Loop: Header=BB6_9788 Depth=3
	v_bfe_u32 v10, v3, 23, 8
	v_or_b32_e32 v3, 0x800000, v0
	s_delay_alu instid0(VALU_DEP_2) | instskip(SKIP_2) | instid1(VALU_DEP_2)
	v_cmp_gt_u32_e64 s13, 0x72, v10
	v_sub_nc_u32_e32 v2, 0x71, v10
	v_cmp_eq_u32_e32 vcc_lo, 0, v10
	v_dual_cndmask_b32 v2, 0, v2, s13 :: v_dual_cndmask_b32 v0, v3, v0, vcc_lo
	s_delay_alu instid0(VALU_DEP_1) | instskip(NEXT) | instid1(VALU_DEP_1)
	v_cndmask_b32_e64 v11, v2, 0x70, vcc_lo
	v_dual_add_nc_u32 v2, 21, v11 :: v_dual_add_nc_u32 v113, 20, v11
	s_delay_alu instid0(VALU_DEP_1) | instskip(NEXT) | instid1(VALU_DEP_2)
	v_lshlrev_b64_e64 v[2:3], v2, -1
	v_lshlrev_b64_e64 v[114:115], v113, 1
	s_delay_alu instid0(VALU_DEP_2) | instskip(SKIP_1) | instid1(VALU_DEP_4)
	v_bfi_b32 v2, v2, 0, v0
	v_lshrrev_b64 v[0:1], v11, v[0:1]
	v_bfi_b32 v3, v3, 0, 0
	s_delay_alu instid0(VALU_DEP_1) | instskip(NEXT) | instid1(VALU_DEP_3)
	v_cmp_eq_u64_e64 s13, v[2:3], v[114:115]
	v_mov_b64_e32 v[2:3], v[0:1]
	s_and_saveexec_b32 s73, s13
; %bb.12332:                            ;   in Loop: Header=BB6_9788 Depth=3
	v_bfe_u32 v2, v0, 21, 1
	v_mov_b32_e32 v3, v21
	s_delay_alu instid0(VALU_DEP_1) | instskip(NEXT) | instid1(VALU_DEP_1)
	v_add_nc_u64_e32 v[2:3], v[0:1], v[2:3]
	v_add_nc_u64_e32 v[2:3], -1, v[2:3]
; %bb.12333:                            ;   in Loop: Header=BB6_9788 Depth=3
	s_or_b32 exec_lo, exec_lo, s73
	v_add_nc_u32_e32 v1, 0xffffff81, v10
	v_lshrrev_b32_e32 v3, 23, v0
	s_mov_b32 s13, exec_lo
	s_delay_alu instid0(VALU_DEP_2) | instskip(NEXT) | instid1(VALU_DEP_1)
	v_cndmask_b32_e64 v1, v1, 0xffffff82, vcc_lo
	v_add3_u32 v10, v11, v1, v3
	v_and_b32_e32 v1, 0x1fffff, v2
                                        ; implicit-def: $vgpr2
	s_delay_alu instid0(VALU_DEP_1) | instskip(SKIP_1) | instid1(VALU_DEP_2)
	v_dual_add_nc_u32 v3, 14, v10 :: v_dual_add_nc_u32 v0, v1, v0
	v_mov_b32_e32 v1, v21
	v_cmpx_ne_u32_e32 0, v3
	s_xor_b32 s13, exec_lo, s13
; %bb.12334:                            ;   in Loop: Header=BB6_9788 Depth=3
	s_delay_alu instid0(VALU_DEP_2) | instskip(SKIP_1) | instid1(VALU_DEP_1)
	v_cmp_lt_u64_e32 vcc_lo, 0xffffff, v[0:1]
	v_add_nc_u32_e32 v2, 15, v10
	v_cndmask_b32_e32 v2, v3, v2, vcc_lo
	v_cndmask_b32_e64 v3, 0, 1, vcc_lo
	s_delay_alu instid0(VALU_DEP_1)
	v_lshrrev_b64 v[0:1], v3, v[0:1]
; %bb.12335:                            ;   in Loop: Header=BB6_9788 Depth=3
	s_and_not1_saveexec_b32 s13, s13
; %bb.12336:                            ;   in Loop: Header=BB6_9788 Depth=3
	s_delay_alu instid0(VALU_DEP_1)
	v_bfe_u32 v2, v0, 23, 1
; %bb.12337:                            ;   in Loop: Header=BB6_9788 Depth=3
	s_or_b32 exec_lo, exec_lo, s13
	s_delay_alu instid0(VALU_DEP_2) | instskip(NEXT) | instid1(VALU_DEP_2)
	v_lshrrev_b64 v[0:1], 21, v[0:1]
	v_cmp_gt_i32_e32 vcc_lo, 32, v2
	v_min_i32_e32 v3, 31, v2
	v_cmp_eq_u32_e64 s13, 0, v2
	s_delay_alu instid0(VALU_DEP_2) | instskip(SKIP_1) | instid1(VALU_DEP_2)
	v_dual_cndmask_b32 v1, 0, v1, vcc_lo :: v_dual_lshlrev_b32 v3, 2, v3
	v_cndmask_b32_e32 v0, 3, v0, vcc_lo
	v_and_b32_e32 v3, 0xfc, v3
	s_delay_alu instid0(VALU_DEP_2) | instskip(NEXT) | instid1(VALU_DEP_2)
	v_cmp_eq_u64_e32 vcc_lo, 0, v[0:1]
	v_and_or_b32 v0, v0, 3, v3
	s_and_b32 s13, s13, vcc_lo
	s_delay_alu instid0(VALU_DEP_1) | instid1(SALU_CYCLE_1)
	v_cndmask_b32_e64 v0, v0, 0, s13
	s_delay_alu instid0(VALU_DEP_1)
	v_or_b32_e32 v2, v0, v5
.LBB6_12338:                            ;   in Loop: Header=BB6_9788 Depth=3
	s_or_b32 exec_lo, exec_lo, s72
                                        ; implicit-def: $vgpr5
.LBB6_12339:                            ;   in Loop: Header=BB6_9788 Depth=3
	s_and_not1_saveexec_b32 s13, s43
; %bb.12340:                            ;   in Loop: Header=BB6_9788 Depth=3
	v_or_b32_e32 v2, 0x7b, v5
; %bb.12341:                            ;   in Loop: Header=BB6_9788 Depth=3
	s_or_b32 exec_lo, exec_lo, s13
                                        ; implicit-def: $vgpr3
                                        ; implicit-def: $vgpr0_vgpr1
                                        ; implicit-def: $vgpr5
.LBB6_12342:                            ;   in Loop: Header=BB6_9788 Depth=3
	s_and_not1_saveexec_b32 s13, s42
	s_cbranch_execz .LBB6_9787
; %bb.12343:                            ;   in Loop: Header=BB6_9788 Depth=3
	s_mov_b32 s42, exec_lo
                                        ; implicit-def: $vgpr2
	v_cmpx_ne_u64_e32 0, v[0:1]
	s_xor_b32 s42, exec_lo, s42
; %bb.12344:                            ;   in Loop: Header=BB6_9788 Depth=3
	v_or_b32_e32 v2, 0x7f, v5
                                        ; implicit-def: $vgpr3
; %bb.12345:                            ;   in Loop: Header=BB6_9788 Depth=3
	s_and_not1_saveexec_b32 s42, s42
	s_cbranch_execz .LBB6_9786
; %bb.12346:                            ;   in Loop: Header=BB6_9788 Depth=3
	v_cmp_lt_i32_e32 vcc_lo, -1, v3
	v_mov_b32_e32 v0, 0x7c
	s_delay_alu instid0(VALU_DEP_1)
	v_cndmask_b32_e32 v2, 0xfc, v0, vcc_lo
	s_branch .LBB6_9786
.LBB6_12347:                            ;   in Loop: Header=BB6_5083 Depth=2
	s_or_b32 exec_lo, exec_lo, s15
	s_clause 0x5
	scratch_load_b32 v80, off, s33 offset:364
	scratch_load_b128 v[82:85], off, s33 offset:368
	scratch_load_b64 v[86:87], off, s33 offset:384
	scratch_load_b64 v[96:97], off, s33 offset:392
	;; [unrolled: 1-line block ×4, first 2 shown]
	s_wait_loadcnt 0x4
	v_mov_b64_e32 v[84:85], v[40:41]
	v_mov_b64_e32 v[102:103], v[42:43]
	s_clause 0xc
	scratch_load_b64 v[114:115], off, s33 offset:416
	scratch_load_b64 v[42:43], off, s33 offset:348
	;; [unrolled: 1-line block ×8, first 2 shown]
	scratch_load_b32 v41, off, s33 offset:464
	scratch_load_b64 v[74:75], off, s33 offset:468
	scratch_load_b64 v[76:77], off, s33 offset:476
	scratch_load_b64 v[78:79], off, s33 offset:484
	scratch_load_b64 v[104:105], off, s33 offset:356
	v_mov_b64_e32 v[116:117], 0
	v_mov_b64_e32 v[94:95], v[56:57]
	;; [unrolled: 1-line block ×3, first 2 shown]
	v_dual_mov_b32 v81, v118 :: v_dual_mov_b32 v118, 1
	v_mov_b32_e32 v119, 0x90
	v_mov_b32_e32 v40, 0x88
.LBB6_12348:                            ;   in Loop: Header=BB6_5083 Depth=2
	s_wait_xcnt 0x0
	s_or_b32 exec_lo, exec_lo, s14
	scratch_load_b32 v0, off, s33 offset:296 ; 4-byte Folded Reload
	v_dual_lshlrev_b32 v20, 11, v29 :: v_dual_mov_b32 v8, 0
	s_mov_b32 s13, 0
                                        ; implicit-def: $vgpr126
                                        ; implicit-def: $vgpr4
	s_wait_loadcnt 0x0
	s_delay_alu instid0(VALU_DEP_1)
	v_cmp_ne_u32_e32 vcc_lo, v0, v20
                                        ; implicit-def: $vgpr0
	s_wait_xcnt 0x0
	s_and_saveexec_b32 s15, vcc_lo
	s_cbranch_execz .LBB6_12932
; %bb.12349:                            ;   in Loop: Header=BB6_5083 Depth=2
	s_clause 0x1
	scratch_load_b32 v1, off, s33 offset:492
	scratch_load_b32 v2, off, s33 offset:296
	v_lshlrev_b32_e32 v0, 5, v28
	s_mov_b32 s42, exec_lo
	s_wait_loadcnt 0x0
	v_sub_nc_u32_e32 v2, v2, v20
	s_delay_alu instid0(VALU_DEP_1) | instskip(NEXT) | instid1(VALU_DEP_1)
	v_dual_sub_nc_u32 v0, v1, v0 :: v_dual_ashrrev_i32 v3, 31, v2
	v_dual_ashrrev_i32 v1, 31, v0 :: v_dual_lshrrev_b32 v3, 23, v3
	s_delay_alu instid0(VALU_DEP_1) | instskip(NEXT) | instid1(VALU_DEP_1)
	v_lshrrev_b32_e32 v1, 27, v1
	v_add_nc_u32_e32 v1, v0, v1
	s_delay_alu instid0(VALU_DEP_1) | instskip(NEXT) | instid1(VALU_DEP_1)
	v_and_b32_e32 v4, 0xffffffe0, v1
	v_dual_add_nc_u32 v3, v2, v3 :: v_dual_sub_nc_u32 v25, v0, v4
	s_delay_alu instid0(VALU_DEP_1) | instskip(SKIP_1) | instid1(VALU_DEP_2)
	v_and_b32_e32 v24, 0xfffffe00, v3
	v_dual_ashrrev_i32 v1, 5, v1 :: v_dual_ashrrev_i32 v3, 9, v3
	v_dual_lshlrev_b32 v0, 4, v25 :: v_dual_sub_nc_u32 v26, v2, v24
	s_delay_alu instid0(VALU_DEP_1) | instskip(NEXT) | instid1(VALU_DEP_2)
	v_lshl_add_u32 v0, v1, 9, v0
	v_cmp_lt_i32_e32 vcc_lo, 15, v26
	s_delay_alu instid0(VALU_DEP_4) | instskip(NEXT) | instid1(VALU_DEP_1)
	v_add_co_ci_u32_e64 v3, null, 0, v3, vcc_lo
	v_dual_sub_nc_u32 v28, v2, v0 :: v_dual_sub_nc_u32 v27, v3, v1
	s_wait_xcnt 0x0
	s_delay_alu instid0(VALU_DEP_1)
	v_cmpx_lt_i32_e32 15, v28
	s_cbranch_execz .LBB6_12929
; %bb.12350:                            ;   in Loop: Header=BB6_5083 Depth=2
	s_trap 2
	ds_load_b64 v[2:3], v0
	v_add_nc_u32_e32 v0, v0, v20
	s_mov_b32 s43, 0
	s_delay_alu instid0(VALU_DEP_1) | instskip(NEXT) | instid1(VALU_DEP_1)
	v_ashrrev_i32_e32 v1, 31, v0
	v_add_nc_u64_e32 v[4:5], v[0:1], v[48:49]
	s_wait_dscnt 0x0
	v_add_nc_u64_e32 v[6:7], v[2:3], v[0:1]
	scratch_load_b64 v[2:3], off, s33 offset:304 ; 8-byte Folded Reload
	s_wait_loadcnt 0x0
	v_add_nc_u64_e32 v[16:17], v[0:1], v[2:3]
	s_branch .LBB6_12353
.LBB6_12351:                            ;   in Loop: Header=BB6_12353 Depth=3
	s_or_b32 exec_lo, exec_lo, s72
.LBB6_12352:                            ;   in Loop: Header=BB6_12353 Depth=3
	s_delay_alu instid0(SALU_CYCLE_1)
	s_or_b32 exec_lo, exec_lo, s14
	v_lshl_or_b32 v0, v18, 8, v22
	v_dual_lshlrev_b32 v1, 16, v19 :: v_dual_lshlrev_b32 v11, 24, v32
	v_dual_lshlrev_b32 v3, 24, v23 :: v_dual_lshlrev_b32 v18, 24, v36
	v_lshl_or_b32 v9, v30, 8, v29
	v_dual_lshlrev_b32 v10, 16, v31 :: v_dual_lshlrev_b32 v19, 24, v2
	v_lshl_or_b32 v13, v34, 8, v33
	;; [unrolled: 2-line block ×3, first 2 shown]
	v_or3_b32 v1, v0, v1, v3
	v_or3_b32 v0, v9, v10, v11
	s_delay_alu instid0(VALU_DEP_4)
	v_or3_b32 v2, v13, v15, v18
	v_add_nc_u64_e32 v[4:5], v[4:5], v[46:47]
	v_or3_b32 v3, v12, v8, v19
	v_add_nc_u64_e32 v[6:7], v[6:7], v[46:47]
	global_store_b128 v[16:17], v[0:3], off th:TH_STORE_NT
	scratch_load_b64 v[0:1], off, s33 offset:188 ; 8-byte Folded Reload
	v_sub_nc_u32_e32 v28, v28, v46
	v_add_nc_u64_e32 v[16:17], v[16:17], v[46:47]
	s_wait_loadcnt 0x0
	v_sub_nc_u32_e32 v27, v27, v0
	s_delay_alu instid0(VALU_DEP_3)
	v_cmp_gt_i32_e64 s13, 16, v28
	s_or_b32 s43, s13, s43
	s_wait_xcnt 0x0
	s_and_not1_b32 exec_lo, exec_lo, s43
	s_cbranch_execz .LBB6_12928
.LBB6_12353:                            ;   Parent Loop BB6_47 Depth=1
                                        ;     Parent Loop BB6_5083 Depth=2
                                        ; =>    This Inner Loop Header: Depth=3
	global_load_b128 v[0:3], v[4:5], off th:TH_LOAD_NT
	global_load_b128 v[8:11], v[6:7], off th:TH_LOAD_NT
	s_wait_loadcnt 0x1
	v_and_b32_e32 v12, 0xff, v0
	s_delay_alu instid0(VALU_DEP_1)
	v_cmp_ne_u16_e64 s13, 0, v12
	v_mov_b32_e32 v12, 0
	s_wait_xcnt 0x0
	s_and_saveexec_b32 s14, s13
	s_cbranch_execz .LBB6_12363
; %bb.12354:                            ;   in Loop: Header=BB6_12353 Depth=3
	v_bfe_i32 v14, v0, 0, 8
	v_bfrev_b32_e32 v12, 1
	s_mov_b32 s72, exec_lo
	s_delay_alu instid0(VALU_DEP_2)
	v_cmpx_ne_u16_e32 0xff80, v14
	s_cbranch_execz .LBB6_12362
; %bb.12355:                            ;   in Loop: Header=BB6_12353 Depth=3
	v_and_b32_e32 v12, 0x7c, v0
	v_and_b32_e32 v13, 3, v0
	s_delay_alu instid0(VALU_DEP_2) | instskip(SKIP_1) | instid1(SALU_CYCLE_1)
	v_cmp_ne_u32_e64 s13, 0x7c, v12
                                        ; implicit-def: $vgpr12
	s_and_saveexec_b32 s73, s13
	s_xor_b32 s73, exec_lo, s73
	s_cbranch_execz .LBB6_12359
; %bb.12356:                            ;   in Loop: Header=BB6_12353 Depth=3
	v_bfe_u32 v12, v0, 2, 5
	s_mov_b32 s74, exec_lo
	s_delay_alu instid0(VALU_DEP_1)
	v_cmpx_eq_u32_e32 0, v12
; %bb.12357:                            ;   in Loop: Header=BB6_12353 Depth=3
	v_clz_i32_u32_e32 v12, v13
	s_delay_alu instid0(VALU_DEP_1) | instskip(NEXT) | instid1(VALU_DEP_1)
	v_min_u32_e32 v12, 32, v12
	v_subrev_nc_u32_e32 v13, 29, v12
	s_delay_alu instid0(VALU_DEP_1) | instskip(NEXT) | instid1(VALU_DEP_1)
	v_lshlrev_b64_e32 v[14:15], v13, v[0:1]
	v_dual_sub_nc_u32 v12, 30, v12 :: v_dual_bitop2_b32 v13, 3, v14 bitop3:0x40
; %bb.12358:                            ;   in Loop: Header=BB6_12353 Depth=3
	s_or_b32 exec_lo, exec_lo, s74
	v_lshlrev_b32_e32 v14, 24, v0
	s_delay_alu instid0(VALU_DEP_1) | instskip(NEXT) | instid1(VALU_DEP_1)
	v_and_b32_e32 v14, 0x80000000, v14
	v_lshl_add_u32 v12, v12, 23, v14
                                        ; implicit-def: $vgpr14
	s_delay_alu instid0(VALU_DEP_1) | instskip(NEXT) | instid1(VALU_DEP_1)
	v_lshl_or_b32 v12, v13, 21, v12
                                        ; implicit-def: $vgpr13
	v_add_nc_u32_e32 v12, 0x38000000, v12
.LBB6_12359:                            ;   in Loop: Header=BB6_12353 Depth=3
	s_and_not1_saveexec_b32 s73, s73
; %bb.12360:                            ;   in Loop: Header=BB6_12353 Depth=3
	v_cmp_lt_i16_e64 s13, -1, v14
	v_mov_b32_e32 v12, 0x7f800000
	s_delay_alu instid0(VALU_DEP_1) | instskip(SKIP_1) | instid1(VALU_DEP_1)
	v_cndmask_b32_e64 v12, 0xff800000, v12, s13
	v_cmp_eq_u32_e64 s13, 0, v13
	v_cndmask_b32_e64 v12, 0x7f800001, v12, s13
; %bb.12361:                            ;   in Loop: Header=BB6_12353 Depth=3
	s_or_b32 exec_lo, exec_lo, s73
.LBB6_12362:                            ;   in Loop: Header=BB6_12353 Depth=3
	s_delay_alu instid0(SALU_CYCLE_1)
	s_or_b32 exec_lo, exec_lo, s72
.LBB6_12363:                            ;   in Loop: Header=BB6_12353 Depth=3
	s_delay_alu instid0(SALU_CYCLE_1) | instskip(SKIP_4) | instid1(VALU_DEP_1)
	s_or_b32 exec_lo, exec_lo, s14
	s_wait_loadcnt 0x0
	v_and_b32_e32 v14, 0xff, v8
	s_mov_b32 s72, 0
	s_mov_b32 s14, exec_lo
	v_cmpx_lt_i16_e32 0x7f, v14
	s_xor_b32 s14, exec_lo, s14
	s_cbranch_execz .LBB6_12904
; %bb.12364:                            ;   in Loop: Header=BB6_12353 Depth=3
	s_mov_b32 s72, -1
	s_mov_b32 s73, exec_lo
	v_cmpx_eq_u16_e32 0x80, v14
; %bb.12365:                            ;   in Loop: Header=BB6_12353 Depth=3
	s_xor_b32 s72, exec_lo, -1
; %bb.12366:                            ;   in Loop: Header=BB6_12353 Depth=3
	s_or_b32 exec_lo, exec_lo, s73
	s_delay_alu instid0(SALU_CYCLE_1)
	s_and_b32 s72, s72, exec_lo
                                        ; implicit-def: $vgpr14
	s_or_saveexec_b32 s14, s14
	v_bfrev_b32_e32 v13, 1
	s_xor_b32 exec_lo, exec_lo, s14
	s_cbranch_execnz .LBB6_12905
.LBB6_12367:                            ;   in Loop: Header=BB6_12353 Depth=3
	s_or_b32 exec_lo, exec_lo, s14
	s_and_saveexec_b32 s14, s72
	s_cbranch_execz .LBB6_12369
.LBB6_12368:                            ;   in Loop: Header=BB6_12353 Depth=3
	v_and_b32_e32 v13, 3, v8
	v_bfe_u32 v19, v8, 2, 5
	s_delay_alu instid0(VALU_DEP_2) | instskip(NEXT) | instid1(VALU_DEP_2)
	v_clz_i32_u32_e32 v14, v13
	v_cmp_eq_u32_e64 s13, 0, v19
	s_delay_alu instid0(VALU_DEP_2) | instskip(NEXT) | instid1(VALU_DEP_1)
	v_min_u32_e32 v18, 32, v14
	v_subrev_nc_u32_e32 v14, 29, v18
	v_sub_nc_u32_e32 v18, 30, v18
	s_delay_alu instid0(VALU_DEP_2) | instskip(NEXT) | instid1(VALU_DEP_2)
	v_lshlrev_b64_e32 v[14:15], v14, v[8:9]
	v_dual_lshlrev_b32 v15, 24, v8 :: v_dual_cndmask_b32 v18, v19, v18, s13
	v_bfe_i32 v19, v8, 0, 8
	s_delay_alu instid0(VALU_DEP_2) | instskip(NEXT) | instid1(VALU_DEP_4)
	v_and_b32_e32 v15, 0x80000000, v15
	v_and_b32_e32 v14, 3, v14
	s_delay_alu instid0(VALU_DEP_2) | instskip(NEXT) | instid1(VALU_DEP_2)
	v_lshl_add_u32 v15, v18, 23, v15
	v_cndmask_b32_e64 v14, v13, v14, s13
	v_cmp_lt_i16_e64 s13, -1, v19
	v_mov_b32_e32 v18, 0x7f800000
	s_delay_alu instid0(VALU_DEP_3) | instskip(SKIP_1) | instid1(VALU_DEP_3)
	v_lshl_or_b32 v14, v14, 21, v15
	v_and_b32_e32 v15, 0x7c, v8
	v_cndmask_b32_e64 v18, 0xff800000, v18, s13
	v_cmp_eq_u32_e64 s13, 0, v13
	s_delay_alu instid0(VALU_DEP_4) | instskip(NEXT) | instid1(VALU_DEP_2)
	v_add_nc_u32_e32 v14, 0x38000000, v14
	v_cndmask_b32_e64 v13, 0x7f800001, v18, s13
	v_cmp_eq_u32_e64 s13, 0x7c, v15
	s_delay_alu instid0(VALU_DEP_1)
	v_cndmask_b32_e64 v13, v14, v13, s13
.LBB6_12369:                            ;   in Loop: Header=BB6_12353 Depth=3
	s_or_b32 exec_lo, exec_lo, s14
	s_delay_alu instid0(VALU_DEP_1) | instskip(SKIP_2) | instid1(VALU_DEP_2)
	v_dual_mul_f32 v14, v12, v13 :: v_dual_mov_b32 v19, v21
	v_mov_b32_e32 v13, v21
                                        ; implicit-def: $vgpr29
	s_mov_b32 s14, exec_lo
	v_and_b32_e32 v18, 0x7f800000, v14
	v_and_b32_e32 v12, 0x7fffff, v14
	v_lshrrev_b32_e32 v15, 24, v14
	s_delay_alu instid0(VALU_DEP_3)
	v_cmpx_ne_u64_e32 0x7f800000, v[18:19]
	s_xor_b32 s72, exec_lo, s14
	s_cbranch_execz .LBB6_12383
; %bb.12370:                            ;   in Loop: Header=BB6_12353 Depth=3
	v_and_b32_e32 v18, 0x7fffffff, v14
	v_mov_b32_e32 v19, v21
                                        ; implicit-def: $vgpr29
	s_delay_alu instid0(VALU_DEP_1) | instskip(SKIP_2) | instid1(SALU_CYCLE_1)
	v_cmp_gt_u64_e64 s13, 0x47600001, v[18:19]
	v_and_b32_e32 v18, 0x80, v15
	s_and_saveexec_b32 s14, s13
	s_xor_b32 s73, exec_lo, s14
	s_cbranch_execz .LBB6_12380
; %bb.12371:                            ;   in Loop: Header=BB6_12353 Depth=3
	v_mov_b32_e32 v29, 0
	s_mov_b32 s74, exec_lo
	v_cmpx_ne_u32_e32 0, v14
	s_cbranch_execz .LBB6_12379
; %bb.12372:                            ;   in Loop: Header=BB6_12353 Depth=3
	v_bfe_u32 v19, v14, 23, 8
	v_or_b32_e32 v23, 0x800000, v12
	s_delay_alu instid0(VALU_DEP_2) | instskip(SKIP_1) | instid1(VALU_DEP_1)
	v_sub_nc_u32_e32 v14, 0x71, v19
	v_cmp_gt_u32_e64 s13, 0x72, v19
	v_cndmask_b32_e64 v14, 0, v14, s13
	v_cmp_eq_u32_e64 s13, 0, v19
	s_delay_alu instid0(VALU_DEP_1) | instskip(NEXT) | instid1(VALU_DEP_3)
	v_cndmask_b32_e64 v12, v23, v12, s13
	v_cndmask_b32_e64 v22, v14, 0x70, s13
	s_delay_alu instid0(VALU_DEP_1) | instskip(NEXT) | instid1(VALU_DEP_1)
	v_dual_add_nc_u32 v14, 21, v22 :: v_dual_add_nc_u32 v29, 20, v22
	v_lshlrev_b64_e64 v[14:15], v14, -1
	s_delay_alu instid0(VALU_DEP_2) | instskip(NEXT) | instid1(VALU_DEP_2)
	v_lshlrev_b64_e64 v[30:31], v29, 1
	v_bfi_b32 v14, v14, 0, v12
	v_lshrrev_b64 v[12:13], v22, v[12:13]
	s_delay_alu instid0(VALU_DEP_4) | instskip(NEXT) | instid1(VALU_DEP_1)
	v_bfi_b32 v15, v15, 0, 0
	v_cmp_eq_u64_e64 s14, v[14:15], v[30:31]
	s_delay_alu instid0(VALU_DEP_3)
	v_mov_b64_e32 v[14:15], v[12:13]
	s_and_saveexec_b32 s75, s14
; %bb.12373:                            ;   in Loop: Header=BB6_12353 Depth=3
	v_bfe_u32 v14, v12, 21, 1
	v_mov_b32_e32 v15, v21
	s_delay_alu instid0(VALU_DEP_1) | instskip(NEXT) | instid1(VALU_DEP_1)
	v_add_nc_u64_e32 v[14:15], v[12:13], v[14:15]
	v_add_nc_u64_e32 v[14:15], -1, v[14:15]
; %bb.12374:                            ;   in Loop: Header=BB6_12353 Depth=3
	s_or_b32 exec_lo, exec_lo, s75
	v_add_nc_u32_e32 v13, 0xffffff81, v19
	v_lshrrev_b32_e32 v15, 23, v12
	s_mov_b32 s14, exec_lo
	s_delay_alu instid0(VALU_DEP_2) | instskip(NEXT) | instid1(VALU_DEP_1)
	v_cndmask_b32_e64 v13, v13, 0xffffff82, s13
	v_add3_u32 v15, v22, v13, v15
	v_and_b32_e32 v13, 0x1fffff, v14
                                        ; implicit-def: $vgpr14
	s_delay_alu instid0(VALU_DEP_1) | instskip(SKIP_1) | instid1(VALU_DEP_2)
	v_dual_add_nc_u32 v19, 14, v15 :: v_dual_add_nc_u32 v12, v13, v12
	v_mov_b32_e32 v13, v21
	v_cmpx_ne_u32_e32 0, v19
	s_xor_b32 s14, exec_lo, s14
; %bb.12375:                            ;   in Loop: Header=BB6_12353 Depth=3
	s_delay_alu instid0(VALU_DEP_2) | instskip(SKIP_1) | instid1(VALU_DEP_2)
	v_cmp_lt_u64_e64 s13, 0xffffff, v[12:13]
	v_add_nc_u32_e32 v14, 15, v15
	v_cndmask_b32_e64 v15, 0, 1, s13
	s_delay_alu instid0(VALU_DEP_2) | instskip(NEXT) | instid1(VALU_DEP_2)
	v_cndmask_b32_e64 v14, v19, v14, s13
	v_lshrrev_b64 v[12:13], v15, v[12:13]
; %bb.12376:                            ;   in Loop: Header=BB6_12353 Depth=3
	s_and_not1_saveexec_b32 s13, s14
; %bb.12377:                            ;   in Loop: Header=BB6_12353 Depth=3
	s_delay_alu instid0(VALU_DEP_1)
	v_bfe_u32 v14, v12, 23, 1
; %bb.12378:                            ;   in Loop: Header=BB6_12353 Depth=3
	s_or_b32 exec_lo, exec_lo, s13
	s_delay_alu instid0(VALU_DEP_2) | instskip(NEXT) | instid1(VALU_DEP_2)
	v_lshrrev_b64 v[12:13], 21, v[12:13]
	v_cmp_gt_i32_e64 s13, 32, v14
	v_min_i32_e32 v15, 31, v14
	v_cmp_eq_u32_e64 s14, 0, v14
	s_delay_alu instid0(VALU_DEP_2) | instskip(SKIP_1) | instid1(VALU_DEP_2)
	v_dual_cndmask_b32 v13, 0, v13, s13 :: v_dual_lshlrev_b32 v15, 2, v15
	v_cndmask_b32_e64 v12, 3, v12, s13
	v_and_b32_e32 v15, 0xfc, v15
	s_delay_alu instid0(VALU_DEP_2) | instskip(NEXT) | instid1(VALU_DEP_2)
	v_cmp_eq_u64_e64 s13, 0, v[12:13]
	v_and_or_b32 v12, v12, 3, v15
	s_and_b32 s13, s14, s13
	s_delay_alu instid0(VALU_DEP_1) | instid1(SALU_CYCLE_1)
	v_cndmask_b32_e64 v12, v12, 0, s13
	s_delay_alu instid0(VALU_DEP_1)
	v_or_b32_e32 v29, v12, v18
.LBB6_12379:                            ;   in Loop: Header=BB6_12353 Depth=3
	s_or_b32 exec_lo, exec_lo, s74
                                        ; implicit-def: $vgpr18
.LBB6_12380:                            ;   in Loop: Header=BB6_12353 Depth=3
	s_and_not1_saveexec_b32 s13, s73
; %bb.12381:                            ;   in Loop: Header=BB6_12353 Depth=3
	v_or_b32_e32 v29, 0x7b, v18
; %bb.12382:                            ;   in Loop: Header=BB6_12353 Depth=3
	s_or_b32 exec_lo, exec_lo, s13
                                        ; implicit-def: $vgpr14
                                        ; implicit-def: $vgpr12_vgpr13
                                        ; implicit-def: $vgpr15
.LBB6_12383:                            ;   in Loop: Header=BB6_12353 Depth=3
	s_and_not1_saveexec_b32 s14, s72
	s_cbranch_execz .LBB6_12389
; %bb.12384:                            ;   in Loop: Header=BB6_12353 Depth=3
	v_cmp_ne_u64_e64 s13, 0, v[12:13]
                                        ; implicit-def: $vgpr29
	s_and_saveexec_b32 s72, s13
	s_delay_alu instid0(SALU_CYCLE_1)
	s_xor_b32 s13, exec_lo, s72
; %bb.12385:                            ;   in Loop: Header=BB6_12353 Depth=3
	v_or_b32_e32 v29, 0x7f, v15
                                        ; implicit-def: $vgpr14
; %bb.12386:                            ;   in Loop: Header=BB6_12353 Depth=3
	s_and_not1_saveexec_b32 s72, s13
; %bb.12387:                            ;   in Loop: Header=BB6_12353 Depth=3
	v_cmp_lt_i32_e64 s13, -1, v14
	v_mov_b32_e32 v12, 0x7c
	s_delay_alu instid0(VALU_DEP_1)
	v_cndmask_b32_e64 v29, 0xfc, v12, s13
; %bb.12388:                            ;   in Loop: Header=BB6_12353 Depth=3
	s_or_b32 exec_lo, exec_lo, s72
.LBB6_12389:                            ;   in Loop: Header=BB6_12353 Depth=3
	s_delay_alu instid0(SALU_CYCLE_1) | instskip(SKIP_3) | instid1(VALU_DEP_2)
	s_or_b32 exec_lo, exec_lo, s14
	v_lshrrev_b16 v12, 8, v0
	v_mov_b32_e32 v14, 0
	s_mov_b32 s14, exec_lo
	v_cmpx_ne_u16_e32 0, v12
	s_cbranch_execz .LBB6_12399
; %bb.12390:                            ;   in Loop: Header=BB6_12353 Depth=3
	v_bfrev_b32_e32 v14, 1
	s_mov_b32 s72, exec_lo
	v_cmpx_ne_u16_e32 0x80, v12
	s_cbranch_execz .LBB6_12398
; %bb.12391:                            ;   in Loop: Header=BB6_12353 Depth=3
	v_and_b32_e32 v15, 0xffff, v12
	s_delay_alu instid0(VALU_DEP_1) | instskip(SKIP_1) | instid1(VALU_DEP_2)
	v_and_b32_e32 v14, 0x7c, v15
	v_and_b32_e32 v13, 3, v15
	v_cmp_ne_u32_e64 s13, 0x7c, v14
                                        ; implicit-def: $vgpr14
	s_and_saveexec_b32 s73, s13
	s_delay_alu instid0(SALU_CYCLE_1)
	s_xor_b32 s73, exec_lo, s73
	s_cbranch_execz .LBB6_12395
; %bb.12392:                            ;   in Loop: Header=BB6_12353 Depth=3
	v_bfe_u32 v14, v15, 2, 5
	s_mov_b32 s74, exec_lo
	s_delay_alu instid0(VALU_DEP_1)
	v_cmpx_eq_u32_e32 0, v14
	s_cbranch_execz .LBB6_12394
; %bb.12393:                            ;   in Loop: Header=BB6_12353 Depth=3
	v_clz_i32_u32_e32 v13, v13
	s_delay_alu instid0(VALU_DEP_1) | instskip(SKIP_1) | instid1(VALU_DEP_2)
	v_min_u32_e32 v14, 32, v13
	v_mov_b32_e32 v13, v21
	v_subrev_nc_u32_e32 v15, 29, v14
	v_sub_nc_u32_e32 v14, 30, v14
	s_delay_alu instid0(VALU_DEP_2) | instskip(NEXT) | instid1(VALU_DEP_1)
	v_lshlrev_b64_e32 v[12:13], v15, v[12:13]
	v_and_b32_e32 v13, 3, v12
.LBB6_12394:                            ;   in Loop: Header=BB6_12353 Depth=3
	s_or_b32 exec_lo, exec_lo, s74
	v_lshlrev_b32_e32 v12, 16, v0
	s_delay_alu instid0(VALU_DEP_1) | instskip(NEXT) | instid1(VALU_DEP_1)
	v_and_b32_e32 v12, 0x80000000, v12
	v_lshl_add_u32 v12, v14, 23, v12
	s_delay_alu instid0(VALU_DEP_1) | instskip(NEXT) | instid1(VALU_DEP_1)
	v_lshl_or_b32 v12, v13, 21, v12
                                        ; implicit-def: $vgpr13
	v_add_nc_u32_e32 v14, 0x38000000, v12
.LBB6_12395:                            ;   in Loop: Header=BB6_12353 Depth=3
	s_and_not1_saveexec_b32 s73, s73
; %bb.12396:                            ;   in Loop: Header=BB6_12353 Depth=3
	v_cmp_lt_i16_e64 s13, -1, v0
	v_mov_b32_e32 v12, 0x7f800000
	s_delay_alu instid0(VALU_DEP_1) | instskip(SKIP_1) | instid1(VALU_DEP_1)
	v_cndmask_b32_e64 v12, 0xff800000, v12, s13
	v_cmp_eq_u32_e64 s13, 0, v13
	v_cndmask_b32_e64 v14, 0x7f800001, v12, s13
; %bb.12397:                            ;   in Loop: Header=BB6_12353 Depth=3
	s_or_b32 exec_lo, exec_lo, s73
.LBB6_12398:                            ;   in Loop: Header=BB6_12353 Depth=3
	s_delay_alu instid0(SALU_CYCLE_1)
	s_or_b32 exec_lo, exec_lo, s72
.LBB6_12399:                            ;   in Loop: Header=BB6_12353 Depth=3
	s_delay_alu instid0(SALU_CYCLE_1) | instskip(SKIP_3) | instid1(VALU_DEP_1)
	s_or_b32 exec_lo, exec_lo, s14
	v_lshrrev_b16 v12, 8, v8
	s_mov_b32 s72, 0
	s_mov_b32 s14, exec_lo
	v_cmpx_lt_i16_e32 0x7f, v12
	s_xor_b32 s14, exec_lo, s14
	s_cbranch_execz .LBB6_12906
; %bb.12400:                            ;   in Loop: Header=BB6_12353 Depth=3
	s_mov_b32 s72, -1
	s_mov_b32 s73, exec_lo
	v_cmpx_eq_u16_e32 0x80, v12
; %bb.12401:                            ;   in Loop: Header=BB6_12353 Depth=3
	s_xor_b32 s72, exec_lo, -1
; %bb.12402:                            ;   in Loop: Header=BB6_12353 Depth=3
	s_or_b32 exec_lo, exec_lo, s73
	s_delay_alu instid0(SALU_CYCLE_1)
	s_and_b32 s72, s72, exec_lo
	s_or_saveexec_b32 s14, s14
	v_bfrev_b32_e32 v13, 1
	s_xor_b32 exec_lo, exec_lo, s14
	s_cbranch_execnz .LBB6_12907
.LBB6_12403:                            ;   in Loop: Header=BB6_12353 Depth=3
	s_or_b32 exec_lo, exec_lo, s14
	s_and_saveexec_b32 s14, s72
	s_cbranch_execz .LBB6_12405
.LBB6_12404:                            ;   in Loop: Header=BB6_12353 Depth=3
	v_and_b32_e32 v15, 0xffff, v12
	s_delay_alu instid0(VALU_DEP_1) | instskip(NEXT) | instid1(VALU_DEP_1)
	v_and_b32_e32 v22, 3, v15
	v_clz_i32_u32_e32 v13, v22
	s_delay_alu instid0(VALU_DEP_1) | instskip(SKIP_1) | instid1(VALU_DEP_2)
	v_min_u32_e32 v23, 32, v13
	v_mov_b32_e32 v13, v21
	v_subrev_nc_u32_e32 v18, 29, v23
	s_delay_alu instid0(VALU_DEP_1) | instskip(SKIP_3) | instid1(VALU_DEP_3)
	v_lshlrev_b64_e32 v[18:19], v18, v[12:13]
	v_bfe_u32 v13, v15, 2, 5
	v_dual_lshlrev_b32 v12, 24, v12 :: v_dual_sub_nc_u32 v19, 30, v23
	v_and_b32_e32 v15, 0x7c, v15
	v_cmp_eq_u32_e64 s13, 0, v13
	s_delay_alu instid0(VALU_DEP_3) | instskip(NEXT) | instid1(VALU_DEP_2)
	v_and_b32_e32 v12, 0x80000000, v12
	v_dual_cndmask_b32 v13, v13, v19, s13 :: v_dual_bitop2_b32 v18, 3, v18 bitop3:0x40
	s_delay_alu instid0(VALU_DEP_1) | instskip(SKIP_1) | instid1(VALU_DEP_3)
	v_cndmask_b32_e64 v18, v22, v18, s13
	v_cmp_lt_i16_e64 s13, -1, v8
	v_lshl_add_u32 v12, v13, 23, v12
	v_mov_b32_e32 v13, 0x7f800000
	s_delay_alu instid0(VALU_DEP_2) | instskip(NEXT) | instid1(VALU_DEP_2)
	v_lshl_or_b32 v12, v18, 21, v12
	v_cndmask_b32_e64 v13, 0xff800000, v13, s13
	v_cmp_eq_u32_e64 s13, 0, v22
	s_delay_alu instid0(VALU_DEP_3) | instskip(NEXT) | instid1(VALU_DEP_2)
	v_add_nc_u32_e32 v12, 0x38000000, v12
	v_cndmask_b32_e64 v13, 0x7f800001, v13, s13
	v_cmp_eq_u32_e64 s13, 0x7c, v15
	s_delay_alu instid0(VALU_DEP_1)
	v_cndmask_b32_e64 v13, v12, v13, s13
.LBB6_12405:                            ;   in Loop: Header=BB6_12353 Depth=3
	s_or_b32 exec_lo, exec_lo, s14
	s_delay_alu instid0(VALU_DEP_1) | instskip(SKIP_2) | instid1(VALU_DEP_2)
	v_dual_mul_f32 v14, v14, v13 :: v_dual_mov_b32 v19, v21
	v_mov_b32_e32 v13, v21
                                        ; implicit-def: $vgpr30
	s_mov_b32 s14, exec_lo
	v_and_b32_e32 v18, 0x7f800000, v14
	v_and_b32_e32 v12, 0x7fffff, v14
	v_lshrrev_b32_e32 v15, 24, v14
	s_delay_alu instid0(VALU_DEP_3)
	v_cmpx_ne_u64_e32 0x7f800000, v[18:19]
	s_xor_b32 s72, exec_lo, s14
	s_cbranch_execz .LBB6_12419
; %bb.12406:                            ;   in Loop: Header=BB6_12353 Depth=3
	v_and_b32_e32 v18, 0x7fffffff, v14
	v_mov_b32_e32 v19, v21
                                        ; implicit-def: $vgpr30
	s_delay_alu instid0(VALU_DEP_1) | instskip(SKIP_2) | instid1(SALU_CYCLE_1)
	v_cmp_gt_u64_e64 s13, 0x47600001, v[18:19]
	v_and_b32_e32 v18, 0x80, v15
	s_and_saveexec_b32 s14, s13
	s_xor_b32 s73, exec_lo, s14
	s_cbranch_execz .LBB6_12416
; %bb.12407:                            ;   in Loop: Header=BB6_12353 Depth=3
	v_mov_b32_e32 v30, 0
	s_mov_b32 s74, exec_lo
	v_cmpx_ne_u32_e32 0, v14
	s_cbranch_execz .LBB6_12415
; %bb.12408:                            ;   in Loop: Header=BB6_12353 Depth=3
	v_bfe_u32 v19, v14, 23, 8
	v_or_b32_e32 v23, 0x800000, v12
	s_delay_alu instid0(VALU_DEP_2) | instskip(SKIP_1) | instid1(VALU_DEP_1)
	v_sub_nc_u32_e32 v14, 0x71, v19
	v_cmp_gt_u32_e64 s13, 0x72, v19
	v_cndmask_b32_e64 v14, 0, v14, s13
	v_cmp_eq_u32_e64 s13, 0, v19
	s_delay_alu instid0(VALU_DEP_1) | instskip(NEXT) | instid1(VALU_DEP_3)
	v_cndmask_b32_e64 v12, v23, v12, s13
	v_cndmask_b32_e64 v22, v14, 0x70, s13
	s_delay_alu instid0(VALU_DEP_1) | instskip(NEXT) | instid1(VALU_DEP_1)
	v_dual_add_nc_u32 v14, 21, v22 :: v_dual_add_nc_u32 v30, 20, v22
	v_lshlrev_b64_e64 v[14:15], v14, -1
	s_delay_alu instid0(VALU_DEP_2) | instskip(NEXT) | instid1(VALU_DEP_2)
	v_lshlrev_b64_e64 v[30:31], v30, 1
	v_bfi_b32 v14, v14, 0, v12
	v_lshrrev_b64 v[12:13], v22, v[12:13]
	s_delay_alu instid0(VALU_DEP_4) | instskip(NEXT) | instid1(VALU_DEP_1)
	v_bfi_b32 v15, v15, 0, 0
	v_cmp_eq_u64_e64 s14, v[14:15], v[30:31]
	s_delay_alu instid0(VALU_DEP_3)
	v_mov_b64_e32 v[14:15], v[12:13]
	s_and_saveexec_b32 s75, s14
; %bb.12409:                            ;   in Loop: Header=BB6_12353 Depth=3
	v_bfe_u32 v14, v12, 21, 1
	v_mov_b32_e32 v15, v21
	s_delay_alu instid0(VALU_DEP_1) | instskip(NEXT) | instid1(VALU_DEP_1)
	v_add_nc_u64_e32 v[14:15], v[12:13], v[14:15]
	v_add_nc_u64_e32 v[14:15], -1, v[14:15]
; %bb.12410:                            ;   in Loop: Header=BB6_12353 Depth=3
	s_or_b32 exec_lo, exec_lo, s75
	v_add_nc_u32_e32 v13, 0xffffff81, v19
	v_lshrrev_b32_e32 v15, 23, v12
	s_mov_b32 s14, exec_lo
	s_delay_alu instid0(VALU_DEP_2) | instskip(NEXT) | instid1(VALU_DEP_1)
	v_cndmask_b32_e64 v13, v13, 0xffffff82, s13
	v_add3_u32 v15, v22, v13, v15
	v_and_b32_e32 v13, 0x1fffff, v14
                                        ; implicit-def: $vgpr14
	s_delay_alu instid0(VALU_DEP_1) | instskip(SKIP_1) | instid1(VALU_DEP_2)
	v_dual_add_nc_u32 v19, 14, v15 :: v_dual_add_nc_u32 v12, v13, v12
	v_mov_b32_e32 v13, v21
	v_cmpx_ne_u32_e32 0, v19
	s_xor_b32 s14, exec_lo, s14
; %bb.12411:                            ;   in Loop: Header=BB6_12353 Depth=3
	s_delay_alu instid0(VALU_DEP_2) | instskip(SKIP_1) | instid1(VALU_DEP_2)
	v_cmp_lt_u64_e64 s13, 0xffffff, v[12:13]
	v_add_nc_u32_e32 v14, 15, v15
	v_cndmask_b32_e64 v15, 0, 1, s13
	s_delay_alu instid0(VALU_DEP_2) | instskip(NEXT) | instid1(VALU_DEP_2)
	v_cndmask_b32_e64 v14, v19, v14, s13
	v_lshrrev_b64 v[12:13], v15, v[12:13]
; %bb.12412:                            ;   in Loop: Header=BB6_12353 Depth=3
	s_and_not1_saveexec_b32 s13, s14
; %bb.12413:                            ;   in Loop: Header=BB6_12353 Depth=3
	s_delay_alu instid0(VALU_DEP_1)
	v_bfe_u32 v14, v12, 23, 1
; %bb.12414:                            ;   in Loop: Header=BB6_12353 Depth=3
	s_or_b32 exec_lo, exec_lo, s13
	s_delay_alu instid0(VALU_DEP_2) | instskip(NEXT) | instid1(VALU_DEP_2)
	v_lshrrev_b64 v[12:13], 21, v[12:13]
	v_cmp_gt_i32_e64 s13, 32, v14
	v_min_i32_e32 v15, 31, v14
	v_cmp_eq_u32_e64 s14, 0, v14
	s_delay_alu instid0(VALU_DEP_2) | instskip(SKIP_1) | instid1(VALU_DEP_2)
	v_dual_cndmask_b32 v13, 0, v13, s13 :: v_dual_lshlrev_b32 v15, 2, v15
	v_cndmask_b32_e64 v12, 3, v12, s13
	v_and_b32_e32 v15, 0xfc, v15
	s_delay_alu instid0(VALU_DEP_2) | instskip(NEXT) | instid1(VALU_DEP_2)
	v_cmp_eq_u64_e64 s13, 0, v[12:13]
	v_and_or_b32 v12, v12, 3, v15
	s_and_b32 s13, s14, s13
	s_delay_alu instid0(VALU_DEP_1) | instid1(SALU_CYCLE_1)
	v_cndmask_b32_e64 v12, v12, 0, s13
	s_delay_alu instid0(VALU_DEP_1)
	v_or_b32_e32 v30, v12, v18
.LBB6_12415:                            ;   in Loop: Header=BB6_12353 Depth=3
	s_or_b32 exec_lo, exec_lo, s74
                                        ; implicit-def: $vgpr18
.LBB6_12416:                            ;   in Loop: Header=BB6_12353 Depth=3
	s_and_not1_saveexec_b32 s13, s73
; %bb.12417:                            ;   in Loop: Header=BB6_12353 Depth=3
	v_or_b32_e32 v30, 0x7b, v18
; %bb.12418:                            ;   in Loop: Header=BB6_12353 Depth=3
	s_or_b32 exec_lo, exec_lo, s13
                                        ; implicit-def: $vgpr14
                                        ; implicit-def: $vgpr12_vgpr13
                                        ; implicit-def: $vgpr15
.LBB6_12419:                            ;   in Loop: Header=BB6_12353 Depth=3
	s_and_not1_saveexec_b32 s14, s72
	s_cbranch_execz .LBB6_12425
; %bb.12420:                            ;   in Loop: Header=BB6_12353 Depth=3
	v_cmp_ne_u64_e64 s13, 0, v[12:13]
                                        ; implicit-def: $vgpr30
	s_and_saveexec_b32 s72, s13
	s_delay_alu instid0(SALU_CYCLE_1)
	s_xor_b32 s13, exec_lo, s72
; %bb.12421:                            ;   in Loop: Header=BB6_12353 Depth=3
	v_or_b32_e32 v30, 0x7f, v15
                                        ; implicit-def: $vgpr14
; %bb.12422:                            ;   in Loop: Header=BB6_12353 Depth=3
	s_and_not1_saveexec_b32 s72, s13
; %bb.12423:                            ;   in Loop: Header=BB6_12353 Depth=3
	v_cmp_lt_i32_e64 s13, -1, v14
	v_mov_b32_e32 v12, 0x7c
	s_delay_alu instid0(VALU_DEP_1)
	v_cndmask_b32_e64 v30, 0xfc, v12, s13
; %bb.12424:                            ;   in Loop: Header=BB6_12353 Depth=3
	s_or_b32 exec_lo, exec_lo, s72
.LBB6_12425:                            ;   in Loop: Header=BB6_12353 Depth=3
	s_delay_alu instid0(SALU_CYCLE_1) | instskip(SKIP_2) | instid1(VALU_DEP_1)
	s_or_b32 exec_lo, exec_lo, s14
	v_dual_mov_b32 v13, 0 :: v_dual_lshrrev_b32 v12, 16, v0
	s_mov_b32 s14, exec_lo
	v_and_b32_e32 v14, 0xff, v12
	s_delay_alu instid0(VALU_DEP_1)
	v_cmpx_ne_u16_e32 0, v14
	s_cbranch_execz .LBB6_12435
; %bb.12426:                            ;   in Loop: Header=BB6_12353 Depth=3
	v_bfrev_b32_e32 v13, 1
	s_mov_b32 s72, exec_lo
	v_cmpx_ne_u16_e32 0x80, v14
	s_cbranch_execz .LBB6_12434
; %bb.12427:                            ;   in Loop: Header=BB6_12353 Depth=3
	v_and_b32_e32 v13, 0x7c0000, v0
	v_bfe_u32 v14, v0, 16, 2
	s_delay_alu instid0(VALU_DEP_2) | instskip(SKIP_1) | instid1(SALU_CYCLE_1)
	v_cmp_ne_u32_e64 s13, 0x7c0000, v13
                                        ; implicit-def: $vgpr13
	s_and_saveexec_b32 s73, s13
	s_xor_b32 s73, exec_lo, s73
	s_cbranch_execz .LBB6_12431
; %bb.12428:                            ;   in Loop: Header=BB6_12353 Depth=3
	v_bfe_u32 v13, v0, 18, 5
	s_mov_b32 s74, exec_lo
	s_delay_alu instid0(VALU_DEP_1)
	v_cmpx_eq_u32_e32 0, v13
; %bb.12429:                            ;   in Loop: Header=BB6_12353 Depth=3
	v_clz_i32_u32_e32 v13, v14
	s_delay_alu instid0(VALU_DEP_1) | instskip(NEXT) | instid1(VALU_DEP_1)
	v_min_u32_e32 v13, 32, v13
	v_subrev_nc_u32_e32 v14, 29, v13
	s_delay_alu instid0(VALU_DEP_1) | instskip(NEXT) | instid1(VALU_DEP_1)
	v_lshlrev_b64_e32 v[14:15], v14, v[12:13]
	v_dual_sub_nc_u32 v13, 30, v13 :: v_dual_bitop2_b32 v14, 3, v14 bitop3:0x40
; %bb.12430:                            ;   in Loop: Header=BB6_12353 Depth=3
	s_or_b32 exec_lo, exec_lo, s74
	v_lshlrev_b32_e32 v12, 24, v12
	s_delay_alu instid0(VALU_DEP_1) | instskip(NEXT) | instid1(VALU_DEP_1)
	v_and_b32_e32 v12, 0x80000000, v12
	v_lshl_add_u32 v12, v13, 23, v12
	s_delay_alu instid0(VALU_DEP_1) | instskip(NEXT) | instid1(VALU_DEP_1)
	v_lshl_or_b32 v12, v14, 21, v12
                                        ; implicit-def: $vgpr14
	v_add_nc_u32_e32 v13, 0x38000000, v12
                                        ; implicit-def: $vgpr12
.LBB6_12431:                            ;   in Loop: Header=BB6_12353 Depth=3
	s_and_not1_saveexec_b32 s73, s73
; %bb.12432:                            ;   in Loop: Header=BB6_12353 Depth=3
	v_bfe_i32 v12, v12, 0, 8
	s_delay_alu instid0(VALU_DEP_1) | instskip(SKIP_1) | instid1(VALU_DEP_1)
	v_cmp_lt_i16_e64 s13, -1, v12
	v_mov_b32_e32 v12, 0x7f800000
	v_cndmask_b32_e64 v12, 0xff800000, v12, s13
	v_cmp_eq_u32_e64 s13, 0, v14
	s_delay_alu instid0(VALU_DEP_1)
	v_cndmask_b32_e64 v13, 0x7f800001, v12, s13
; %bb.12433:                            ;   in Loop: Header=BB6_12353 Depth=3
	s_or_b32 exec_lo, exec_lo, s73
.LBB6_12434:                            ;   in Loop: Header=BB6_12353 Depth=3
	s_delay_alu instid0(SALU_CYCLE_1)
	s_or_b32 exec_lo, exec_lo, s72
.LBB6_12435:                            ;   in Loop: Header=BB6_12353 Depth=3
	s_delay_alu instid0(SALU_CYCLE_1) | instskip(SKIP_3) | instid1(VALU_DEP_1)
	s_or_b32 exec_lo, exec_lo, s14
	v_lshrrev_b32_e32 v12, 16, v8
	s_mov_b32 s72, 0
	s_mov_b32 s14, exec_lo
	v_and_b32_e32 v15, 0xff, v12
	s_delay_alu instid0(VALU_DEP_1)
	v_cmpx_lt_i16_e32 0x7f, v15
	s_xor_b32 s14, exec_lo, s14
	s_cbranch_execz .LBB6_12908
; %bb.12436:                            ;   in Loop: Header=BB6_12353 Depth=3
	s_mov_b32 s72, -1
	s_mov_b32 s73, exec_lo
	v_cmpx_eq_u16_e32 0x80, v15
; %bb.12437:                            ;   in Loop: Header=BB6_12353 Depth=3
	s_xor_b32 s72, exec_lo, -1
; %bb.12438:                            ;   in Loop: Header=BB6_12353 Depth=3
	s_or_b32 exec_lo, exec_lo, s73
	s_delay_alu instid0(SALU_CYCLE_1)
	s_and_b32 s72, s72, exec_lo
                                        ; implicit-def: $vgpr15
	s_or_saveexec_b32 s14, s14
	v_bfrev_b32_e32 v14, 1
	s_xor_b32 exec_lo, exec_lo, s14
	s_cbranch_execnz .LBB6_12909
.LBB6_12439:                            ;   in Loop: Header=BB6_12353 Depth=3
	s_or_b32 exec_lo, exec_lo, s14
	s_and_saveexec_b32 s14, s72
	s_cbranch_execz .LBB6_12441
.LBB6_12440:                            ;   in Loop: Header=BB6_12353 Depth=3
	v_and_b32_e32 v18, 3, v12
	v_bfe_u32 v22, v8, 18, 5
	s_delay_alu instid0(VALU_DEP_2) | instskip(NEXT) | instid1(VALU_DEP_2)
	v_clz_i32_u32_e32 v14, v18
	v_cmp_eq_u32_e64 s13, 0, v22
	s_delay_alu instid0(VALU_DEP_2) | instskip(NEXT) | instid1(VALU_DEP_1)
	v_min_u32_e32 v19, 32, v14
	v_subrev_nc_u32_e32 v14, 29, v19
	s_delay_alu instid0(VALU_DEP_1) | instskip(SKIP_2) | instid1(VALU_DEP_2)
	v_lshlrev_b64_e32 v[14:15], v14, v[12:13]
	v_dual_lshlrev_b32 v15, 24, v12 :: v_dual_sub_nc_u32 v19, 30, v19
	v_bfe_i32 v12, v12, 0, 8
	v_and_b32_e32 v15, 0x80000000, v15
	s_delay_alu instid0(VALU_DEP_3) | instskip(NEXT) | instid1(VALU_DEP_1)
	v_dual_cndmask_b32 v19, v22, v19, s13 :: v_dual_bitop2_b32 v14, 3, v14 bitop3:0x40
	v_cndmask_b32_e64 v14, v18, v14, s13
	s_delay_alu instid0(VALU_DEP_2) | instskip(SKIP_2) | instid1(VALU_DEP_3)
	v_lshl_add_u32 v15, v19, 23, v15
	v_cmp_lt_i16_e64 s13, -1, v12
	v_mov_b32_e32 v12, 0x7f800000
	v_lshl_or_b32 v14, v14, 21, v15
	v_and_b32_e32 v15, 0x7c0000, v8
	s_delay_alu instid0(VALU_DEP_3) | instskip(SKIP_1) | instid1(VALU_DEP_4)
	v_cndmask_b32_e64 v12, 0xff800000, v12, s13
	v_cmp_eq_u32_e64 s13, 0, v18
	v_add_nc_u32_e32 v14, 0x38000000, v14
	s_delay_alu instid0(VALU_DEP_2) | instskip(SKIP_1) | instid1(VALU_DEP_1)
	v_cndmask_b32_e64 v12, 0x7f800001, v12, s13
	v_cmp_eq_u32_e64 s13, 0x7c0000, v15
	v_cndmask_b32_e64 v14, v14, v12, s13
.LBB6_12441:                            ;   in Loop: Header=BB6_12353 Depth=3
	s_or_b32 exec_lo, exec_lo, s14
	s_delay_alu instid0(VALU_DEP_1) | instskip(SKIP_2) | instid1(VALU_DEP_2)
	v_mul_f32_e32 v14, v13, v14
	v_dual_mov_b32 v19, v21 :: v_dual_mov_b32 v13, v21
                                        ; implicit-def: $vgpr31
	s_mov_b32 s14, exec_lo
	v_and_b32_e32 v18, 0x7f800000, v14
	v_and_b32_e32 v12, 0x7fffff, v14
	v_lshrrev_b32_e32 v15, 24, v14
	s_delay_alu instid0(VALU_DEP_3)
	v_cmpx_ne_u64_e32 0x7f800000, v[18:19]
	s_xor_b32 s72, exec_lo, s14
	s_cbranch_execz .LBB6_12455
; %bb.12442:                            ;   in Loop: Header=BB6_12353 Depth=3
	v_and_b32_e32 v18, 0x7fffffff, v14
	v_mov_b32_e32 v19, v21
                                        ; implicit-def: $vgpr31
	s_delay_alu instid0(VALU_DEP_1) | instskip(SKIP_2) | instid1(SALU_CYCLE_1)
	v_cmp_gt_u64_e64 s13, 0x47600001, v[18:19]
	v_and_b32_e32 v18, 0x80, v15
	s_and_saveexec_b32 s14, s13
	s_xor_b32 s73, exec_lo, s14
	s_cbranch_execz .LBB6_12452
; %bb.12443:                            ;   in Loop: Header=BB6_12353 Depth=3
	v_mov_b32_e32 v31, 0
	s_mov_b32 s74, exec_lo
	v_cmpx_ne_u32_e32 0, v14
	s_cbranch_execz .LBB6_12451
; %bb.12444:                            ;   in Loop: Header=BB6_12353 Depth=3
	v_bfe_u32 v19, v14, 23, 8
	v_or_b32_e32 v23, 0x800000, v12
	s_delay_alu instid0(VALU_DEP_2) | instskip(SKIP_1) | instid1(VALU_DEP_1)
	v_sub_nc_u32_e32 v14, 0x71, v19
	v_cmp_gt_u32_e64 s13, 0x72, v19
	v_cndmask_b32_e64 v14, 0, v14, s13
	v_cmp_eq_u32_e64 s13, 0, v19
	s_delay_alu instid0(VALU_DEP_1) | instskip(NEXT) | instid1(VALU_DEP_3)
	v_cndmask_b32_e64 v12, v23, v12, s13
	v_cndmask_b32_e64 v22, v14, 0x70, s13
	s_delay_alu instid0(VALU_DEP_1) | instskip(NEXT) | instid1(VALU_DEP_1)
	v_dual_add_nc_u32 v14, 21, v22 :: v_dual_add_nc_u32 v31, 20, v22
	v_lshlrev_b64_e64 v[14:15], v14, -1
	s_delay_alu instid0(VALU_DEP_2) | instskip(NEXT) | instid1(VALU_DEP_2)
	v_lshlrev_b64_e64 v[32:33], v31, 1
	v_bfi_b32 v14, v14, 0, v12
	v_lshrrev_b64 v[12:13], v22, v[12:13]
	s_delay_alu instid0(VALU_DEP_4) | instskip(NEXT) | instid1(VALU_DEP_1)
	v_bfi_b32 v15, v15, 0, 0
	v_cmp_eq_u64_e64 s14, v[14:15], v[32:33]
	s_delay_alu instid0(VALU_DEP_3)
	v_mov_b64_e32 v[14:15], v[12:13]
	s_and_saveexec_b32 s75, s14
; %bb.12445:                            ;   in Loop: Header=BB6_12353 Depth=3
	v_bfe_u32 v14, v12, 21, 1
	v_mov_b32_e32 v15, v21
	s_delay_alu instid0(VALU_DEP_1) | instskip(NEXT) | instid1(VALU_DEP_1)
	v_add_nc_u64_e32 v[14:15], v[12:13], v[14:15]
	v_add_nc_u64_e32 v[14:15], -1, v[14:15]
; %bb.12446:                            ;   in Loop: Header=BB6_12353 Depth=3
	s_or_b32 exec_lo, exec_lo, s75
	v_add_nc_u32_e32 v13, 0xffffff81, v19
	v_lshrrev_b32_e32 v15, 23, v12
	s_mov_b32 s14, exec_lo
	s_delay_alu instid0(VALU_DEP_2) | instskip(NEXT) | instid1(VALU_DEP_1)
	v_cndmask_b32_e64 v13, v13, 0xffffff82, s13
	v_add3_u32 v15, v22, v13, v15
	v_and_b32_e32 v13, 0x1fffff, v14
                                        ; implicit-def: $vgpr14
	s_delay_alu instid0(VALU_DEP_1) | instskip(SKIP_1) | instid1(VALU_DEP_2)
	v_dual_add_nc_u32 v19, 14, v15 :: v_dual_add_nc_u32 v12, v13, v12
	v_mov_b32_e32 v13, v21
	v_cmpx_ne_u32_e32 0, v19
	s_xor_b32 s14, exec_lo, s14
; %bb.12447:                            ;   in Loop: Header=BB6_12353 Depth=3
	s_delay_alu instid0(VALU_DEP_2) | instskip(SKIP_1) | instid1(VALU_DEP_2)
	v_cmp_lt_u64_e64 s13, 0xffffff, v[12:13]
	v_add_nc_u32_e32 v14, 15, v15
	v_cndmask_b32_e64 v15, 0, 1, s13
	s_delay_alu instid0(VALU_DEP_2) | instskip(NEXT) | instid1(VALU_DEP_2)
	v_cndmask_b32_e64 v14, v19, v14, s13
	v_lshrrev_b64 v[12:13], v15, v[12:13]
; %bb.12448:                            ;   in Loop: Header=BB6_12353 Depth=3
	s_and_not1_saveexec_b32 s13, s14
; %bb.12449:                            ;   in Loop: Header=BB6_12353 Depth=3
	s_delay_alu instid0(VALU_DEP_1)
	v_bfe_u32 v14, v12, 23, 1
; %bb.12450:                            ;   in Loop: Header=BB6_12353 Depth=3
	s_or_b32 exec_lo, exec_lo, s13
	s_delay_alu instid0(VALU_DEP_2) | instskip(NEXT) | instid1(VALU_DEP_2)
	v_lshrrev_b64 v[12:13], 21, v[12:13]
	v_cmp_gt_i32_e64 s13, 32, v14
	v_min_i32_e32 v15, 31, v14
	v_cmp_eq_u32_e64 s14, 0, v14
	s_delay_alu instid0(VALU_DEP_2) | instskip(SKIP_1) | instid1(VALU_DEP_2)
	v_dual_cndmask_b32 v13, 0, v13, s13 :: v_dual_lshlrev_b32 v15, 2, v15
	v_cndmask_b32_e64 v12, 3, v12, s13
	v_and_b32_e32 v15, 0xfc, v15
	s_delay_alu instid0(VALU_DEP_2) | instskip(NEXT) | instid1(VALU_DEP_2)
	v_cmp_eq_u64_e64 s13, 0, v[12:13]
	v_and_or_b32 v12, v12, 3, v15
	s_and_b32 s13, s14, s13
	s_delay_alu instid0(VALU_DEP_1) | instid1(SALU_CYCLE_1)
	v_cndmask_b32_e64 v12, v12, 0, s13
	s_delay_alu instid0(VALU_DEP_1)
	v_or_b32_e32 v31, v12, v18
.LBB6_12451:                            ;   in Loop: Header=BB6_12353 Depth=3
	s_or_b32 exec_lo, exec_lo, s74
                                        ; implicit-def: $vgpr18
.LBB6_12452:                            ;   in Loop: Header=BB6_12353 Depth=3
	s_and_not1_saveexec_b32 s13, s73
; %bb.12453:                            ;   in Loop: Header=BB6_12353 Depth=3
	v_or_b32_e32 v31, 0x7b, v18
; %bb.12454:                            ;   in Loop: Header=BB6_12353 Depth=3
	s_or_b32 exec_lo, exec_lo, s13
                                        ; implicit-def: $vgpr14
                                        ; implicit-def: $vgpr12_vgpr13
                                        ; implicit-def: $vgpr15
.LBB6_12455:                            ;   in Loop: Header=BB6_12353 Depth=3
	s_and_not1_saveexec_b32 s14, s72
	s_cbranch_execz .LBB6_12461
; %bb.12456:                            ;   in Loop: Header=BB6_12353 Depth=3
	v_cmp_ne_u64_e64 s13, 0, v[12:13]
                                        ; implicit-def: $vgpr31
	s_and_saveexec_b32 s72, s13
	s_delay_alu instid0(SALU_CYCLE_1)
	s_xor_b32 s13, exec_lo, s72
; %bb.12457:                            ;   in Loop: Header=BB6_12353 Depth=3
	v_or_b32_e32 v31, 0x7f, v15
                                        ; implicit-def: $vgpr14
; %bb.12458:                            ;   in Loop: Header=BB6_12353 Depth=3
	s_and_not1_saveexec_b32 s72, s13
; %bb.12459:                            ;   in Loop: Header=BB6_12353 Depth=3
	v_cmp_lt_i32_e64 s13, -1, v14
	v_mov_b32_e32 v12, 0x7c
	s_delay_alu instid0(VALU_DEP_1)
	v_cndmask_b32_e64 v31, 0xfc, v12, s13
; %bb.12460:                            ;   in Loop: Header=BB6_12353 Depth=3
	s_or_b32 exec_lo, exec_lo, s72
.LBB6_12461:                            ;   in Loop: Header=BB6_12353 Depth=3
	s_delay_alu instid0(SALU_CYCLE_1)
	s_or_b32 exec_lo, exec_lo, s14
	v_mov_b32_e32 v13, 0
	s_mov_b32 s14, exec_lo
	v_cmpx_lt_u32_e32 0xffffff, v0
	s_cbranch_execz .LBB6_12471
; %bb.12462:                            ;   in Loop: Header=BB6_12353 Depth=3
	v_lshrrev_b32_e32 v12, 24, v0
	v_bfrev_b32_e32 v13, 1
	s_mov_b32 s72, exec_lo
	s_delay_alu instid0(VALU_DEP_2)
	v_cmpx_ne_u32_e32 0x80, v12
	s_cbranch_execz .LBB6_12470
; %bb.12463:                            ;   in Loop: Header=BB6_12353 Depth=3
	v_and_b32_e32 v13, 0x7c000000, v0
	v_bfe_u32 v14, v0, 24, 2
	s_delay_alu instid0(VALU_DEP_2) | instskip(SKIP_1) | instid1(SALU_CYCLE_1)
	v_cmp_ne_u32_e64 s13, 0x7c000000, v13
                                        ; implicit-def: $vgpr13
	s_and_saveexec_b32 s73, s13
	s_xor_b32 s73, exec_lo, s73
	s_cbranch_execz .LBB6_12467
; %bb.12464:                            ;   in Loop: Header=BB6_12353 Depth=3
	v_bfe_u32 v13, v0, 26, 5
	s_mov_b32 s74, exec_lo
	s_delay_alu instid0(VALU_DEP_1)
	v_cmpx_eq_u32_e32 0, v13
; %bb.12465:                            ;   in Loop: Header=BB6_12353 Depth=3
	v_clz_i32_u32_e32 v13, v14
	s_delay_alu instid0(VALU_DEP_1) | instskip(NEXT) | instid1(VALU_DEP_1)
	v_min_u32_e32 v14, 32, v13
	v_subrev_nc_u32_e32 v13, 29, v14
	s_delay_alu instid0(VALU_DEP_1) | instskip(NEXT) | instid1(VALU_DEP_1)
	v_lshlrev_b64_e32 v[12:13], v13, v[12:13]
	v_dual_sub_nc_u32 v13, 30, v14 :: v_dual_bitop2_b32 v14, 3, v12 bitop3:0x40
; %bb.12466:                            ;   in Loop: Header=BB6_12353 Depth=3
	s_or_b32 exec_lo, exec_lo, s74
	v_and_b32_e32 v12, 0x80000000, v0
	s_delay_alu instid0(VALU_DEP_1) | instskip(NEXT) | instid1(VALU_DEP_1)
	v_lshl_add_u32 v12, v13, 23, v12
	v_lshl_or_b32 v12, v14, 21, v12
                                        ; implicit-def: $vgpr14
	s_delay_alu instid0(VALU_DEP_1)
	v_add_nc_u32_e32 v13, 0x38000000, v12
.LBB6_12467:                            ;   in Loop: Header=BB6_12353 Depth=3
	s_and_not1_saveexec_b32 s73, s73
; %bb.12468:                            ;   in Loop: Header=BB6_12353 Depth=3
	v_cmp_lt_i32_e64 s13, -1, v0
	v_mov_b32_e32 v12, 0x7f800000
	s_delay_alu instid0(VALU_DEP_1) | instskip(SKIP_1) | instid1(VALU_DEP_1)
	v_cndmask_b32_e64 v12, 0xff800000, v12, s13
	v_cmp_eq_u32_e64 s13, 0, v14
	v_cndmask_b32_e64 v13, 0x7f800001, v12, s13
; %bb.12469:                            ;   in Loop: Header=BB6_12353 Depth=3
	s_or_b32 exec_lo, exec_lo, s73
.LBB6_12470:                            ;   in Loop: Header=BB6_12353 Depth=3
	s_delay_alu instid0(SALU_CYCLE_1)
	s_or_b32 exec_lo, exec_lo, s72
.LBB6_12471:                            ;   in Loop: Header=BB6_12353 Depth=3
	s_delay_alu instid0(SALU_CYCLE_1) | instskip(SKIP_3) | instid1(VALU_DEP_2)
	s_or_b32 exec_lo, exec_lo, s14
	v_bfe_u32 v18, v8, 24, 2
	v_bfe_u32 v22, v8, 26, 5
                                        ; implicit-def: $vgpr32
	s_mov_b32 s14, exec_lo
	v_clz_i32_u32_e32 v12, v18
	s_delay_alu instid0(VALU_DEP_2) | instskip(NEXT) | instid1(VALU_DEP_2)
	v_cmp_eq_u32_e64 s13, 0, v22
	v_min_u32_e32 v19, 32, v12
	v_lshrrev_b32_e32 v12, 24, v8
	s_delay_alu instid0(VALU_DEP_2) | instskip(NEXT) | instid1(VALU_DEP_1)
	v_subrev_nc_u32_e32 v14, 29, v19
	v_lshlrev_b64_e32 v[14:15], v14, v[12:13]
	v_sub_nc_u32_e32 v15, 30, v19
	v_and_b32_e32 v19, 0x80000000, v8
	s_delay_alu instid0(VALU_DEP_2) | instskip(NEXT) | instid1(VALU_DEP_1)
	v_dual_cndmask_b32 v15, v22, v15, s13 :: v_dual_bitop2_b32 v14, 3, v14 bitop3:0x40
	v_lshl_add_u32 v15, v15, 23, v19
	s_delay_alu instid0(VALU_DEP_2) | instskip(SKIP_2) | instid1(VALU_DEP_3)
	v_cndmask_b32_e64 v14, v18, v14, s13
	v_cmp_lt_i32_e64 s13, -1, v8
	v_mov_b32_e32 v19, 0x7f800000
	v_lshl_or_b32 v14, v14, 21, v15
	v_and_b32_e32 v15, 0x7c000000, v8
	s_delay_alu instid0(VALU_DEP_3) | instskip(SKIP_1) | instid1(VALU_DEP_4)
	v_cndmask_b32_e64 v19, 0xff800000, v19, s13
	v_cmp_eq_u32_e64 s13, 0, v18
	v_add_nc_u32_e32 v14, 0x38000000, v14
	s_delay_alu instid0(VALU_DEP_2) | instskip(SKIP_1) | instid1(VALU_DEP_1)
	v_cndmask_b32_e64 v18, 0x7f800001, v19, s13
	v_cmp_eq_u32_e64 s13, 0x7c000000, v15
	v_dual_mov_b32 v19, v21 :: v_dual_cndmask_b32 v14, v14, v18, s13
	v_cmp_ne_u32_e64 s13, 0x80, v12
	s_delay_alu instid0(VALU_DEP_1) | instskip(SKIP_1) | instid1(VALU_DEP_1)
	v_cndmask_b32_e64 v12, 0x80000000, v14, s13
	v_cmp_lt_u32_e64 s13, 0xffffff, v8
	v_cndmask_b32_e64 v12, 0, v12, s13
	s_delay_alu instid0(VALU_DEP_1) | instskip(NEXT) | instid1(VALU_DEP_1)
	v_dual_mul_f32 v14, v12, v13 :: v_dual_mov_b32 v13, v21
	v_and_b32_e32 v18, 0x7f800000, v14
	v_and_b32_e32 v12, 0x7fffff, v14
	v_lshrrev_b32_e32 v15, 24, v14
	s_delay_alu instid0(VALU_DEP_3)
	v_cmpx_ne_u64_e32 0x7f800000, v[18:19]
	s_xor_b32 s72, exec_lo, s14
	s_cbranch_execz .LBB6_12485
; %bb.12472:                            ;   in Loop: Header=BB6_12353 Depth=3
	v_and_b32_e32 v18, 0x7fffffff, v14
	v_mov_b32_e32 v19, v21
                                        ; implicit-def: $vgpr32
	s_delay_alu instid0(VALU_DEP_1) | instskip(SKIP_2) | instid1(SALU_CYCLE_1)
	v_cmp_gt_u64_e64 s13, 0x47600001, v[18:19]
	v_and_b32_e32 v18, 0x80, v15
	s_and_saveexec_b32 s14, s13
	s_xor_b32 s73, exec_lo, s14
	s_cbranch_execz .LBB6_12482
; %bb.12473:                            ;   in Loop: Header=BB6_12353 Depth=3
	v_mov_b32_e32 v32, 0
	s_mov_b32 s74, exec_lo
	v_cmpx_ne_u32_e32 0, v14
	s_cbranch_execz .LBB6_12481
; %bb.12474:                            ;   in Loop: Header=BB6_12353 Depth=3
	v_bfe_u32 v19, v14, 23, 8
	v_or_b32_e32 v23, 0x800000, v12
	s_delay_alu instid0(VALU_DEP_2) | instskip(SKIP_1) | instid1(VALU_DEP_1)
	v_sub_nc_u32_e32 v14, 0x71, v19
	v_cmp_gt_u32_e64 s13, 0x72, v19
	v_cndmask_b32_e64 v14, 0, v14, s13
	v_cmp_eq_u32_e64 s13, 0, v19
	s_delay_alu instid0(VALU_DEP_1) | instskip(NEXT) | instid1(VALU_DEP_3)
	v_cndmask_b32_e64 v12, v23, v12, s13
	v_cndmask_b32_e64 v22, v14, 0x70, s13
	s_delay_alu instid0(VALU_DEP_1) | instskip(NEXT) | instid1(VALU_DEP_1)
	v_dual_add_nc_u32 v14, 21, v22 :: v_dual_add_nc_u32 v32, 20, v22
	v_lshlrev_b64_e64 v[14:15], v14, -1
	s_delay_alu instid0(VALU_DEP_2) | instskip(NEXT) | instid1(VALU_DEP_2)
	v_lshlrev_b64_e64 v[32:33], v32, 1
	v_bfi_b32 v14, v14, 0, v12
	v_lshrrev_b64 v[12:13], v22, v[12:13]
	s_delay_alu instid0(VALU_DEP_4) | instskip(NEXT) | instid1(VALU_DEP_1)
	v_bfi_b32 v15, v15, 0, 0
	v_cmp_eq_u64_e64 s14, v[14:15], v[32:33]
	s_delay_alu instid0(VALU_DEP_3)
	v_mov_b64_e32 v[14:15], v[12:13]
	s_and_saveexec_b32 s75, s14
; %bb.12475:                            ;   in Loop: Header=BB6_12353 Depth=3
	v_bfe_u32 v14, v12, 21, 1
	v_mov_b32_e32 v15, v21
	s_delay_alu instid0(VALU_DEP_1) | instskip(NEXT) | instid1(VALU_DEP_1)
	v_add_nc_u64_e32 v[14:15], v[12:13], v[14:15]
	v_add_nc_u64_e32 v[14:15], -1, v[14:15]
; %bb.12476:                            ;   in Loop: Header=BB6_12353 Depth=3
	s_or_b32 exec_lo, exec_lo, s75
	v_add_nc_u32_e32 v13, 0xffffff81, v19
	v_lshrrev_b32_e32 v15, 23, v12
	s_mov_b32 s14, exec_lo
	s_delay_alu instid0(VALU_DEP_2) | instskip(NEXT) | instid1(VALU_DEP_1)
	v_cndmask_b32_e64 v13, v13, 0xffffff82, s13
	v_add3_u32 v15, v22, v13, v15
	v_and_b32_e32 v13, 0x1fffff, v14
                                        ; implicit-def: $vgpr14
	s_delay_alu instid0(VALU_DEP_1) | instskip(SKIP_1) | instid1(VALU_DEP_2)
	v_dual_add_nc_u32 v19, 14, v15 :: v_dual_add_nc_u32 v12, v13, v12
	v_mov_b32_e32 v13, v21
	v_cmpx_ne_u32_e32 0, v19
	s_xor_b32 s14, exec_lo, s14
; %bb.12477:                            ;   in Loop: Header=BB6_12353 Depth=3
	s_delay_alu instid0(VALU_DEP_2) | instskip(SKIP_1) | instid1(VALU_DEP_2)
	v_cmp_lt_u64_e64 s13, 0xffffff, v[12:13]
	v_add_nc_u32_e32 v14, 15, v15
	v_cndmask_b32_e64 v15, 0, 1, s13
	s_delay_alu instid0(VALU_DEP_2) | instskip(NEXT) | instid1(VALU_DEP_2)
	v_cndmask_b32_e64 v14, v19, v14, s13
	v_lshrrev_b64 v[12:13], v15, v[12:13]
; %bb.12478:                            ;   in Loop: Header=BB6_12353 Depth=3
	s_and_not1_saveexec_b32 s13, s14
; %bb.12479:                            ;   in Loop: Header=BB6_12353 Depth=3
	s_delay_alu instid0(VALU_DEP_1)
	v_bfe_u32 v14, v12, 23, 1
; %bb.12480:                            ;   in Loop: Header=BB6_12353 Depth=3
	s_or_b32 exec_lo, exec_lo, s13
	s_delay_alu instid0(VALU_DEP_2) | instskip(NEXT) | instid1(VALU_DEP_2)
	v_lshrrev_b64 v[12:13], 21, v[12:13]
	v_cmp_gt_i32_e64 s13, 32, v14
	v_min_i32_e32 v15, 31, v14
	v_cmp_eq_u32_e64 s14, 0, v14
	s_delay_alu instid0(VALU_DEP_2) | instskip(SKIP_1) | instid1(VALU_DEP_2)
	v_dual_cndmask_b32 v13, 0, v13, s13 :: v_dual_lshlrev_b32 v15, 2, v15
	v_cndmask_b32_e64 v12, 3, v12, s13
	v_and_b32_e32 v15, 0xfc, v15
	s_delay_alu instid0(VALU_DEP_2) | instskip(NEXT) | instid1(VALU_DEP_2)
	v_cmp_eq_u64_e64 s13, 0, v[12:13]
	v_and_or_b32 v12, v12, 3, v15
	s_and_b32 s13, s14, s13
	s_delay_alu instid0(VALU_DEP_1) | instid1(SALU_CYCLE_1)
	v_cndmask_b32_e64 v12, v12, 0, s13
	s_delay_alu instid0(VALU_DEP_1)
	v_or_b32_e32 v32, v12, v18
.LBB6_12481:                            ;   in Loop: Header=BB6_12353 Depth=3
	s_or_b32 exec_lo, exec_lo, s74
                                        ; implicit-def: $vgpr18
.LBB6_12482:                            ;   in Loop: Header=BB6_12353 Depth=3
	s_and_not1_saveexec_b32 s13, s73
; %bb.12483:                            ;   in Loop: Header=BB6_12353 Depth=3
	v_or_b32_e32 v32, 0x7b, v18
; %bb.12484:                            ;   in Loop: Header=BB6_12353 Depth=3
	s_or_b32 exec_lo, exec_lo, s13
                                        ; implicit-def: $vgpr14
                                        ; implicit-def: $vgpr12_vgpr13
                                        ; implicit-def: $vgpr15
.LBB6_12485:                            ;   in Loop: Header=BB6_12353 Depth=3
	s_and_not1_saveexec_b32 s14, s72
	s_cbranch_execz .LBB6_12491
; %bb.12486:                            ;   in Loop: Header=BB6_12353 Depth=3
	v_cmp_ne_u64_e64 s13, 0, v[12:13]
                                        ; implicit-def: $vgpr32
	s_and_saveexec_b32 s72, s13
	s_delay_alu instid0(SALU_CYCLE_1)
	s_xor_b32 s13, exec_lo, s72
; %bb.12487:                            ;   in Loop: Header=BB6_12353 Depth=3
	v_or_b32_e32 v32, 0x7f, v15
                                        ; implicit-def: $vgpr14
; %bb.12488:                            ;   in Loop: Header=BB6_12353 Depth=3
	s_and_not1_saveexec_b32 s72, s13
; %bb.12489:                            ;   in Loop: Header=BB6_12353 Depth=3
	v_cmp_lt_i32_e64 s13, -1, v14
	v_mov_b32_e32 v12, 0x7c
	s_delay_alu instid0(VALU_DEP_1)
	v_cndmask_b32_e64 v32, 0xfc, v12, s13
; %bb.12490:                            ;   in Loop: Header=BB6_12353 Depth=3
	s_or_b32 exec_lo, exec_lo, s72
.LBB6_12491:                            ;   in Loop: Header=BB6_12353 Depth=3
	s_delay_alu instid0(SALU_CYCLE_1) | instskip(SKIP_4) | instid1(VALU_DEP_3)
	s_or_b32 exec_lo, exec_lo, s14
	v_and_b32_e32 v12, 0xff, v1
	v_dual_mov_b32 v14, v1 :: v_dual_mov_b32 v15, v21
	v_mov_b32_e32 v18, 0
	s_mov_b32 s14, exec_lo
	v_cmpx_ne_u16_e32 0, v12
	s_cbranch_execz .LBB6_12501
; %bb.12492:                            ;   in Loop: Header=BB6_12353 Depth=3
	v_bfrev_b32_e32 v18, 1
	s_mov_b32 s72, exec_lo
	v_cmpx_ne_u16_e32 0x80, v12
	s_cbranch_execz .LBB6_12500
; %bb.12493:                            ;   in Loop: Header=BB6_12353 Depth=3
	v_and_b32_e32 v13, 0x7c, v1
	v_and_b32_e32 v12, 3, v1
	s_mov_b32 s73, exec_lo
                                        ; implicit-def: $vgpr18
	s_delay_alu instid0(VALU_DEP_2)
	v_cmpx_ne_u32_e32 0x7c, v13
	s_xor_b32 s73, exec_lo, s73
	s_cbranch_execz .LBB6_12497
; %bb.12494:                            ;   in Loop: Header=BB6_12353 Depth=3
	v_bfe_u32 v13, v1, 2, 5
	s_mov_b32 s74, exec_lo
	s_delay_alu instid0(VALU_DEP_1)
	v_cmpx_eq_u32_e32 0, v13
; %bb.12495:                            ;   in Loop: Header=BB6_12353 Depth=3
	v_clz_i32_u32_e32 v12, v12
	s_delay_alu instid0(VALU_DEP_1) | instskip(NEXT) | instid1(VALU_DEP_1)
	v_min_u32_e32 v18, 32, v12
	v_subrev_nc_u32_e32 v12, 29, v18
	s_delay_alu instid0(VALU_DEP_1) | instskip(NEXT) | instid1(VALU_DEP_1)
	v_lshlrev_b64_e32 v[12:13], v12, v[14:15]
	v_dual_sub_nc_u32 v13, 30, v18 :: v_dual_bitop2_b32 v12, 3, v12 bitop3:0x40
; %bb.12496:                            ;   in Loop: Header=BB6_12353 Depth=3
	s_or_b32 exec_lo, exec_lo, s74
	v_lshlrev_b32_e32 v15, 24, v1
	s_delay_alu instid0(VALU_DEP_1) | instskip(NEXT) | instid1(VALU_DEP_1)
	v_and_b32_e32 v15, 0x80000000, v15
	v_lshl_add_u32 v13, v13, 23, v15
	s_delay_alu instid0(VALU_DEP_1) | instskip(NEXT) | instid1(VALU_DEP_1)
	v_lshl_or_b32 v12, v12, 21, v13
	v_add_nc_u32_e32 v18, 0x38000000, v12
                                        ; implicit-def: $vgpr12
.LBB6_12497:                            ;   in Loop: Header=BB6_12353 Depth=3
	s_and_not1_saveexec_b32 s73, s73
; %bb.12498:                            ;   in Loop: Header=BB6_12353 Depth=3
	v_bfe_i32 v13, v1, 0, 8
	s_delay_alu instid0(VALU_DEP_1) | instskip(SKIP_1) | instid1(VALU_DEP_1)
	v_cmp_lt_i16_e64 s13, -1, v13
	v_mov_b32_e32 v13, 0x7f800000
	v_cndmask_b32_e64 v13, 0xff800000, v13, s13
	v_cmp_eq_u32_e64 s13, 0, v12
	s_delay_alu instid0(VALU_DEP_1)
	v_cndmask_b32_e64 v18, 0x7f800001, v13, s13
; %bb.12499:                            ;   in Loop: Header=BB6_12353 Depth=3
	s_or_b32 exec_lo, exec_lo, s73
.LBB6_12500:                            ;   in Loop: Header=BB6_12353 Depth=3
	s_delay_alu instid0(SALU_CYCLE_1)
	s_or_b32 exec_lo, exec_lo, s72
.LBB6_12501:                            ;   in Loop: Header=BB6_12353 Depth=3
	s_delay_alu instid0(SALU_CYCLE_1) | instskip(SKIP_4) | instid1(VALU_DEP_2)
	s_or_b32 exec_lo, exec_lo, s14
	v_and_b32_e32 v13, 0xff, v9
	v_mov_b32_e32 v12, v9
	s_mov_b32 s72, 0
	s_mov_b32 s14, exec_lo
	v_cmpx_lt_i16_e32 0x7f, v13
	s_xor_b32 s14, exec_lo, s14
	s_cbranch_execz .LBB6_12910
; %bb.12502:                            ;   in Loop: Header=BB6_12353 Depth=3
	s_mov_b32 s72, -1
	s_mov_b32 s73, exec_lo
	v_cmpx_eq_u16_e32 0x80, v13
; %bb.12503:                            ;   in Loop: Header=BB6_12353 Depth=3
	s_xor_b32 s72, exec_lo, -1
; %bb.12504:                            ;   in Loop: Header=BB6_12353 Depth=3
	s_or_b32 exec_lo, exec_lo, s73
	s_delay_alu instid0(SALU_CYCLE_1)
	s_and_b32 s72, s72, exec_lo
                                        ; implicit-def: $vgpr13
	s_or_saveexec_b32 s14, s14
	v_bfrev_b32_e32 v15, 1
	s_xor_b32 exec_lo, exec_lo, s14
	s_cbranch_execnz .LBB6_12911
.LBB6_12505:                            ;   in Loop: Header=BB6_12353 Depth=3
	s_or_b32 exec_lo, exec_lo, s14
	v_mov_b32_e32 v13, v21
	s_and_saveexec_b32 s14, s72
	s_cbranch_execz .LBB6_12507
.LBB6_12506:                            ;   in Loop: Header=BB6_12353 Depth=3
	v_and_b32_e32 v15, 3, v9
	s_delay_alu instid0(VALU_DEP_1) | instskip(NEXT) | instid1(VALU_DEP_1)
	v_clz_i32_u32_e32 v19, v15
	v_min_u32_e32 v19, 32, v19
	s_delay_alu instid0(VALU_DEP_1) | instskip(NEXT) | instid1(VALU_DEP_1)
	v_subrev_nc_u32_e32 v22, 29, v19
	v_lshlrev_b64_e32 v[22:23], v22, v[12:13]
	v_bfe_u32 v23, v9, 2, 5
	v_dual_lshlrev_b32 v13, 24, v9 :: v_dual_sub_nc_u32 v19, 30, v19
	s_delay_alu instid0(VALU_DEP_2) | instskip(NEXT) | instid1(VALU_DEP_2)
	v_cmp_eq_u32_e64 s13, 0, v23
	v_and_b32_e32 v13, 0x80000000, v13
	s_delay_alu instid0(VALU_DEP_2) | instskip(SKIP_1) | instid1(VALU_DEP_2)
	v_dual_cndmask_b32 v19, v23, v19, s13 :: v_dual_bitop2_b32 v22, 3, v22 bitop3:0x40
	v_bfe_i32 v23, v9, 0, 8
	v_cndmask_b32_e64 v22, v15, v22, s13
	s_delay_alu instid0(VALU_DEP_3) | instskip(NEXT) | instid1(VALU_DEP_3)
	v_lshl_add_u32 v13, v19, 23, v13
	v_cmp_lt_i16_e64 s13, -1, v23
	v_mov_b32_e32 v19, 0x7f800000
	s_delay_alu instid0(VALU_DEP_3) | instskip(SKIP_1) | instid1(VALU_DEP_3)
	v_lshl_or_b32 v13, v22, 21, v13
	v_and_b32_e32 v22, 0x7c, v9
	v_cndmask_b32_e64 v19, 0xff800000, v19, s13
	v_cmp_eq_u32_e64 s13, 0, v15
	s_delay_alu instid0(VALU_DEP_4) | instskip(NEXT) | instid1(VALU_DEP_2)
	v_add_nc_u32_e32 v13, 0x38000000, v13
	v_cndmask_b32_e64 v15, 0x7f800001, v19, s13
	v_cmp_eq_u32_e64 s13, 0x7c, v22
	s_delay_alu instid0(VALU_DEP_1)
	v_cndmask_b32_e64 v15, v13, v15, s13
.LBB6_12507:                            ;   in Loop: Header=BB6_12353 Depth=3
	s_or_b32 exec_lo, exec_lo, s14
	s_delay_alu instid0(VALU_DEP_1) | instskip(NEXT) | instid1(VALU_DEP_1)
	v_dual_mul_f32 v15, v18, v15 :: v_dual_mov_b32 v23, v21
	v_dual_mov_b32 v19, v21 :: v_dual_lshrrev_b32 v13, 24, v15
	v_and_b32_e32 v22, 0x7f800000, v15
	v_and_b32_e32 v18, 0x7fffff, v15
	s_delay_alu instid0(VALU_DEP_2) | instskip(SKIP_1) | instid1(SALU_CYCLE_1)
	v_cmp_ne_u64_e64 s13, 0x7f800000, v[22:23]
                                        ; implicit-def: $vgpr22
	s_and_saveexec_b32 s14, s13
	s_xor_b32 s72, exec_lo, s14
	s_cbranch_execz .LBB6_12521
; %bb.12508:                            ;   in Loop: Header=BB6_12353 Depth=3
	v_and_b32_e32 v22, 0x7fffffff, v15
	v_mov_b32_e32 v23, v21
	v_and_b32_e32 v13, 0x80, v13
	s_delay_alu instid0(VALU_DEP_2) | instskip(SKIP_1) | instid1(SALU_CYCLE_1)
	v_cmp_gt_u64_e64 s13, 0x47600001, v[22:23]
                                        ; implicit-def: $vgpr22
	s_and_saveexec_b32 s14, s13
	s_xor_b32 s73, exec_lo, s14
	s_cbranch_execz .LBB6_12518
; %bb.12509:                            ;   in Loop: Header=BB6_12353 Depth=3
	v_mov_b32_e32 v22, 0
	s_mov_b32 s74, exec_lo
	v_cmpx_ne_u32_e32 0, v15
	s_cbranch_execz .LBB6_12517
; %bb.12510:                            ;   in Loop: Header=BB6_12353 Depth=3
	v_bfe_u32 v15, v15, 23, 8
	v_or_b32_e32 v34, 0x800000, v18
	s_delay_alu instid0(VALU_DEP_2) | instskip(SKIP_1) | instid1(VALU_DEP_1)
	v_sub_nc_u32_e32 v22, 0x71, v15
	v_cmp_gt_u32_e64 s13, 0x72, v15
	v_cndmask_b32_e64 v22, 0, v22, s13
	v_cmp_eq_u32_e64 s13, 0, v15
	s_delay_alu instid0(VALU_DEP_1) | instskip(NEXT) | instid1(VALU_DEP_1)
	v_cndmask_b32_e64 v33, v22, 0x70, s13
	v_dual_cndmask_b32 v18, v34, v18, s13 :: v_dual_add_nc_u32 v22, 21, v33
	v_add_nc_u32_e32 v35, 20, v33
	s_delay_alu instid0(VALU_DEP_2) | instskip(NEXT) | instid1(VALU_DEP_2)
	v_lshlrev_b64_e64 v[22:23], v22, -1
	v_lshlrev_b64_e64 v[34:35], v35, 1
	s_delay_alu instid0(VALU_DEP_2) | instskip(SKIP_1) | instid1(VALU_DEP_4)
	v_bfi_b32 v22, v22, 0, v18
	v_lshrrev_b64 v[18:19], v33, v[18:19]
	v_bfi_b32 v23, v23, 0, 0
	s_delay_alu instid0(VALU_DEP_1) | instskip(NEXT) | instid1(VALU_DEP_3)
	v_cmp_eq_u64_e64 s14, v[22:23], v[34:35]
	v_mov_b64_e32 v[22:23], v[18:19]
	s_and_saveexec_b32 s75, s14
; %bb.12511:                            ;   in Loop: Header=BB6_12353 Depth=3
	v_bfe_u32 v22, v18, 21, 1
	v_mov_b32_e32 v23, v21
	s_delay_alu instid0(VALU_DEP_1) | instskip(NEXT) | instid1(VALU_DEP_1)
	v_add_nc_u64_e32 v[22:23], v[18:19], v[22:23]
	v_add_nc_u64_e32 v[22:23], -1, v[22:23]
; %bb.12512:                            ;   in Loop: Header=BB6_12353 Depth=3
	s_or_b32 exec_lo, exec_lo, s75
	v_add_nc_u32_e32 v15, 0xffffff81, v15
	v_lshrrev_b32_e32 v19, 23, v18
	s_mov_b32 s14, exec_lo
	s_delay_alu instid0(VALU_DEP_2) | instskip(NEXT) | instid1(VALU_DEP_1)
	v_cndmask_b32_e64 v15, v15, 0xffffff82, s13
	v_add3_u32 v23, v33, v15, v19
	v_and_b32_e32 v15, 0x1fffff, v22
	s_delay_alu instid0(VALU_DEP_2) | instskip(NEXT) | instid1(VALU_DEP_2)
	v_dual_mov_b32 v19, v21 :: v_dual_add_nc_u32 v22, 14, v23
	v_add_nc_u32_e32 v18, v15, v18
                                        ; implicit-def: $vgpr15
	s_delay_alu instid0(VALU_DEP_2)
	v_cmpx_ne_u32_e32 0, v22
	s_xor_b32 s14, exec_lo, s14
; %bb.12513:                            ;   in Loop: Header=BB6_12353 Depth=3
	s_delay_alu instid0(VALU_DEP_2) | instskip(SKIP_1) | instid1(VALU_DEP_1)
	v_cmp_lt_u64_e64 s13, 0xffffff, v[18:19]
	v_add_nc_u32_e32 v15, 15, v23
	v_cndmask_b32_e64 v15, v22, v15, s13
	v_cndmask_b32_e64 v22, 0, 1, s13
	s_delay_alu instid0(VALU_DEP_1)
	v_lshrrev_b64 v[18:19], v22, v[18:19]
; %bb.12514:                            ;   in Loop: Header=BB6_12353 Depth=3
	s_and_not1_saveexec_b32 s13, s14
; %bb.12515:                            ;   in Loop: Header=BB6_12353 Depth=3
	s_delay_alu instid0(VALU_DEP_1)
	v_bfe_u32 v15, v18, 23, 1
; %bb.12516:                            ;   in Loop: Header=BB6_12353 Depth=3
	s_or_b32 exec_lo, exec_lo, s13
	s_delay_alu instid0(VALU_DEP_2) | instskip(NEXT) | instid1(VALU_DEP_2)
	v_lshrrev_b64 v[18:19], 21, v[18:19]
	v_cmp_gt_i32_e64 s13, 32, v15
	v_min_i32_e32 v22, 31, v15
	v_cmp_eq_u32_e64 s14, 0, v15
	s_delay_alu instid0(VALU_DEP_3) | instskip(NEXT) | instid1(VALU_DEP_3)
	v_cndmask_b32_e64 v18, 3, v18, s13
	v_dual_lshlrev_b32 v22, 2, v22 :: v_dual_cndmask_b32 v19, 0, v19, s13
	s_delay_alu instid0(VALU_DEP_1) | instskip(NEXT) | instid1(VALU_DEP_2)
	v_and_b32_e32 v22, 0xfc, v22
	v_cmp_eq_u64_e64 s13, 0, v[18:19]
	s_delay_alu instid0(VALU_DEP_2)
	v_and_or_b32 v15, v18, 3, v22
	s_and_b32 s13, s14, s13
	s_delay_alu instid0(VALU_DEP_1) | instid1(SALU_CYCLE_1)
	v_cndmask_b32_e64 v15, v15, 0, s13
	s_delay_alu instid0(VALU_DEP_1)
	v_or_b32_e32 v22, v15, v13
.LBB6_12517:                            ;   in Loop: Header=BB6_12353 Depth=3
	s_or_b32 exec_lo, exec_lo, s74
                                        ; implicit-def: $vgpr13
.LBB6_12518:                            ;   in Loop: Header=BB6_12353 Depth=3
	s_and_not1_saveexec_b32 s13, s73
; %bb.12519:                            ;   in Loop: Header=BB6_12353 Depth=3
	v_or_b32_e32 v22, 0x7b, v13
; %bb.12520:                            ;   in Loop: Header=BB6_12353 Depth=3
	s_or_b32 exec_lo, exec_lo, s13
                                        ; implicit-def: $vgpr15
                                        ; implicit-def: $vgpr18_vgpr19
                                        ; implicit-def: $vgpr13
.LBB6_12521:                            ;   in Loop: Header=BB6_12353 Depth=3
	s_and_not1_saveexec_b32 s14, s72
	s_cbranch_execz .LBB6_12527
; %bb.12522:                            ;   in Loop: Header=BB6_12353 Depth=3
	v_cmp_ne_u64_e64 s13, 0, v[18:19]
                                        ; implicit-def: $vgpr22
	s_and_saveexec_b32 s72, s13
	s_delay_alu instid0(SALU_CYCLE_1)
	s_xor_b32 s13, exec_lo, s72
; %bb.12523:                            ;   in Loop: Header=BB6_12353 Depth=3
	v_or_b32_e32 v22, 0x7f, v13
                                        ; implicit-def: $vgpr15
; %bb.12524:                            ;   in Loop: Header=BB6_12353 Depth=3
	s_and_not1_saveexec_b32 s72, s13
; %bb.12525:                            ;   in Loop: Header=BB6_12353 Depth=3
	v_cmp_lt_i32_e64 s13, -1, v15
	v_mov_b32_e32 v13, 0x7c
	s_delay_alu instid0(VALU_DEP_1)
	v_cndmask_b32_e64 v22, 0xfc, v13, s13
; %bb.12526:                            ;   in Loop: Header=BB6_12353 Depth=3
	s_or_b32 exec_lo, exec_lo, s72
.LBB6_12527:                            ;   in Loop: Header=BB6_12353 Depth=3
	s_delay_alu instid0(SALU_CYCLE_1) | instskip(SKIP_3) | instid1(VALU_DEP_2)
	s_or_b32 exec_lo, exec_lo, s14
	v_lshrrev_b16 v18, 8, v14
	v_mov_b32_e32 v13, 0
	s_mov_b32 s14, exec_lo
	v_cmpx_ne_u16_e32 0, v18
	s_cbranch_execz .LBB6_12537
; %bb.12528:                            ;   in Loop: Header=BB6_12353 Depth=3
	v_bfrev_b32_e32 v13, 1
	s_mov_b32 s72, exec_lo
	v_cmpx_ne_u16_e32 0x80, v18
	s_cbranch_execz .LBB6_12536
; %bb.12529:                            ;   in Loop: Header=BB6_12353 Depth=3
	v_and_b32_e32 v15, 0xffff, v18
	s_delay_alu instid0(VALU_DEP_1) | instskip(SKIP_1) | instid1(VALU_DEP_2)
	v_and_b32_e32 v13, 0x7c, v15
	v_and_b32_e32 v19, 3, v15
	v_cmp_ne_u32_e64 s13, 0x7c, v13
                                        ; implicit-def: $vgpr13
	s_and_saveexec_b32 s73, s13
	s_delay_alu instid0(SALU_CYCLE_1)
	s_xor_b32 s73, exec_lo, s73
	s_cbranch_execz .LBB6_12533
; %bb.12530:                            ;   in Loop: Header=BB6_12353 Depth=3
	v_bfe_u32 v13, v15, 2, 5
	s_mov_b32 s74, exec_lo
	s_delay_alu instid0(VALU_DEP_1)
	v_cmpx_eq_u32_e32 0, v13
	s_cbranch_execz .LBB6_12532
; %bb.12531:                            ;   in Loop: Header=BB6_12353 Depth=3
	v_clz_i32_u32_e32 v13, v19
	s_delay_alu instid0(VALU_DEP_1) | instskip(SKIP_1) | instid1(VALU_DEP_2)
	v_min_u32_e32 v13, 32, v13
	v_mov_b32_e32 v19, v21
	v_subrev_nc_u32_e32 v15, 29, v13
	v_sub_nc_u32_e32 v13, 30, v13
	s_delay_alu instid0(VALU_DEP_2) | instskip(NEXT) | instid1(VALU_DEP_1)
	v_lshlrev_b64_e32 v[18:19], v15, v[18:19]
	v_and_b32_e32 v19, 3, v18
.LBB6_12532:                            ;   in Loop: Header=BB6_12353 Depth=3
	s_or_b32 exec_lo, exec_lo, s74
	v_lshlrev_b32_e32 v14, 16, v14
	s_delay_alu instid0(VALU_DEP_1) | instskip(NEXT) | instid1(VALU_DEP_1)
	v_and_b32_e32 v14, 0x80000000, v14
	v_lshl_add_u32 v13, v13, 23, v14
                                        ; implicit-def: $vgpr14_vgpr15
	s_delay_alu instid0(VALU_DEP_1) | instskip(NEXT) | instid1(VALU_DEP_1)
	v_lshl_or_b32 v13, v19, 21, v13
                                        ; implicit-def: $vgpr19
	v_add_nc_u32_e32 v13, 0x38000000, v13
.LBB6_12533:                            ;   in Loop: Header=BB6_12353 Depth=3
	s_and_not1_saveexec_b32 s73, s73
; %bb.12534:                            ;   in Loop: Header=BB6_12353 Depth=3
	v_cmp_lt_i16_e64 s13, -1, v14
	v_mov_b32_e32 v13, 0x7f800000
	s_delay_alu instid0(VALU_DEP_1) | instskip(SKIP_1) | instid1(VALU_DEP_1)
	v_cndmask_b32_e64 v13, 0xff800000, v13, s13
	v_cmp_eq_u32_e64 s13, 0, v19
	v_cndmask_b32_e64 v13, 0x7f800001, v13, s13
; %bb.12535:                            ;   in Loop: Header=BB6_12353 Depth=3
	s_or_b32 exec_lo, exec_lo, s73
.LBB6_12536:                            ;   in Loop: Header=BB6_12353 Depth=3
	s_delay_alu instid0(SALU_CYCLE_1)
	s_or_b32 exec_lo, exec_lo, s72
.LBB6_12537:                            ;   in Loop: Header=BB6_12353 Depth=3
	s_delay_alu instid0(SALU_CYCLE_1) | instskip(SKIP_3) | instid1(VALU_DEP_1)
	s_or_b32 exec_lo, exec_lo, s14
	v_lshrrev_b16 v14, 8, v12
	s_mov_b32 s72, 0
	s_mov_b32 s14, exec_lo
	v_cmpx_lt_i16_e32 0x7f, v14
	s_xor_b32 s14, exec_lo, s14
	s_cbranch_execz .LBB6_12912
; %bb.12538:                            ;   in Loop: Header=BB6_12353 Depth=3
	s_mov_b32 s72, -1
	s_mov_b32 s73, exec_lo
	v_cmpx_eq_u16_e32 0x80, v14
; %bb.12539:                            ;   in Loop: Header=BB6_12353 Depth=3
	s_xor_b32 s72, exec_lo, -1
; %bb.12540:                            ;   in Loop: Header=BB6_12353 Depth=3
	s_or_b32 exec_lo, exec_lo, s73
	s_delay_alu instid0(SALU_CYCLE_1)
	s_and_b32 s72, s72, exec_lo
	s_or_saveexec_b32 s14, s14
	v_bfrev_b32_e32 v15, 1
	s_xor_b32 exec_lo, exec_lo, s14
	s_cbranch_execnz .LBB6_12913
.LBB6_12541:                            ;   in Loop: Header=BB6_12353 Depth=3
	s_or_b32 exec_lo, exec_lo, s14
	s_and_saveexec_b32 s14, s72
	s_cbranch_execz .LBB6_12543
.LBB6_12542:                            ;   in Loop: Header=BB6_12353 Depth=3
	v_and_b32_e32 v23, 0xffff, v14
	s_delay_alu instid0(VALU_DEP_1) | instskip(NEXT) | instid1(VALU_DEP_1)
	v_and_b32_e32 v33, 3, v23
	v_clz_i32_u32_e32 v15, v33
	s_delay_alu instid0(VALU_DEP_1) | instskip(SKIP_1) | instid1(VALU_DEP_2)
	v_min_u32_e32 v34, 32, v15
	v_mov_b32_e32 v15, v21
	v_subrev_nc_u32_e32 v18, 29, v34
	s_delay_alu instid0(VALU_DEP_1) | instskip(SKIP_2) | instid1(VALU_DEP_2)
	v_lshlrev_b64_e32 v[18:19], v18, v[14:15]
	v_bfe_u32 v15, v23, 2, 5
	v_sub_nc_u32_e32 v19, 30, v34
	v_cmp_eq_u32_e64 s13, 0, v15
	v_lshlrev_b32_e32 v14, 24, v14
	s_delay_alu instid0(VALU_DEP_2) | instskip(NEXT) | instid1(VALU_DEP_2)
	v_dual_cndmask_b32 v15, v15, v19, s13 :: v_dual_bitop2_b32 v18, 3, v18 bitop3:0x40
	v_and_b32_e32 v14, 0x80000000, v14
	s_delay_alu instid0(VALU_DEP_2) | instskip(SKIP_2) | instid1(VALU_DEP_4)
	v_cndmask_b32_e64 v18, v33, v18, s13
	v_cmp_lt_i16_e64 s13, -1, v12
	v_mov_b32_e32 v12, 0x7f800000
	v_lshl_add_u32 v14, v15, 23, v14
	v_and_b32_e32 v15, 0x7c, v23
	s_delay_alu instid0(VALU_DEP_3) | instskip(SKIP_1) | instid1(VALU_DEP_4)
	v_cndmask_b32_e64 v12, 0xff800000, v12, s13
	v_cmp_eq_u32_e64 s13, 0, v33
	v_lshl_or_b32 v14, v18, 21, v14
	s_delay_alu instid0(VALU_DEP_2) | instskip(NEXT) | instid1(VALU_DEP_2)
	v_cndmask_b32_e64 v12, 0x7f800001, v12, s13
	v_add_nc_u32_e32 v14, 0x38000000, v14
	v_cmp_eq_u32_e64 s13, 0x7c, v15
	s_delay_alu instid0(VALU_DEP_1)
	v_cndmask_b32_e64 v15, v14, v12, s13
.LBB6_12543:                            ;   in Loop: Header=BB6_12353 Depth=3
	s_or_b32 exec_lo, exec_lo, s14
	s_delay_alu instid0(VALU_DEP_1) | instskip(SKIP_1) | instid1(VALU_DEP_2)
	v_mul_f32_e32 v14, v13, v15
	v_dual_mov_b32 v19, v21 :: v_dual_mov_b32 v13, v21
	v_and_b32_e32 v18, 0x7f800000, v14
	v_and_b32_e32 v12, 0x7fffff, v14
	v_lshrrev_b32_e32 v15, 24, v14
	s_delay_alu instid0(VALU_DEP_3) | instskip(SKIP_1) | instid1(SALU_CYCLE_1)
	v_cmp_ne_u64_e64 s13, 0x7f800000, v[18:19]
                                        ; implicit-def: $vgpr18
	s_and_saveexec_b32 s14, s13
	s_xor_b32 s72, exec_lo, s14
	s_cbranch_execz .LBB6_12557
; %bb.12544:                            ;   in Loop: Header=BB6_12353 Depth=3
	v_and_b32_e32 v18, 0x7fffffff, v14
	v_mov_b32_e32 v19, v21
	s_delay_alu instid0(VALU_DEP_1) | instskip(SKIP_2) | instid1(SALU_CYCLE_1)
	v_cmp_gt_u64_e64 s13, 0x47600001, v[18:19]
	v_and_b32_e32 v19, 0x80, v15
                                        ; implicit-def: $vgpr18
	s_and_saveexec_b32 s14, s13
	s_xor_b32 s73, exec_lo, s14
	s_cbranch_execz .LBB6_12554
; %bb.12545:                            ;   in Loop: Header=BB6_12353 Depth=3
	v_mov_b32_e32 v18, 0
	s_mov_b32 s74, exec_lo
	v_cmpx_ne_u32_e32 0, v14
	s_cbranch_execz .LBB6_12553
; %bb.12546:                            ;   in Loop: Header=BB6_12353 Depth=3
	v_bfe_u32 v18, v14, 23, 8
	v_or_b32_e32 v33, 0x800000, v12
	s_delay_alu instid0(VALU_DEP_2) | instskip(SKIP_1) | instid1(VALU_DEP_1)
	v_sub_nc_u32_e32 v14, 0x71, v18
	v_cmp_gt_u32_e64 s13, 0x72, v18
	v_cndmask_b32_e64 v14, 0, v14, s13
	v_cmp_eq_u32_e64 s13, 0, v18
	s_delay_alu instid0(VALU_DEP_1) | instskip(NEXT) | instid1(VALU_DEP_1)
	v_cndmask_b32_e64 v23, v14, 0x70, s13
	v_dual_cndmask_b32 v12, v33, v12, s13 :: v_dual_add_nc_u32 v14, 21, v23
	v_add_nc_u32_e32 v34, 20, v23
	s_delay_alu instid0(VALU_DEP_2) | instskip(NEXT) | instid1(VALU_DEP_2)
	v_lshlrev_b64_e64 v[14:15], v14, -1
	v_lshlrev_b64_e64 v[34:35], v34, 1
	s_delay_alu instid0(VALU_DEP_2) | instskip(SKIP_1) | instid1(VALU_DEP_4)
	v_bfi_b32 v14, v14, 0, v12
	v_lshrrev_b64 v[12:13], v23, v[12:13]
	v_bfi_b32 v15, v15, 0, 0
	s_delay_alu instid0(VALU_DEP_1) | instskip(NEXT) | instid1(VALU_DEP_3)
	v_cmp_eq_u64_e64 s14, v[14:15], v[34:35]
	v_mov_b64_e32 v[14:15], v[12:13]
	s_and_saveexec_b32 s75, s14
; %bb.12547:                            ;   in Loop: Header=BB6_12353 Depth=3
	v_bfe_u32 v14, v12, 21, 1
	v_mov_b32_e32 v15, v21
	s_delay_alu instid0(VALU_DEP_1) | instskip(NEXT) | instid1(VALU_DEP_1)
	v_add_nc_u64_e32 v[14:15], v[12:13], v[14:15]
	v_add_nc_u64_e32 v[14:15], -1, v[14:15]
; %bb.12548:                            ;   in Loop: Header=BB6_12353 Depth=3
	s_or_b32 exec_lo, exec_lo, s75
	v_add_nc_u32_e32 v13, 0xffffff81, v18
	v_lshrrev_b32_e32 v15, 23, v12
	s_mov_b32 s14, exec_lo
	s_delay_alu instid0(VALU_DEP_2) | instskip(NEXT) | instid1(VALU_DEP_1)
	v_cndmask_b32_e64 v13, v13, 0xffffff82, s13
	v_add3_u32 v15, v23, v13, v15
	v_and_b32_e32 v13, 0x1fffff, v14
                                        ; implicit-def: $vgpr14
	s_delay_alu instid0(VALU_DEP_1) | instskip(SKIP_1) | instid1(VALU_DEP_2)
	v_dual_add_nc_u32 v18, 14, v15 :: v_dual_add_nc_u32 v12, v13, v12
	v_mov_b32_e32 v13, v21
	v_cmpx_ne_u32_e32 0, v18
	s_xor_b32 s14, exec_lo, s14
; %bb.12549:                            ;   in Loop: Header=BB6_12353 Depth=3
	s_delay_alu instid0(VALU_DEP_2) | instskip(SKIP_1) | instid1(VALU_DEP_2)
	v_cmp_lt_u64_e64 s13, 0xffffff, v[12:13]
	v_add_nc_u32_e32 v14, 15, v15
	v_cndmask_b32_e64 v15, 0, 1, s13
	s_delay_alu instid0(VALU_DEP_2) | instskip(NEXT) | instid1(VALU_DEP_2)
	v_cndmask_b32_e64 v14, v18, v14, s13
	v_lshrrev_b64 v[12:13], v15, v[12:13]
; %bb.12550:                            ;   in Loop: Header=BB6_12353 Depth=3
	s_and_not1_saveexec_b32 s13, s14
; %bb.12551:                            ;   in Loop: Header=BB6_12353 Depth=3
	s_delay_alu instid0(VALU_DEP_1)
	v_bfe_u32 v14, v12, 23, 1
; %bb.12552:                            ;   in Loop: Header=BB6_12353 Depth=3
	s_or_b32 exec_lo, exec_lo, s13
	s_delay_alu instid0(VALU_DEP_2) | instskip(NEXT) | instid1(VALU_DEP_2)
	v_lshrrev_b64 v[12:13], 21, v[12:13]
	v_cmp_gt_i32_e64 s13, 32, v14
	v_min_i32_e32 v15, 31, v14
	v_cmp_eq_u32_e64 s14, 0, v14
	s_delay_alu instid0(VALU_DEP_2) | instskip(SKIP_1) | instid1(VALU_DEP_2)
	v_dual_cndmask_b32 v13, 0, v13, s13 :: v_dual_lshlrev_b32 v15, 2, v15
	v_cndmask_b32_e64 v12, 3, v12, s13
	v_and_b32_e32 v15, 0xfc, v15
	s_delay_alu instid0(VALU_DEP_2) | instskip(NEXT) | instid1(VALU_DEP_2)
	v_cmp_eq_u64_e64 s13, 0, v[12:13]
	v_and_or_b32 v12, v12, 3, v15
	s_and_b32 s13, s14, s13
	s_delay_alu instid0(VALU_DEP_1) | instid1(SALU_CYCLE_1)
	v_cndmask_b32_e64 v12, v12, 0, s13
	s_delay_alu instid0(VALU_DEP_1)
	v_or_b32_e32 v18, v12, v19
.LBB6_12553:                            ;   in Loop: Header=BB6_12353 Depth=3
	s_or_b32 exec_lo, exec_lo, s74
                                        ; implicit-def: $vgpr19
.LBB6_12554:                            ;   in Loop: Header=BB6_12353 Depth=3
	s_and_not1_saveexec_b32 s13, s73
; %bb.12555:                            ;   in Loop: Header=BB6_12353 Depth=3
	v_or_b32_e32 v18, 0x7b, v19
; %bb.12556:                            ;   in Loop: Header=BB6_12353 Depth=3
	s_or_b32 exec_lo, exec_lo, s13
                                        ; implicit-def: $vgpr14
                                        ; implicit-def: $vgpr12_vgpr13
                                        ; implicit-def: $vgpr15
.LBB6_12557:                            ;   in Loop: Header=BB6_12353 Depth=3
	s_and_not1_saveexec_b32 s14, s72
	s_cbranch_execz .LBB6_12563
; %bb.12558:                            ;   in Loop: Header=BB6_12353 Depth=3
	v_cmp_ne_u64_e64 s13, 0, v[12:13]
                                        ; implicit-def: $vgpr18
	s_and_saveexec_b32 s72, s13
	s_delay_alu instid0(SALU_CYCLE_1)
	s_xor_b32 s13, exec_lo, s72
; %bb.12559:                            ;   in Loop: Header=BB6_12353 Depth=3
	v_or_b32_e32 v18, 0x7f, v15
                                        ; implicit-def: $vgpr14
; %bb.12560:                            ;   in Loop: Header=BB6_12353 Depth=3
	s_and_not1_saveexec_b32 s72, s13
; %bb.12561:                            ;   in Loop: Header=BB6_12353 Depth=3
	v_cmp_lt_i32_e64 s13, -1, v14
	v_mov_b32_e32 v12, 0x7c
	s_delay_alu instid0(VALU_DEP_1)
	v_cndmask_b32_e64 v18, 0xfc, v12, s13
; %bb.12562:                            ;   in Loop: Header=BB6_12353 Depth=3
	s_or_b32 exec_lo, exec_lo, s72
.LBB6_12563:                            ;   in Loop: Header=BB6_12353 Depth=3
	s_delay_alu instid0(SALU_CYCLE_1) | instskip(SKIP_2) | instid1(VALU_DEP_1)
	s_or_b32 exec_lo, exec_lo, s14
	v_dual_mov_b32 v13, 0 :: v_dual_lshrrev_b32 v12, 16, v1
	s_mov_b32 s14, exec_lo
	v_and_b32_e32 v14, 0xff, v12
	s_delay_alu instid0(VALU_DEP_1)
	v_cmpx_ne_u16_e32 0, v14
	s_cbranch_execz .LBB6_12573
; %bb.12564:                            ;   in Loop: Header=BB6_12353 Depth=3
	v_bfrev_b32_e32 v13, 1
	s_mov_b32 s72, exec_lo
	v_cmpx_ne_u16_e32 0x80, v14
	s_cbranch_execz .LBB6_12572
; %bb.12565:                            ;   in Loop: Header=BB6_12353 Depth=3
	v_and_b32_e32 v13, 0x7c0000, v1
	v_bfe_u32 v14, v1, 16, 2
	s_delay_alu instid0(VALU_DEP_2) | instskip(SKIP_1) | instid1(SALU_CYCLE_1)
	v_cmp_ne_u32_e64 s13, 0x7c0000, v13
                                        ; implicit-def: $vgpr13
	s_and_saveexec_b32 s73, s13
	s_xor_b32 s73, exec_lo, s73
	s_cbranch_execz .LBB6_12569
; %bb.12566:                            ;   in Loop: Header=BB6_12353 Depth=3
	v_bfe_u32 v13, v1, 18, 5
	s_mov_b32 s74, exec_lo
	s_delay_alu instid0(VALU_DEP_1)
	v_cmpx_eq_u32_e32 0, v13
; %bb.12567:                            ;   in Loop: Header=BB6_12353 Depth=3
	v_clz_i32_u32_e32 v13, v14
	s_delay_alu instid0(VALU_DEP_1) | instskip(NEXT) | instid1(VALU_DEP_1)
	v_min_u32_e32 v13, 32, v13
	v_subrev_nc_u32_e32 v14, 29, v13
	s_delay_alu instid0(VALU_DEP_1) | instskip(NEXT) | instid1(VALU_DEP_1)
	v_lshlrev_b64_e32 v[14:15], v14, v[12:13]
	v_dual_sub_nc_u32 v13, 30, v13 :: v_dual_bitop2_b32 v14, 3, v14 bitop3:0x40
; %bb.12568:                            ;   in Loop: Header=BB6_12353 Depth=3
	s_or_b32 exec_lo, exec_lo, s74
	v_lshlrev_b32_e32 v12, 24, v12
	s_delay_alu instid0(VALU_DEP_1) | instskip(NEXT) | instid1(VALU_DEP_1)
	v_and_b32_e32 v12, 0x80000000, v12
	v_lshl_add_u32 v12, v13, 23, v12
	s_delay_alu instid0(VALU_DEP_1) | instskip(NEXT) | instid1(VALU_DEP_1)
	v_lshl_or_b32 v12, v14, 21, v12
                                        ; implicit-def: $vgpr14
	v_add_nc_u32_e32 v13, 0x38000000, v12
                                        ; implicit-def: $vgpr12
.LBB6_12569:                            ;   in Loop: Header=BB6_12353 Depth=3
	s_and_not1_saveexec_b32 s73, s73
; %bb.12570:                            ;   in Loop: Header=BB6_12353 Depth=3
	v_bfe_i32 v12, v12, 0, 8
	s_delay_alu instid0(VALU_DEP_1) | instskip(SKIP_1) | instid1(VALU_DEP_1)
	v_cmp_lt_i16_e64 s13, -1, v12
	v_mov_b32_e32 v12, 0x7f800000
	v_cndmask_b32_e64 v12, 0xff800000, v12, s13
	v_cmp_eq_u32_e64 s13, 0, v14
	s_delay_alu instid0(VALU_DEP_1)
	v_cndmask_b32_e64 v13, 0x7f800001, v12, s13
; %bb.12571:                            ;   in Loop: Header=BB6_12353 Depth=3
	s_or_b32 exec_lo, exec_lo, s73
.LBB6_12572:                            ;   in Loop: Header=BB6_12353 Depth=3
	s_delay_alu instid0(SALU_CYCLE_1)
	s_or_b32 exec_lo, exec_lo, s72
.LBB6_12573:                            ;   in Loop: Header=BB6_12353 Depth=3
	s_delay_alu instid0(SALU_CYCLE_1) | instskip(SKIP_3) | instid1(VALU_DEP_1)
	s_or_b32 exec_lo, exec_lo, s14
	v_lshrrev_b32_e32 v12, 16, v9
	s_mov_b32 s72, 0
	s_mov_b32 s14, exec_lo
	v_and_b32_e32 v15, 0xff, v12
	s_delay_alu instid0(VALU_DEP_1)
	v_cmpx_lt_i16_e32 0x7f, v15
	s_xor_b32 s14, exec_lo, s14
	s_cbranch_execz .LBB6_12914
; %bb.12574:                            ;   in Loop: Header=BB6_12353 Depth=3
	s_mov_b32 s72, -1
	s_mov_b32 s73, exec_lo
	v_cmpx_eq_u16_e32 0x80, v15
; %bb.12575:                            ;   in Loop: Header=BB6_12353 Depth=3
	s_xor_b32 s72, exec_lo, -1
; %bb.12576:                            ;   in Loop: Header=BB6_12353 Depth=3
	s_or_b32 exec_lo, exec_lo, s73
	s_delay_alu instid0(SALU_CYCLE_1)
	s_and_b32 s72, s72, exec_lo
                                        ; implicit-def: $vgpr15
	s_or_saveexec_b32 s14, s14
	v_bfrev_b32_e32 v14, 1
	s_xor_b32 exec_lo, exec_lo, s14
	s_cbranch_execnz .LBB6_12915
.LBB6_12577:                            ;   in Loop: Header=BB6_12353 Depth=3
	s_or_b32 exec_lo, exec_lo, s14
	s_and_saveexec_b32 s14, s72
	s_cbranch_execz .LBB6_12579
.LBB6_12578:                            ;   in Loop: Header=BB6_12353 Depth=3
	v_and_b32_e32 v19, 3, v12
	v_bfe_u32 v33, v9, 18, 5
	s_delay_alu instid0(VALU_DEP_2) | instskip(NEXT) | instid1(VALU_DEP_2)
	v_clz_i32_u32_e32 v14, v19
	v_cmp_eq_u32_e64 s13, 0, v33
	s_delay_alu instid0(VALU_DEP_2) | instskip(NEXT) | instid1(VALU_DEP_1)
	v_min_u32_e32 v23, 32, v14
	v_subrev_nc_u32_e32 v14, 29, v23
	s_delay_alu instid0(VALU_DEP_1) | instskip(SKIP_2) | instid1(VALU_DEP_2)
	v_lshlrev_b64_e32 v[14:15], v14, v[12:13]
	v_dual_lshlrev_b32 v15, 24, v12 :: v_dual_sub_nc_u32 v23, 30, v23
	v_bfe_i32 v12, v12, 0, 8
	v_and_b32_e32 v15, 0x80000000, v15
	s_delay_alu instid0(VALU_DEP_3) | instskip(NEXT) | instid1(VALU_DEP_1)
	v_dual_cndmask_b32 v23, v33, v23, s13 :: v_dual_bitop2_b32 v14, 3, v14 bitop3:0x40
	v_cndmask_b32_e64 v14, v19, v14, s13
	s_delay_alu instid0(VALU_DEP_2) | instskip(SKIP_2) | instid1(VALU_DEP_3)
	v_lshl_add_u32 v15, v23, 23, v15
	v_cmp_lt_i16_e64 s13, -1, v12
	v_mov_b32_e32 v12, 0x7f800000
	v_lshl_or_b32 v14, v14, 21, v15
	v_and_b32_e32 v15, 0x7c0000, v9
	s_delay_alu instid0(VALU_DEP_3) | instskip(SKIP_1) | instid1(VALU_DEP_4)
	v_cndmask_b32_e64 v12, 0xff800000, v12, s13
	v_cmp_eq_u32_e64 s13, 0, v19
	v_add_nc_u32_e32 v14, 0x38000000, v14
	s_delay_alu instid0(VALU_DEP_2) | instskip(SKIP_1) | instid1(VALU_DEP_1)
	v_cndmask_b32_e64 v12, 0x7f800001, v12, s13
	v_cmp_eq_u32_e64 s13, 0x7c0000, v15
	v_cndmask_b32_e64 v14, v14, v12, s13
.LBB6_12579:                            ;   in Loop: Header=BB6_12353 Depth=3
	s_or_b32 exec_lo, exec_lo, s14
	s_delay_alu instid0(VALU_DEP_1) | instskip(SKIP_2) | instid1(VALU_DEP_2)
	v_mul_f32_e32 v14, v13, v14
	v_dual_mov_b32 v35, v21 :: v_dual_mov_b32 v13, v21
                                        ; implicit-def: $vgpr19
	s_mov_b32 s14, exec_lo
	v_and_b32_e32 v34, 0x7f800000, v14
	v_and_b32_e32 v12, 0x7fffff, v14
	v_lshrrev_b32_e32 v15, 24, v14
	s_delay_alu instid0(VALU_DEP_3)
	v_cmpx_ne_u64_e32 0x7f800000, v[34:35]
	s_xor_b32 s72, exec_lo, s14
	s_cbranch_execz .LBB6_12593
; %bb.12580:                            ;   in Loop: Header=BB6_12353 Depth=3
	v_and_b32_e32 v34, 0x7fffffff, v14
	v_mov_b32_e32 v35, v21
	v_and_b32_e32 v23, 0x80, v15
                                        ; implicit-def: $vgpr19
	s_mov_b32 s14, exec_lo
	s_delay_alu instid0(VALU_DEP_2)
	v_cmpx_gt_u64_e32 0x47600001, v[34:35]
	s_xor_b32 s73, exec_lo, s14
	s_cbranch_execz .LBB6_12590
; %bb.12581:                            ;   in Loop: Header=BB6_12353 Depth=3
	v_mov_b32_e32 v19, 0
	s_mov_b32 s74, exec_lo
	v_cmpx_ne_u32_e32 0, v14
	s_cbranch_execz .LBB6_12589
; %bb.12582:                            ;   in Loop: Header=BB6_12353 Depth=3
	v_bfe_u32 v19, v14, 23, 8
	v_or_b32_e32 v34, 0x800000, v12
	s_delay_alu instid0(VALU_DEP_2) | instskip(SKIP_1) | instid1(VALU_DEP_1)
	v_sub_nc_u32_e32 v14, 0x71, v19
	v_cmp_gt_u32_e64 s13, 0x72, v19
	v_cndmask_b32_e64 v14, 0, v14, s13
	v_cmp_eq_u32_e64 s13, 0, v19
	s_delay_alu instid0(VALU_DEP_1) | instskip(NEXT) | instid1(VALU_DEP_1)
	v_cndmask_b32_e64 v33, v14, 0x70, s13
	v_dual_cndmask_b32 v12, v34, v12, s13 :: v_dual_add_nc_u32 v14, 21, v33
	v_add_nc_u32_e32 v35, 20, v33
	s_delay_alu instid0(VALU_DEP_2) | instskip(NEXT) | instid1(VALU_DEP_2)
	v_lshlrev_b64_e64 v[14:15], v14, -1
	v_lshlrev_b64_e64 v[34:35], v35, 1
	s_delay_alu instid0(VALU_DEP_2) | instskip(SKIP_1) | instid1(VALU_DEP_4)
	v_bfi_b32 v14, v14, 0, v12
	v_lshrrev_b64 v[12:13], v33, v[12:13]
	v_bfi_b32 v15, v15, 0, 0
	s_delay_alu instid0(VALU_DEP_1) | instskip(NEXT) | instid1(VALU_DEP_3)
	v_cmp_eq_u64_e64 s14, v[14:15], v[34:35]
	v_mov_b64_e32 v[14:15], v[12:13]
	s_and_saveexec_b32 s75, s14
; %bb.12583:                            ;   in Loop: Header=BB6_12353 Depth=3
	v_bfe_u32 v14, v12, 21, 1
	v_mov_b32_e32 v15, v21
	s_delay_alu instid0(VALU_DEP_1) | instskip(NEXT) | instid1(VALU_DEP_1)
	v_add_nc_u64_e32 v[14:15], v[12:13], v[14:15]
	v_add_nc_u64_e32 v[14:15], -1, v[14:15]
; %bb.12584:                            ;   in Loop: Header=BB6_12353 Depth=3
	s_or_b32 exec_lo, exec_lo, s75
	v_add_nc_u32_e32 v13, 0xffffff81, v19
	v_lshrrev_b32_e32 v15, 23, v12
	s_mov_b32 s14, exec_lo
	s_delay_alu instid0(VALU_DEP_2) | instskip(NEXT) | instid1(VALU_DEP_1)
	v_cndmask_b32_e64 v13, v13, 0xffffff82, s13
	v_add3_u32 v15, v33, v13, v15
	v_and_b32_e32 v13, 0x1fffff, v14
                                        ; implicit-def: $vgpr14
	s_delay_alu instid0(VALU_DEP_1) | instskip(SKIP_1) | instid1(VALU_DEP_2)
	v_dual_add_nc_u32 v19, 14, v15 :: v_dual_add_nc_u32 v12, v13, v12
	v_mov_b32_e32 v13, v21
	v_cmpx_ne_u32_e32 0, v19
	s_xor_b32 s14, exec_lo, s14
; %bb.12585:                            ;   in Loop: Header=BB6_12353 Depth=3
	s_delay_alu instid0(VALU_DEP_2) | instskip(SKIP_1) | instid1(VALU_DEP_2)
	v_cmp_lt_u64_e64 s13, 0xffffff, v[12:13]
	v_add_nc_u32_e32 v14, 15, v15
	v_cndmask_b32_e64 v15, 0, 1, s13
	s_delay_alu instid0(VALU_DEP_2) | instskip(NEXT) | instid1(VALU_DEP_2)
	v_cndmask_b32_e64 v14, v19, v14, s13
	v_lshrrev_b64 v[12:13], v15, v[12:13]
; %bb.12586:                            ;   in Loop: Header=BB6_12353 Depth=3
	s_and_not1_saveexec_b32 s13, s14
; %bb.12587:                            ;   in Loop: Header=BB6_12353 Depth=3
	s_delay_alu instid0(VALU_DEP_1)
	v_bfe_u32 v14, v12, 23, 1
; %bb.12588:                            ;   in Loop: Header=BB6_12353 Depth=3
	s_or_b32 exec_lo, exec_lo, s13
	s_delay_alu instid0(VALU_DEP_2) | instskip(NEXT) | instid1(VALU_DEP_2)
	v_lshrrev_b64 v[12:13], 21, v[12:13]
	v_cmp_gt_i32_e64 s13, 32, v14
	v_min_i32_e32 v15, 31, v14
	v_cmp_eq_u32_e64 s14, 0, v14
	s_delay_alu instid0(VALU_DEP_2) | instskip(SKIP_1) | instid1(VALU_DEP_2)
	v_dual_cndmask_b32 v13, 0, v13, s13 :: v_dual_lshlrev_b32 v15, 2, v15
	v_cndmask_b32_e64 v12, 3, v12, s13
	v_and_b32_e32 v15, 0xfc, v15
	s_delay_alu instid0(VALU_DEP_2) | instskip(NEXT) | instid1(VALU_DEP_2)
	v_cmp_eq_u64_e64 s13, 0, v[12:13]
	v_and_or_b32 v12, v12, 3, v15
	s_and_b32 s13, s14, s13
	s_delay_alu instid0(VALU_DEP_1) | instid1(SALU_CYCLE_1)
	v_cndmask_b32_e64 v12, v12, 0, s13
	s_delay_alu instid0(VALU_DEP_1)
	v_or_b32_e32 v19, v12, v23
.LBB6_12589:                            ;   in Loop: Header=BB6_12353 Depth=3
	s_or_b32 exec_lo, exec_lo, s74
                                        ; implicit-def: $vgpr23
.LBB6_12590:                            ;   in Loop: Header=BB6_12353 Depth=3
	s_and_not1_saveexec_b32 s13, s73
; %bb.12591:                            ;   in Loop: Header=BB6_12353 Depth=3
	v_or_b32_e32 v19, 0x7b, v23
; %bb.12592:                            ;   in Loop: Header=BB6_12353 Depth=3
	s_or_b32 exec_lo, exec_lo, s13
                                        ; implicit-def: $vgpr14
                                        ; implicit-def: $vgpr12_vgpr13
                                        ; implicit-def: $vgpr15
.LBB6_12593:                            ;   in Loop: Header=BB6_12353 Depth=3
	s_and_not1_saveexec_b32 s14, s72
	s_cbranch_execz .LBB6_12599
; %bb.12594:                            ;   in Loop: Header=BB6_12353 Depth=3
	v_cmp_ne_u64_e64 s13, 0, v[12:13]
                                        ; implicit-def: $vgpr19
	s_and_saveexec_b32 s72, s13
	s_delay_alu instid0(SALU_CYCLE_1)
	s_xor_b32 s13, exec_lo, s72
; %bb.12595:                            ;   in Loop: Header=BB6_12353 Depth=3
	v_or_b32_e32 v19, 0x7f, v15
                                        ; implicit-def: $vgpr14
; %bb.12596:                            ;   in Loop: Header=BB6_12353 Depth=3
	s_and_not1_saveexec_b32 s72, s13
; %bb.12597:                            ;   in Loop: Header=BB6_12353 Depth=3
	v_cmp_lt_i32_e64 s13, -1, v14
	v_mov_b32_e32 v12, 0x7c
	s_delay_alu instid0(VALU_DEP_1)
	v_cndmask_b32_e64 v19, 0xfc, v12, s13
; %bb.12598:                            ;   in Loop: Header=BB6_12353 Depth=3
	s_or_b32 exec_lo, exec_lo, s72
.LBB6_12599:                            ;   in Loop: Header=BB6_12353 Depth=3
	s_delay_alu instid0(SALU_CYCLE_1)
	s_or_b32 exec_lo, exec_lo, s14
	v_mov_b32_e32 v13, 0
	s_mov_b32 s14, exec_lo
	v_cmpx_lt_u64_e64 s[22:23], v[0:1]
	s_cbranch_execz .LBB6_12609
; %bb.12600:                            ;   in Loop: Header=BB6_12353 Depth=3
	v_lshrrev_b32_e32 v12, 24, v1
	v_bfrev_b32_e32 v13, 1
	s_mov_b32 s72, exec_lo
	s_delay_alu instid0(VALU_DEP_2)
	v_cmpx_ne_u32_e32 0x80, v12
	s_cbranch_execz .LBB6_12608
; %bb.12601:                            ;   in Loop: Header=BB6_12353 Depth=3
	v_and_b32_e32 v13, 0x7c000000, v1
	v_bfe_u32 v14, v1, 24, 2
	s_delay_alu instid0(VALU_DEP_2) | instskip(SKIP_1) | instid1(SALU_CYCLE_1)
	v_cmp_ne_u32_e64 s13, 0x7c000000, v13
                                        ; implicit-def: $vgpr13
	s_and_saveexec_b32 s73, s13
	s_xor_b32 s73, exec_lo, s73
	s_cbranch_execz .LBB6_12605
; %bb.12602:                            ;   in Loop: Header=BB6_12353 Depth=3
	v_bfe_u32 v13, v1, 26, 5
	s_mov_b32 s74, exec_lo
	s_delay_alu instid0(VALU_DEP_1)
	v_cmpx_eq_u32_e32 0, v13
; %bb.12603:                            ;   in Loop: Header=BB6_12353 Depth=3
	v_clz_i32_u32_e32 v13, v14
	s_delay_alu instid0(VALU_DEP_1) | instskip(NEXT) | instid1(VALU_DEP_1)
	v_min_u32_e32 v14, 32, v13
	v_subrev_nc_u32_e32 v13, 29, v14
	s_delay_alu instid0(VALU_DEP_1) | instskip(NEXT) | instid1(VALU_DEP_1)
	v_lshlrev_b64_e32 v[12:13], v13, v[12:13]
	v_dual_sub_nc_u32 v13, 30, v14 :: v_dual_bitop2_b32 v14, 3, v12 bitop3:0x40
; %bb.12604:                            ;   in Loop: Header=BB6_12353 Depth=3
	s_or_b32 exec_lo, exec_lo, s74
	v_and_b32_e32 v12, 0x80000000, v1
	s_delay_alu instid0(VALU_DEP_1) | instskip(NEXT) | instid1(VALU_DEP_1)
	v_lshl_add_u32 v12, v13, 23, v12
	v_lshl_or_b32 v12, v14, 21, v12
                                        ; implicit-def: $vgpr14
	s_delay_alu instid0(VALU_DEP_1)
	v_add_nc_u32_e32 v13, 0x38000000, v12
.LBB6_12605:                            ;   in Loop: Header=BB6_12353 Depth=3
	s_and_not1_saveexec_b32 s73, s73
; %bb.12606:                            ;   in Loop: Header=BB6_12353 Depth=3
	v_cmp_lt_i64_e64 s13, -1, v[0:1]
	v_mov_b32_e32 v0, 0x7f800000
	s_delay_alu instid0(VALU_DEP_1) | instskip(SKIP_1) | instid1(VALU_DEP_1)
	v_cndmask_b32_e64 v0, 0xff800000, v0, s13
	v_cmp_eq_u32_e64 s13, 0, v14
	v_cndmask_b32_e64 v13, 0x7f800001, v0, s13
; %bb.12607:                            ;   in Loop: Header=BB6_12353 Depth=3
	s_or_b32 exec_lo, exec_lo, s73
.LBB6_12608:                            ;   in Loop: Header=BB6_12353 Depth=3
	s_delay_alu instid0(SALU_CYCLE_1)
	s_or_b32 exec_lo, exec_lo, s72
.LBB6_12609:                            ;   in Loop: Header=BB6_12353 Depth=3
	s_delay_alu instid0(SALU_CYCLE_1) | instskip(SKIP_3) | instid1(VALU_DEP_2)
	s_or_b32 exec_lo, exec_lo, s14
	v_bfe_u32 v1, v9, 24, 2
	v_bfe_u32 v23, v9, 26, 5
	s_mov_b32 s14, exec_lo
	v_clz_i32_u32_e32 v0, v1
	s_delay_alu instid0(VALU_DEP_2) | instskip(NEXT) | instid1(VALU_DEP_2)
	v_cmp_eq_u32_e64 s13, 0, v23
	v_min_u32_e32 v12, 32, v0
	v_lshrrev_b32_e32 v0, 24, v9
	s_delay_alu instid0(VALU_DEP_2) | instskip(SKIP_1) | instid1(VALU_DEP_2)
	v_subrev_nc_u32_e32 v14, 29, v12
	v_sub_nc_u32_e32 v12, 30, v12
	v_lshlrev_b64_e32 v[14:15], v14, v[0:1]
	s_delay_alu instid0(VALU_DEP_2) | instskip(SKIP_1) | instid1(VALU_DEP_3)
	v_cndmask_b32_e64 v12, v23, v12, s13
	v_and_b32_e32 v15, 0x80000000, v9
                                        ; implicit-def: $vgpr23
	v_and_b32_e32 v14, 3, v14
	s_delay_alu instid0(VALU_DEP_2) | instskip(SKIP_1) | instid1(VALU_DEP_3)
	v_lshl_add_u32 v12, v12, 23, v15
	v_mov_b32_e32 v15, 0x7f800000
	v_cndmask_b32_e64 v14, v1, v14, s13
	v_cmp_lt_i64_e64 s13, -1, v[8:9]
	s_delay_alu instid0(VALU_DEP_2) | instskip(SKIP_1) | instid1(VALU_DEP_3)
	v_lshl_or_b32 v12, v14, 21, v12
	v_and_b32_e32 v14, 0x7c000000, v9
	v_cndmask_b32_e64 v15, 0xff800000, v15, s13
	v_cmp_eq_u32_e64 s13, 0, v1
	s_delay_alu instid0(VALU_DEP_4) | instskip(NEXT) | instid1(VALU_DEP_2)
	v_add_nc_u32_e32 v12, 0x38000000, v12
	v_cndmask_b32_e64 v1, 0x7f800001, v15, s13
	v_cmp_eq_u32_e64 s13, 0x7c000000, v14
	s_delay_alu instid0(VALU_DEP_1) | instskip(SKIP_1) | instid1(VALU_DEP_1)
	v_cndmask_b32_e64 v1, v12, v1, s13
	v_cmp_ne_u32_e64 s13, 0x80, v0
	v_cndmask_b32_e64 v0, 0x80000000, v1, s13
	v_cmp_lt_u64_e64 s13, s[22:23], v[8:9]
	s_delay_alu instid0(VALU_DEP_1) | instskip(NEXT) | instid1(VALU_DEP_1)
	v_dual_mov_b32 v1, v21 :: v_dual_cndmask_b32 v0, 0, v0, s13
	v_dual_mul_f32 v8, v0, v13 :: v_dual_mov_b32 v13, v21
	s_delay_alu instid0(VALU_DEP_1) | instskip(SKIP_2) | instid1(VALU_DEP_3)
	v_and_b32_e32 v12, 0x7f800000, v8
	v_and_b32_e32 v0, 0x7fffff, v8
	v_lshrrev_b32_e32 v9, 24, v8
	v_cmpx_ne_u64_e32 0x7f800000, v[12:13]
	s_xor_b32 s72, exec_lo, s14
	s_cbranch_execz .LBB6_12623
; %bb.12610:                            ;   in Loop: Header=BB6_12353 Depth=3
	v_and_b32_e32 v12, 0x7fffffff, v8
	v_mov_b32_e32 v13, v21
                                        ; implicit-def: $vgpr23
	s_delay_alu instid0(VALU_DEP_1) | instskip(SKIP_2) | instid1(SALU_CYCLE_1)
	v_cmp_gt_u64_e64 s13, 0x47600001, v[12:13]
	v_and_b32_e32 v12, 0x80, v9
	s_and_saveexec_b32 s14, s13
	s_xor_b32 s73, exec_lo, s14
	s_cbranch_execz .LBB6_12620
; %bb.12611:                            ;   in Loop: Header=BB6_12353 Depth=3
	v_mov_b32_e32 v23, 0
	s_mov_b32 s74, exec_lo
	v_cmpx_ne_u32_e32 0, v8
	s_cbranch_execz .LBB6_12619
; %bb.12612:                            ;   in Loop: Header=BB6_12353 Depth=3
	v_bfe_u32 v13, v8, 23, 8
	v_or_b32_e32 v15, 0x800000, v0
	s_delay_alu instid0(VALU_DEP_2) | instskip(SKIP_1) | instid1(VALU_DEP_1)
	v_sub_nc_u32_e32 v8, 0x71, v13
	v_cmp_gt_u32_e64 s13, 0x72, v13
	v_cndmask_b32_e64 v8, 0, v8, s13
	v_cmp_eq_u32_e64 s13, 0, v13
	s_delay_alu instid0(VALU_DEP_1) | instskip(NEXT) | instid1(VALU_DEP_1)
	v_cndmask_b32_e64 v14, v8, 0x70, s13
	v_dual_cndmask_b32 v0, v15, v0, s13 :: v_dual_add_nc_u32 v8, 21, v14
	v_add_nc_u32_e32 v23, 20, v14
	s_delay_alu instid0(VALU_DEP_2) | instskip(NEXT) | instid1(VALU_DEP_2)
	v_lshlrev_b64_e64 v[8:9], v8, -1
	v_lshlrev_b64_e64 v[34:35], v23, 1
	s_delay_alu instid0(VALU_DEP_2) | instskip(SKIP_1) | instid1(VALU_DEP_4)
	v_bfi_b32 v8, v8, 0, v0
	v_lshrrev_b64 v[0:1], v14, v[0:1]
	v_bfi_b32 v9, v9, 0, 0
	s_delay_alu instid0(VALU_DEP_1) | instskip(NEXT) | instid1(VALU_DEP_3)
	v_cmp_eq_u64_e64 s14, v[8:9], v[34:35]
	v_mov_b64_e32 v[8:9], v[0:1]
	s_and_saveexec_b32 s75, s14
; %bb.12613:                            ;   in Loop: Header=BB6_12353 Depth=3
	v_bfe_u32 v8, v0, 21, 1
	v_mov_b32_e32 v9, v21
	s_delay_alu instid0(VALU_DEP_1) | instskip(NEXT) | instid1(VALU_DEP_1)
	v_add_nc_u64_e32 v[8:9], v[0:1], v[8:9]
	v_add_nc_u64_e32 v[8:9], -1, v[8:9]
; %bb.12614:                            ;   in Loop: Header=BB6_12353 Depth=3
	s_or_b32 exec_lo, exec_lo, s75
	v_add_nc_u32_e32 v1, 0xffffff81, v13
	v_lshrrev_b32_e32 v9, 23, v0
	s_mov_b32 s14, exec_lo
	s_delay_alu instid0(VALU_DEP_2) | instskip(NEXT) | instid1(VALU_DEP_1)
	v_cndmask_b32_e64 v1, v1, 0xffffff82, s13
	v_add3_u32 v9, v14, v1, v9
	v_and_b32_e32 v1, 0x1fffff, v8
                                        ; implicit-def: $vgpr8
	s_delay_alu instid0(VALU_DEP_1) | instskip(SKIP_1) | instid1(VALU_DEP_2)
	v_dual_add_nc_u32 v13, 14, v9 :: v_dual_add_nc_u32 v0, v1, v0
	v_mov_b32_e32 v1, v21
	v_cmpx_ne_u32_e32 0, v13
	s_xor_b32 s14, exec_lo, s14
; %bb.12615:                            ;   in Loop: Header=BB6_12353 Depth=3
	s_delay_alu instid0(VALU_DEP_2) | instskip(SKIP_1) | instid1(VALU_DEP_2)
	v_cmp_lt_u64_e64 s13, 0xffffff, v[0:1]
	v_add_nc_u32_e32 v8, 15, v9
	v_cndmask_b32_e64 v9, 0, 1, s13
	s_delay_alu instid0(VALU_DEP_2) | instskip(NEXT) | instid1(VALU_DEP_2)
	v_cndmask_b32_e64 v8, v13, v8, s13
	v_lshrrev_b64 v[0:1], v9, v[0:1]
; %bb.12616:                            ;   in Loop: Header=BB6_12353 Depth=3
	s_and_not1_saveexec_b32 s13, s14
; %bb.12617:                            ;   in Loop: Header=BB6_12353 Depth=3
	s_delay_alu instid0(VALU_DEP_1)
	v_bfe_u32 v8, v0, 23, 1
; %bb.12618:                            ;   in Loop: Header=BB6_12353 Depth=3
	s_or_b32 exec_lo, exec_lo, s13
	s_delay_alu instid0(VALU_DEP_2) | instskip(NEXT) | instid1(VALU_DEP_2)
	v_lshrrev_b64 v[0:1], 21, v[0:1]
	v_cmp_gt_i32_e64 s13, 32, v8
	v_min_i32_e32 v9, 31, v8
	v_cmp_eq_u32_e64 s14, 0, v8
	s_delay_alu instid0(VALU_DEP_3) | instskip(NEXT) | instid1(VALU_DEP_3)
	v_cndmask_b32_e64 v1, 0, v1, s13
	v_dual_lshlrev_b32 v9, 2, v9 :: v_dual_cndmask_b32 v0, 3, v0, s13
	s_delay_alu instid0(VALU_DEP_1) | instskip(NEXT) | instid1(VALU_DEP_2)
	v_and_b32_e32 v9, 0xfc, v9
	v_cmp_eq_u64_e64 s13, 0, v[0:1]
	s_delay_alu instid0(VALU_DEP_2)
	v_and_or_b32 v0, v0, 3, v9
	s_and_b32 s13, s14, s13
	s_delay_alu instid0(VALU_DEP_1) | instid1(SALU_CYCLE_1)
	v_cndmask_b32_e64 v0, v0, 0, s13
	s_delay_alu instid0(VALU_DEP_1)
	v_or_b32_e32 v23, v0, v12
.LBB6_12619:                            ;   in Loop: Header=BB6_12353 Depth=3
	s_or_b32 exec_lo, exec_lo, s74
                                        ; implicit-def: $vgpr12
.LBB6_12620:                            ;   in Loop: Header=BB6_12353 Depth=3
	s_and_not1_saveexec_b32 s13, s73
; %bb.12621:                            ;   in Loop: Header=BB6_12353 Depth=3
	v_or_b32_e32 v23, 0x7b, v12
; %bb.12622:                            ;   in Loop: Header=BB6_12353 Depth=3
	s_or_b32 exec_lo, exec_lo, s13
                                        ; implicit-def: $vgpr8
                                        ; implicit-def: $vgpr0_vgpr1
                                        ; implicit-def: $vgpr9
.LBB6_12623:                            ;   in Loop: Header=BB6_12353 Depth=3
	s_and_not1_saveexec_b32 s14, s72
	s_cbranch_execz .LBB6_12629
; %bb.12624:                            ;   in Loop: Header=BB6_12353 Depth=3
	v_cmp_ne_u64_e64 s13, 0, v[0:1]
                                        ; implicit-def: $vgpr23
	s_and_saveexec_b32 s72, s13
	s_delay_alu instid0(SALU_CYCLE_1)
	s_xor_b32 s13, exec_lo, s72
; %bb.12625:                            ;   in Loop: Header=BB6_12353 Depth=3
	v_or_b32_e32 v23, 0x7f, v9
                                        ; implicit-def: $vgpr8
; %bb.12626:                            ;   in Loop: Header=BB6_12353 Depth=3
	s_and_not1_saveexec_b32 s72, s13
; %bb.12627:                            ;   in Loop: Header=BB6_12353 Depth=3
	v_cmp_lt_i32_e64 s13, -1, v8
	v_mov_b32_e32 v0, 0x7c
	s_delay_alu instid0(VALU_DEP_1)
	v_cndmask_b32_e64 v23, 0xfc, v0, s13
; %bb.12628:                            ;   in Loop: Header=BB6_12353 Depth=3
	s_or_b32 exec_lo, exec_lo, s72
.LBB6_12629:                            ;   in Loop: Header=BB6_12353 Depth=3
	s_delay_alu instid0(SALU_CYCLE_1) | instskip(SKIP_1) | instid1(VALU_DEP_1)
	s_or_b32 exec_lo, exec_lo, s14
	v_and_b32_e32 v0, 0xff, v2
	v_cmp_ne_u16_e64 s13, 0, v0
	v_mov_b32_e32 v0, 0
	s_and_saveexec_b32 s14, s13
	s_cbranch_execz .LBB6_12639
; %bb.12630:                            ;   in Loop: Header=BB6_12353 Depth=3
	v_bfe_i32 v8, v2, 0, 8
	v_bfrev_b32_e32 v0, 1
	s_mov_b32 s72, exec_lo
	s_delay_alu instid0(VALU_DEP_2)
	v_cmpx_ne_u16_e32 0xff80, v8
	s_cbranch_execz .LBB6_12638
; %bb.12631:                            ;   in Loop: Header=BB6_12353 Depth=3
	v_and_b32_e32 v0, 0x7c, v2
	v_and_b32_e32 v1, 3, v2
	s_delay_alu instid0(VALU_DEP_2) | instskip(SKIP_1) | instid1(SALU_CYCLE_1)
	v_cmp_ne_u32_e64 s13, 0x7c, v0
                                        ; implicit-def: $vgpr0
	s_and_saveexec_b32 s73, s13
	s_xor_b32 s73, exec_lo, s73
	s_cbranch_execz .LBB6_12635
; %bb.12632:                            ;   in Loop: Header=BB6_12353 Depth=3
	v_bfe_u32 v0, v2, 2, 5
	s_mov_b32 s74, exec_lo
	s_delay_alu instid0(VALU_DEP_1)
	v_cmpx_eq_u32_e32 0, v0
; %bb.12633:                            ;   in Loop: Header=BB6_12353 Depth=3
	v_clz_i32_u32_e32 v0, v1
	s_delay_alu instid0(VALU_DEP_1) | instskip(NEXT) | instid1(VALU_DEP_1)
	v_min_u32_e32 v0, 32, v0
	v_subrev_nc_u32_e32 v1, 29, v0
	v_sub_nc_u32_e32 v0, 30, v0
	s_delay_alu instid0(VALU_DEP_2) | instskip(NEXT) | instid1(VALU_DEP_1)
	v_lshlrev_b64_e32 v[8:9], v1, v[2:3]
	v_and_b32_e32 v1, 3, v8
; %bb.12634:                            ;   in Loop: Header=BB6_12353 Depth=3
	s_or_b32 exec_lo, exec_lo, s74
	v_lshlrev_b32_e32 v8, 24, v2
	s_delay_alu instid0(VALU_DEP_1) | instskip(NEXT) | instid1(VALU_DEP_1)
	v_and_b32_e32 v8, 0x80000000, v8
	v_lshl_add_u32 v0, v0, 23, v8
                                        ; implicit-def: $vgpr8
	s_delay_alu instid0(VALU_DEP_1) | instskip(NEXT) | instid1(VALU_DEP_1)
	v_lshl_or_b32 v0, v1, 21, v0
                                        ; implicit-def: $vgpr1
	v_add_nc_u32_e32 v0, 0x38000000, v0
.LBB6_12635:                            ;   in Loop: Header=BB6_12353 Depth=3
	s_and_not1_saveexec_b32 s73, s73
; %bb.12636:                            ;   in Loop: Header=BB6_12353 Depth=3
	v_cmp_lt_i16_e64 s13, -1, v8
	v_mov_b32_e32 v0, 0x7f800000
	s_delay_alu instid0(VALU_DEP_1) | instskip(SKIP_1) | instid1(VALU_DEP_1)
	v_cndmask_b32_e64 v0, 0xff800000, v0, s13
	v_cmp_eq_u32_e64 s13, 0, v1
	v_cndmask_b32_e64 v0, 0x7f800001, v0, s13
; %bb.12637:                            ;   in Loop: Header=BB6_12353 Depth=3
	s_or_b32 exec_lo, exec_lo, s73
.LBB6_12638:                            ;   in Loop: Header=BB6_12353 Depth=3
	s_delay_alu instid0(SALU_CYCLE_1)
	s_or_b32 exec_lo, exec_lo, s72
.LBB6_12639:                            ;   in Loop: Header=BB6_12353 Depth=3
	s_delay_alu instid0(SALU_CYCLE_1) | instskip(SKIP_3) | instid1(VALU_DEP_1)
	s_or_b32 exec_lo, exec_lo, s14
	v_and_b32_e32 v8, 0xff, v10
	s_mov_b32 s72, 0
	s_mov_b32 s14, exec_lo
	v_cmpx_lt_i16_e32 0x7f, v8
	s_xor_b32 s14, exec_lo, s14
	s_cbranch_execz .LBB6_12916
; %bb.12640:                            ;   in Loop: Header=BB6_12353 Depth=3
	s_mov_b32 s72, -1
	s_mov_b32 s73, exec_lo
	v_cmpx_eq_u16_e32 0x80, v8
; %bb.12641:                            ;   in Loop: Header=BB6_12353 Depth=3
	s_xor_b32 s72, exec_lo, -1
; %bb.12642:                            ;   in Loop: Header=BB6_12353 Depth=3
	s_or_b32 exec_lo, exec_lo, s73
	s_delay_alu instid0(SALU_CYCLE_1)
	s_and_b32 s72, s72, exec_lo
                                        ; implicit-def: $vgpr8
	s_or_saveexec_b32 s14, s14
	v_bfrev_b32_e32 v1, 1
	s_xor_b32 exec_lo, exec_lo, s14
	s_cbranch_execnz .LBB6_12917
.LBB6_12643:                            ;   in Loop: Header=BB6_12353 Depth=3
	s_or_b32 exec_lo, exec_lo, s14
	s_and_saveexec_b32 s14, s72
	s_cbranch_execz .LBB6_12645
.LBB6_12644:                            ;   in Loop: Header=BB6_12353 Depth=3
	v_and_b32_e32 v1, 3, v10
	v_bfe_u32 v13, v10, 2, 5
	s_delay_alu instid0(VALU_DEP_2) | instskip(NEXT) | instid1(VALU_DEP_2)
	v_clz_i32_u32_e32 v8, v1
	v_cmp_eq_u32_e64 s13, 0, v13
	s_delay_alu instid0(VALU_DEP_2) | instskip(NEXT) | instid1(VALU_DEP_1)
	v_min_u32_e32 v12, 32, v8
	v_subrev_nc_u32_e32 v8, 29, v12
	v_sub_nc_u32_e32 v12, 30, v12
	s_delay_alu instid0(VALU_DEP_2) | instskip(NEXT) | instid1(VALU_DEP_2)
	v_lshlrev_b64_e32 v[8:9], v8, v[10:11]
	v_dual_lshlrev_b32 v9, 24, v10 :: v_dual_cndmask_b32 v12, v13, v12, s13
	v_bfe_i32 v13, v10, 0, 8
	s_delay_alu instid0(VALU_DEP_2) | instskip(NEXT) | instid1(VALU_DEP_4)
	v_and_b32_e32 v9, 0x80000000, v9
	v_and_b32_e32 v8, 3, v8
	s_delay_alu instid0(VALU_DEP_2) | instskip(NEXT) | instid1(VALU_DEP_2)
	v_lshl_add_u32 v9, v12, 23, v9
	v_cndmask_b32_e64 v8, v1, v8, s13
	v_cmp_lt_i16_e64 s13, -1, v13
	v_mov_b32_e32 v12, 0x7f800000
	s_delay_alu instid0(VALU_DEP_3) | instskip(SKIP_1) | instid1(VALU_DEP_3)
	v_lshl_or_b32 v8, v8, 21, v9
	v_and_b32_e32 v9, 0x7c, v10
	v_cndmask_b32_e64 v12, 0xff800000, v12, s13
	v_cmp_eq_u32_e64 s13, 0, v1
	s_delay_alu instid0(VALU_DEP_4) | instskip(NEXT) | instid1(VALU_DEP_2)
	v_add_nc_u32_e32 v8, 0x38000000, v8
	v_cndmask_b32_e64 v1, 0x7f800001, v12, s13
	v_cmp_eq_u32_e64 s13, 0x7c, v9
	s_delay_alu instid0(VALU_DEP_1)
	v_cndmask_b32_e64 v1, v8, v1, s13
.LBB6_12645:                            ;   in Loop: Header=BB6_12353 Depth=3
	s_or_b32 exec_lo, exec_lo, s14
	s_delay_alu instid0(VALU_DEP_1) | instskip(SKIP_2) | instid1(VALU_DEP_2)
	v_dual_mul_f32 v8, v0, v1 :: v_dual_mov_b32 v13, v21
	v_mov_b32_e32 v1, v21
                                        ; implicit-def: $vgpr33
	s_mov_b32 s14, exec_lo
	v_and_b32_e32 v12, 0x7f800000, v8
	v_and_b32_e32 v0, 0x7fffff, v8
	v_lshrrev_b32_e32 v9, 24, v8
	s_delay_alu instid0(VALU_DEP_3)
	v_cmpx_ne_u64_e32 0x7f800000, v[12:13]
	s_xor_b32 s72, exec_lo, s14
	s_cbranch_execz .LBB6_12659
; %bb.12646:                            ;   in Loop: Header=BB6_12353 Depth=3
	v_and_b32_e32 v12, 0x7fffffff, v8
	v_mov_b32_e32 v13, v21
                                        ; implicit-def: $vgpr33
	s_delay_alu instid0(VALU_DEP_1) | instskip(SKIP_2) | instid1(SALU_CYCLE_1)
	v_cmp_gt_u64_e64 s13, 0x47600001, v[12:13]
	v_and_b32_e32 v12, 0x80, v9
	s_and_saveexec_b32 s14, s13
	s_xor_b32 s73, exec_lo, s14
	s_cbranch_execz .LBB6_12656
; %bb.12647:                            ;   in Loop: Header=BB6_12353 Depth=3
	v_mov_b32_e32 v33, 0
	s_mov_b32 s74, exec_lo
	v_cmpx_ne_u32_e32 0, v8
	s_cbranch_execz .LBB6_12655
; %bb.12648:                            ;   in Loop: Header=BB6_12353 Depth=3
	v_bfe_u32 v13, v8, 23, 8
	v_or_b32_e32 v15, 0x800000, v0
	s_delay_alu instid0(VALU_DEP_2) | instskip(SKIP_1) | instid1(VALU_DEP_1)
	v_sub_nc_u32_e32 v8, 0x71, v13
	v_cmp_gt_u32_e64 s13, 0x72, v13
	v_cndmask_b32_e64 v8, 0, v8, s13
	v_cmp_eq_u32_e64 s13, 0, v13
	s_delay_alu instid0(VALU_DEP_1) | instskip(NEXT) | instid1(VALU_DEP_1)
	v_cndmask_b32_e64 v14, v8, 0x70, s13
	v_dual_cndmask_b32 v0, v15, v0, s13 :: v_dual_add_nc_u32 v8, 21, v14
	v_add_nc_u32_e32 v33, 20, v14
	s_delay_alu instid0(VALU_DEP_2) | instskip(NEXT) | instid1(VALU_DEP_2)
	v_lshlrev_b64_e64 v[8:9], v8, -1
	v_lshlrev_b64_e64 v[34:35], v33, 1
	s_delay_alu instid0(VALU_DEP_2) | instskip(SKIP_1) | instid1(VALU_DEP_4)
	v_bfi_b32 v8, v8, 0, v0
	v_lshrrev_b64 v[0:1], v14, v[0:1]
	v_bfi_b32 v9, v9, 0, 0
	s_delay_alu instid0(VALU_DEP_1) | instskip(NEXT) | instid1(VALU_DEP_3)
	v_cmp_eq_u64_e64 s14, v[8:9], v[34:35]
	v_mov_b64_e32 v[8:9], v[0:1]
	s_and_saveexec_b32 s75, s14
; %bb.12649:                            ;   in Loop: Header=BB6_12353 Depth=3
	v_bfe_u32 v8, v0, 21, 1
	v_mov_b32_e32 v9, v21
	s_delay_alu instid0(VALU_DEP_1) | instskip(NEXT) | instid1(VALU_DEP_1)
	v_add_nc_u64_e32 v[8:9], v[0:1], v[8:9]
	v_add_nc_u64_e32 v[8:9], -1, v[8:9]
; %bb.12650:                            ;   in Loop: Header=BB6_12353 Depth=3
	s_or_b32 exec_lo, exec_lo, s75
	v_add_nc_u32_e32 v1, 0xffffff81, v13
	v_lshrrev_b32_e32 v9, 23, v0
	s_mov_b32 s14, exec_lo
	s_delay_alu instid0(VALU_DEP_2) | instskip(NEXT) | instid1(VALU_DEP_1)
	v_cndmask_b32_e64 v1, v1, 0xffffff82, s13
	v_add3_u32 v9, v14, v1, v9
	v_and_b32_e32 v1, 0x1fffff, v8
                                        ; implicit-def: $vgpr8
	s_delay_alu instid0(VALU_DEP_1) | instskip(SKIP_1) | instid1(VALU_DEP_2)
	v_dual_add_nc_u32 v13, 14, v9 :: v_dual_add_nc_u32 v0, v1, v0
	v_mov_b32_e32 v1, v21
	v_cmpx_ne_u32_e32 0, v13
	s_xor_b32 s14, exec_lo, s14
; %bb.12651:                            ;   in Loop: Header=BB6_12353 Depth=3
	s_delay_alu instid0(VALU_DEP_2) | instskip(SKIP_1) | instid1(VALU_DEP_2)
	v_cmp_lt_u64_e64 s13, 0xffffff, v[0:1]
	v_add_nc_u32_e32 v8, 15, v9
	v_cndmask_b32_e64 v9, 0, 1, s13
	s_delay_alu instid0(VALU_DEP_2) | instskip(NEXT) | instid1(VALU_DEP_2)
	v_cndmask_b32_e64 v8, v13, v8, s13
	v_lshrrev_b64 v[0:1], v9, v[0:1]
; %bb.12652:                            ;   in Loop: Header=BB6_12353 Depth=3
	s_and_not1_saveexec_b32 s13, s14
; %bb.12653:                            ;   in Loop: Header=BB6_12353 Depth=3
	s_delay_alu instid0(VALU_DEP_1)
	v_bfe_u32 v8, v0, 23, 1
; %bb.12654:                            ;   in Loop: Header=BB6_12353 Depth=3
	s_or_b32 exec_lo, exec_lo, s13
	s_delay_alu instid0(VALU_DEP_2) | instskip(NEXT) | instid1(VALU_DEP_2)
	v_lshrrev_b64 v[0:1], 21, v[0:1]
	v_cmp_gt_i32_e64 s13, 32, v8
	v_min_i32_e32 v9, 31, v8
	v_cmp_eq_u32_e64 s14, 0, v8
	s_delay_alu instid0(VALU_DEP_3) | instskip(NEXT) | instid1(VALU_DEP_3)
	v_cndmask_b32_e64 v1, 0, v1, s13
	v_dual_lshlrev_b32 v9, 2, v9 :: v_dual_cndmask_b32 v0, 3, v0, s13
	s_delay_alu instid0(VALU_DEP_1) | instskip(NEXT) | instid1(VALU_DEP_2)
	v_and_b32_e32 v9, 0xfc, v9
	v_cmp_eq_u64_e64 s13, 0, v[0:1]
	s_delay_alu instid0(VALU_DEP_2)
	v_and_or_b32 v0, v0, 3, v9
	s_and_b32 s13, s14, s13
	s_delay_alu instid0(VALU_DEP_1) | instid1(SALU_CYCLE_1)
	v_cndmask_b32_e64 v0, v0, 0, s13
	s_delay_alu instid0(VALU_DEP_1)
	v_or_b32_e32 v33, v0, v12
.LBB6_12655:                            ;   in Loop: Header=BB6_12353 Depth=3
	s_or_b32 exec_lo, exec_lo, s74
                                        ; implicit-def: $vgpr12
.LBB6_12656:                            ;   in Loop: Header=BB6_12353 Depth=3
	s_and_not1_saveexec_b32 s13, s73
; %bb.12657:                            ;   in Loop: Header=BB6_12353 Depth=3
	v_or_b32_e32 v33, 0x7b, v12
; %bb.12658:                            ;   in Loop: Header=BB6_12353 Depth=3
	s_or_b32 exec_lo, exec_lo, s13
                                        ; implicit-def: $vgpr8
                                        ; implicit-def: $vgpr0_vgpr1
                                        ; implicit-def: $vgpr9
.LBB6_12659:                            ;   in Loop: Header=BB6_12353 Depth=3
	s_and_not1_saveexec_b32 s14, s72
	s_cbranch_execz .LBB6_12665
; %bb.12660:                            ;   in Loop: Header=BB6_12353 Depth=3
	v_cmp_ne_u64_e64 s13, 0, v[0:1]
                                        ; implicit-def: $vgpr33
	s_and_saveexec_b32 s72, s13
	s_delay_alu instid0(SALU_CYCLE_1)
	s_xor_b32 s13, exec_lo, s72
; %bb.12661:                            ;   in Loop: Header=BB6_12353 Depth=3
	v_or_b32_e32 v33, 0x7f, v9
                                        ; implicit-def: $vgpr8
; %bb.12662:                            ;   in Loop: Header=BB6_12353 Depth=3
	s_and_not1_saveexec_b32 s72, s13
; %bb.12663:                            ;   in Loop: Header=BB6_12353 Depth=3
	v_cmp_lt_i32_e64 s13, -1, v8
	v_mov_b32_e32 v0, 0x7c
	s_delay_alu instid0(VALU_DEP_1)
	v_cndmask_b32_e64 v33, 0xfc, v0, s13
; %bb.12664:                            ;   in Loop: Header=BB6_12353 Depth=3
	s_or_b32 exec_lo, exec_lo, s72
.LBB6_12665:                            ;   in Loop: Header=BB6_12353 Depth=3
	s_delay_alu instid0(SALU_CYCLE_1) | instskip(SKIP_3) | instid1(VALU_DEP_2)
	s_or_b32 exec_lo, exec_lo, s14
	v_lshrrev_b16 v0, 8, v2
	v_mov_b32_e32 v8, 0
	s_mov_b32 s14, exec_lo
	v_cmpx_ne_u16_e32 0, v0
	s_cbranch_execz .LBB6_12675
; %bb.12666:                            ;   in Loop: Header=BB6_12353 Depth=3
	v_bfrev_b32_e32 v8, 1
	s_mov_b32 s72, exec_lo
	v_cmpx_ne_u16_e32 0x80, v0
	s_cbranch_execz .LBB6_12674
; %bb.12667:                            ;   in Loop: Header=BB6_12353 Depth=3
	v_and_b32_e32 v9, 0xffff, v0
	s_delay_alu instid0(VALU_DEP_1) | instskip(SKIP_1) | instid1(VALU_DEP_2)
	v_and_b32_e32 v8, 0x7c, v9
	v_and_b32_e32 v1, 3, v9
	v_cmp_ne_u32_e64 s13, 0x7c, v8
                                        ; implicit-def: $vgpr8
	s_and_saveexec_b32 s73, s13
	s_delay_alu instid0(SALU_CYCLE_1)
	s_xor_b32 s73, exec_lo, s73
	s_cbranch_execz .LBB6_12671
; %bb.12668:                            ;   in Loop: Header=BB6_12353 Depth=3
	v_bfe_u32 v8, v9, 2, 5
	s_mov_b32 s74, exec_lo
	s_delay_alu instid0(VALU_DEP_1)
	v_cmpx_eq_u32_e32 0, v8
	s_cbranch_execz .LBB6_12670
; %bb.12669:                            ;   in Loop: Header=BB6_12353 Depth=3
	v_clz_i32_u32_e32 v1, v1
	s_delay_alu instid0(VALU_DEP_1) | instskip(SKIP_1) | instid1(VALU_DEP_2)
	v_min_u32_e32 v8, 32, v1
	v_mov_b32_e32 v1, v21
	v_subrev_nc_u32_e32 v9, 29, v8
	v_sub_nc_u32_e32 v8, 30, v8
	s_delay_alu instid0(VALU_DEP_2) | instskip(NEXT) | instid1(VALU_DEP_1)
	v_lshlrev_b64_e32 v[0:1], v9, v[0:1]
	v_and_b32_e32 v1, 3, v0
.LBB6_12670:                            ;   in Loop: Header=BB6_12353 Depth=3
	s_or_b32 exec_lo, exec_lo, s74
	v_lshlrev_b32_e32 v0, 16, v2
	s_delay_alu instid0(VALU_DEP_1) | instskip(NEXT) | instid1(VALU_DEP_1)
	v_and_b32_e32 v0, 0x80000000, v0
	v_lshl_add_u32 v0, v8, 23, v0
	s_delay_alu instid0(VALU_DEP_1) | instskip(NEXT) | instid1(VALU_DEP_1)
	v_lshl_or_b32 v0, v1, 21, v0
                                        ; implicit-def: $vgpr1
	v_add_nc_u32_e32 v8, 0x38000000, v0
.LBB6_12671:                            ;   in Loop: Header=BB6_12353 Depth=3
	s_and_not1_saveexec_b32 s73, s73
; %bb.12672:                            ;   in Loop: Header=BB6_12353 Depth=3
	v_cmp_lt_i16_e64 s13, -1, v2
	v_mov_b32_e32 v0, 0x7f800000
	s_delay_alu instid0(VALU_DEP_1) | instskip(SKIP_1) | instid1(VALU_DEP_1)
	v_cndmask_b32_e64 v0, 0xff800000, v0, s13
	v_cmp_eq_u32_e64 s13, 0, v1
	v_cndmask_b32_e64 v8, 0x7f800001, v0, s13
; %bb.12673:                            ;   in Loop: Header=BB6_12353 Depth=3
	s_or_b32 exec_lo, exec_lo, s73
.LBB6_12674:                            ;   in Loop: Header=BB6_12353 Depth=3
	s_delay_alu instid0(SALU_CYCLE_1)
	s_or_b32 exec_lo, exec_lo, s72
.LBB6_12675:                            ;   in Loop: Header=BB6_12353 Depth=3
	s_delay_alu instid0(SALU_CYCLE_1) | instskip(SKIP_3) | instid1(VALU_DEP_1)
	s_or_b32 exec_lo, exec_lo, s14
	v_lshrrev_b16 v0, 8, v10
	s_mov_b32 s72, 0
	s_mov_b32 s14, exec_lo
	v_cmpx_lt_i16_e32 0x7f, v0
	s_xor_b32 s14, exec_lo, s14
	s_cbranch_execz .LBB6_12918
; %bb.12676:                            ;   in Loop: Header=BB6_12353 Depth=3
	s_mov_b32 s72, -1
	s_mov_b32 s73, exec_lo
	v_cmpx_eq_u16_e32 0x80, v0
; %bb.12677:                            ;   in Loop: Header=BB6_12353 Depth=3
	s_xor_b32 s72, exec_lo, -1
; %bb.12678:                            ;   in Loop: Header=BB6_12353 Depth=3
	s_or_b32 exec_lo, exec_lo, s73
	s_delay_alu instid0(SALU_CYCLE_1)
	s_and_b32 s72, s72, exec_lo
	s_or_saveexec_b32 s14, s14
	v_bfrev_b32_e32 v1, 1
	s_xor_b32 exec_lo, exec_lo, s14
	s_cbranch_execnz .LBB6_12919
.LBB6_12679:                            ;   in Loop: Header=BB6_12353 Depth=3
	s_or_b32 exec_lo, exec_lo, s14
	s_and_saveexec_b32 s14, s72
	s_cbranch_execz .LBB6_12681
.LBB6_12680:                            ;   in Loop: Header=BB6_12353 Depth=3
	v_and_b32_e32 v9, 0xffff, v0
	s_delay_alu instid0(VALU_DEP_1) | instskip(NEXT) | instid1(VALU_DEP_1)
	v_and_b32_e32 v14, 3, v9
	v_clz_i32_u32_e32 v1, v14
	s_delay_alu instid0(VALU_DEP_1) | instskip(SKIP_1) | instid1(VALU_DEP_2)
	v_min_u32_e32 v15, 32, v1
	v_mov_b32_e32 v1, v21
	v_subrev_nc_u32_e32 v12, 29, v15
	s_delay_alu instid0(VALU_DEP_1) | instskip(SKIP_3) | instid1(VALU_DEP_3)
	v_lshlrev_b64_e32 v[12:13], v12, v[0:1]
	v_bfe_u32 v1, v9, 2, 5
	v_dual_lshlrev_b32 v0, 24, v0 :: v_dual_sub_nc_u32 v13, 30, v15
	v_and_b32_e32 v9, 0x7c, v9
	v_cmp_eq_u32_e64 s13, 0, v1
	s_delay_alu instid0(VALU_DEP_3) | instskip(NEXT) | instid1(VALU_DEP_2)
	v_and_b32_e32 v0, 0x80000000, v0
	v_dual_cndmask_b32 v1, v1, v13, s13 :: v_dual_bitop2_b32 v12, 3, v12 bitop3:0x40
	s_delay_alu instid0(VALU_DEP_1) | instskip(SKIP_1) | instid1(VALU_DEP_3)
	v_cndmask_b32_e64 v12, v14, v12, s13
	v_cmp_lt_i16_e64 s13, -1, v10
	v_lshl_add_u32 v0, v1, 23, v0
	v_mov_b32_e32 v1, 0x7f800000
	s_delay_alu instid0(VALU_DEP_2) | instskip(NEXT) | instid1(VALU_DEP_2)
	v_lshl_or_b32 v0, v12, 21, v0
	v_cndmask_b32_e64 v1, 0xff800000, v1, s13
	v_cmp_eq_u32_e64 s13, 0, v14
	s_delay_alu instid0(VALU_DEP_3) | instskip(NEXT) | instid1(VALU_DEP_2)
	v_add_nc_u32_e32 v0, 0x38000000, v0
	v_cndmask_b32_e64 v1, 0x7f800001, v1, s13
	v_cmp_eq_u32_e64 s13, 0x7c, v9
	s_delay_alu instid0(VALU_DEP_1)
	v_cndmask_b32_e64 v1, v0, v1, s13
.LBB6_12681:                            ;   in Loop: Header=BB6_12353 Depth=3
	s_or_b32 exec_lo, exec_lo, s14
	s_delay_alu instid0(VALU_DEP_1) | instskip(SKIP_2) | instid1(VALU_DEP_2)
	v_dual_mul_f32 v8, v8, v1 :: v_dual_mov_b32 v13, v21
	v_mov_b32_e32 v1, v21
                                        ; implicit-def: $vgpr34
	s_mov_b32 s14, exec_lo
	v_and_b32_e32 v12, 0x7f800000, v8
	v_and_b32_e32 v0, 0x7fffff, v8
	v_lshrrev_b32_e32 v9, 24, v8
	s_delay_alu instid0(VALU_DEP_3)
	v_cmpx_ne_u64_e32 0x7f800000, v[12:13]
	s_xor_b32 s72, exec_lo, s14
	s_cbranch_execz .LBB6_12695
; %bb.12682:                            ;   in Loop: Header=BB6_12353 Depth=3
	v_and_b32_e32 v12, 0x7fffffff, v8
	v_mov_b32_e32 v13, v21
                                        ; implicit-def: $vgpr34
	s_delay_alu instid0(VALU_DEP_1) | instskip(SKIP_2) | instid1(SALU_CYCLE_1)
	v_cmp_gt_u64_e64 s13, 0x47600001, v[12:13]
	v_and_b32_e32 v12, 0x80, v9
	s_and_saveexec_b32 s14, s13
	s_xor_b32 s73, exec_lo, s14
	s_cbranch_execz .LBB6_12692
; %bb.12683:                            ;   in Loop: Header=BB6_12353 Depth=3
	v_mov_b32_e32 v34, 0
	s_mov_b32 s74, exec_lo
	v_cmpx_ne_u32_e32 0, v8
	s_cbranch_execz .LBB6_12691
; %bb.12684:                            ;   in Loop: Header=BB6_12353 Depth=3
	v_bfe_u32 v13, v8, 23, 8
	v_or_b32_e32 v15, 0x800000, v0
	s_delay_alu instid0(VALU_DEP_2) | instskip(SKIP_1) | instid1(VALU_DEP_1)
	v_sub_nc_u32_e32 v8, 0x71, v13
	v_cmp_gt_u32_e64 s13, 0x72, v13
	v_cndmask_b32_e64 v8, 0, v8, s13
	v_cmp_eq_u32_e64 s13, 0, v13
	s_delay_alu instid0(VALU_DEP_1) | instskip(NEXT) | instid1(VALU_DEP_1)
	v_cndmask_b32_e64 v14, v8, 0x70, s13
	v_dual_cndmask_b32 v0, v15, v0, s13 :: v_dual_add_nc_u32 v8, 21, v14
	v_add_nc_u32_e32 v34, 20, v14
	s_delay_alu instid0(VALU_DEP_2) | instskip(NEXT) | instid1(VALU_DEP_2)
	v_lshlrev_b64_e64 v[8:9], v8, -1
	v_lshlrev_b64_e64 v[34:35], v34, 1
	s_delay_alu instid0(VALU_DEP_2) | instskip(SKIP_1) | instid1(VALU_DEP_4)
	v_bfi_b32 v8, v8, 0, v0
	v_lshrrev_b64 v[0:1], v14, v[0:1]
	v_bfi_b32 v9, v9, 0, 0
	s_delay_alu instid0(VALU_DEP_1) | instskip(NEXT) | instid1(VALU_DEP_3)
	v_cmp_eq_u64_e64 s14, v[8:9], v[34:35]
	v_mov_b64_e32 v[8:9], v[0:1]
	s_and_saveexec_b32 s75, s14
; %bb.12685:                            ;   in Loop: Header=BB6_12353 Depth=3
	v_bfe_u32 v8, v0, 21, 1
	v_mov_b32_e32 v9, v21
	s_delay_alu instid0(VALU_DEP_1) | instskip(NEXT) | instid1(VALU_DEP_1)
	v_add_nc_u64_e32 v[8:9], v[0:1], v[8:9]
	v_add_nc_u64_e32 v[8:9], -1, v[8:9]
; %bb.12686:                            ;   in Loop: Header=BB6_12353 Depth=3
	s_or_b32 exec_lo, exec_lo, s75
	v_add_nc_u32_e32 v1, 0xffffff81, v13
	v_lshrrev_b32_e32 v9, 23, v0
	s_mov_b32 s14, exec_lo
	s_delay_alu instid0(VALU_DEP_2) | instskip(NEXT) | instid1(VALU_DEP_1)
	v_cndmask_b32_e64 v1, v1, 0xffffff82, s13
	v_add3_u32 v9, v14, v1, v9
	v_and_b32_e32 v1, 0x1fffff, v8
                                        ; implicit-def: $vgpr8
	s_delay_alu instid0(VALU_DEP_1) | instskip(SKIP_1) | instid1(VALU_DEP_2)
	v_dual_add_nc_u32 v13, 14, v9 :: v_dual_add_nc_u32 v0, v1, v0
	v_mov_b32_e32 v1, v21
	v_cmpx_ne_u32_e32 0, v13
	s_xor_b32 s14, exec_lo, s14
; %bb.12687:                            ;   in Loop: Header=BB6_12353 Depth=3
	s_delay_alu instid0(VALU_DEP_2) | instskip(SKIP_1) | instid1(VALU_DEP_2)
	v_cmp_lt_u64_e64 s13, 0xffffff, v[0:1]
	v_add_nc_u32_e32 v8, 15, v9
	v_cndmask_b32_e64 v9, 0, 1, s13
	s_delay_alu instid0(VALU_DEP_2) | instskip(NEXT) | instid1(VALU_DEP_2)
	v_cndmask_b32_e64 v8, v13, v8, s13
	v_lshrrev_b64 v[0:1], v9, v[0:1]
; %bb.12688:                            ;   in Loop: Header=BB6_12353 Depth=3
	s_and_not1_saveexec_b32 s13, s14
; %bb.12689:                            ;   in Loop: Header=BB6_12353 Depth=3
	s_delay_alu instid0(VALU_DEP_1)
	v_bfe_u32 v8, v0, 23, 1
; %bb.12690:                            ;   in Loop: Header=BB6_12353 Depth=3
	s_or_b32 exec_lo, exec_lo, s13
	s_delay_alu instid0(VALU_DEP_2) | instskip(NEXT) | instid1(VALU_DEP_2)
	v_lshrrev_b64 v[0:1], 21, v[0:1]
	v_cmp_gt_i32_e64 s13, 32, v8
	v_min_i32_e32 v9, 31, v8
	v_cmp_eq_u32_e64 s14, 0, v8
	s_delay_alu instid0(VALU_DEP_3) | instskip(NEXT) | instid1(VALU_DEP_3)
	v_cndmask_b32_e64 v1, 0, v1, s13
	v_dual_lshlrev_b32 v9, 2, v9 :: v_dual_cndmask_b32 v0, 3, v0, s13
	s_delay_alu instid0(VALU_DEP_1) | instskip(NEXT) | instid1(VALU_DEP_2)
	v_and_b32_e32 v9, 0xfc, v9
	v_cmp_eq_u64_e64 s13, 0, v[0:1]
	s_delay_alu instid0(VALU_DEP_2)
	v_and_or_b32 v0, v0, 3, v9
	s_and_b32 s13, s14, s13
	s_delay_alu instid0(VALU_DEP_1) | instid1(SALU_CYCLE_1)
	v_cndmask_b32_e64 v0, v0, 0, s13
	s_delay_alu instid0(VALU_DEP_1)
	v_or_b32_e32 v34, v0, v12
.LBB6_12691:                            ;   in Loop: Header=BB6_12353 Depth=3
	s_or_b32 exec_lo, exec_lo, s74
                                        ; implicit-def: $vgpr12
.LBB6_12692:                            ;   in Loop: Header=BB6_12353 Depth=3
	s_and_not1_saveexec_b32 s13, s73
; %bb.12693:                            ;   in Loop: Header=BB6_12353 Depth=3
	v_or_b32_e32 v34, 0x7b, v12
; %bb.12694:                            ;   in Loop: Header=BB6_12353 Depth=3
	s_or_b32 exec_lo, exec_lo, s13
                                        ; implicit-def: $vgpr8
                                        ; implicit-def: $vgpr0_vgpr1
                                        ; implicit-def: $vgpr9
.LBB6_12695:                            ;   in Loop: Header=BB6_12353 Depth=3
	s_and_not1_saveexec_b32 s14, s72
	s_cbranch_execz .LBB6_12701
; %bb.12696:                            ;   in Loop: Header=BB6_12353 Depth=3
	v_cmp_ne_u64_e64 s13, 0, v[0:1]
                                        ; implicit-def: $vgpr34
	s_and_saveexec_b32 s72, s13
	s_delay_alu instid0(SALU_CYCLE_1)
	s_xor_b32 s13, exec_lo, s72
; %bb.12697:                            ;   in Loop: Header=BB6_12353 Depth=3
	v_or_b32_e32 v34, 0x7f, v9
                                        ; implicit-def: $vgpr8
; %bb.12698:                            ;   in Loop: Header=BB6_12353 Depth=3
	s_and_not1_saveexec_b32 s72, s13
; %bb.12699:                            ;   in Loop: Header=BB6_12353 Depth=3
	v_cmp_lt_i32_e64 s13, -1, v8
	v_mov_b32_e32 v0, 0x7c
	s_delay_alu instid0(VALU_DEP_1)
	v_cndmask_b32_e64 v34, 0xfc, v0, s13
; %bb.12700:                            ;   in Loop: Header=BB6_12353 Depth=3
	s_or_b32 exec_lo, exec_lo, s72
.LBB6_12701:                            ;   in Loop: Header=BB6_12353 Depth=3
	s_delay_alu instid0(SALU_CYCLE_1) | instskip(SKIP_2) | instid1(VALU_DEP_1)
	s_or_b32 exec_lo, exec_lo, s14
	v_dual_mov_b32 v1, 0 :: v_dual_lshrrev_b32 v0, 16, v2
	s_mov_b32 s14, exec_lo
	v_and_b32_e32 v8, 0xff, v0
	s_delay_alu instid0(VALU_DEP_1)
	v_cmpx_ne_u16_e32 0, v8
	s_cbranch_execz .LBB6_12711
; %bb.12702:                            ;   in Loop: Header=BB6_12353 Depth=3
	v_bfrev_b32_e32 v1, 1
	s_mov_b32 s72, exec_lo
	v_cmpx_ne_u16_e32 0x80, v8
	s_cbranch_execz .LBB6_12710
; %bb.12703:                            ;   in Loop: Header=BB6_12353 Depth=3
	v_and_b32_e32 v1, 0x7c0000, v2
	v_bfe_u32 v8, v2, 16, 2
	s_delay_alu instid0(VALU_DEP_2) | instskip(SKIP_1) | instid1(SALU_CYCLE_1)
	v_cmp_ne_u32_e64 s13, 0x7c0000, v1
                                        ; implicit-def: $vgpr1
	s_and_saveexec_b32 s73, s13
	s_xor_b32 s73, exec_lo, s73
	s_cbranch_execz .LBB6_12707
; %bb.12704:                            ;   in Loop: Header=BB6_12353 Depth=3
	v_bfe_u32 v1, v2, 18, 5
	s_mov_b32 s74, exec_lo
	s_delay_alu instid0(VALU_DEP_1)
	v_cmpx_eq_u32_e32 0, v1
; %bb.12705:                            ;   in Loop: Header=BB6_12353 Depth=3
	v_clz_i32_u32_e32 v1, v8
	s_delay_alu instid0(VALU_DEP_1) | instskip(NEXT) | instid1(VALU_DEP_1)
	v_min_u32_e32 v1, 32, v1
	v_subrev_nc_u32_e32 v8, 29, v1
	s_delay_alu instid0(VALU_DEP_1) | instskip(NEXT) | instid1(VALU_DEP_1)
	v_lshlrev_b64_e32 v[8:9], v8, v[0:1]
	v_dual_sub_nc_u32 v1, 30, v1 :: v_dual_bitop2_b32 v8, 3, v8 bitop3:0x40
; %bb.12706:                            ;   in Loop: Header=BB6_12353 Depth=3
	s_or_b32 exec_lo, exec_lo, s74
	v_lshlrev_b32_e32 v0, 24, v0
	s_delay_alu instid0(VALU_DEP_1) | instskip(NEXT) | instid1(VALU_DEP_1)
	v_and_b32_e32 v0, 0x80000000, v0
	v_lshl_add_u32 v0, v1, 23, v0
	s_delay_alu instid0(VALU_DEP_1) | instskip(NEXT) | instid1(VALU_DEP_1)
	v_lshl_or_b32 v0, v8, 21, v0
                                        ; implicit-def: $vgpr8
	v_add_nc_u32_e32 v1, 0x38000000, v0
                                        ; implicit-def: $vgpr0
.LBB6_12707:                            ;   in Loop: Header=BB6_12353 Depth=3
	s_and_not1_saveexec_b32 s73, s73
; %bb.12708:                            ;   in Loop: Header=BB6_12353 Depth=3
	v_bfe_i32 v0, v0, 0, 8
	s_delay_alu instid0(VALU_DEP_1) | instskip(SKIP_1) | instid1(VALU_DEP_1)
	v_cmp_lt_i16_e64 s13, -1, v0
	v_mov_b32_e32 v0, 0x7f800000
	v_cndmask_b32_e64 v0, 0xff800000, v0, s13
	v_cmp_eq_u32_e64 s13, 0, v8
	s_delay_alu instid0(VALU_DEP_1)
	v_cndmask_b32_e64 v1, 0x7f800001, v0, s13
; %bb.12709:                            ;   in Loop: Header=BB6_12353 Depth=3
	s_or_b32 exec_lo, exec_lo, s73
.LBB6_12710:                            ;   in Loop: Header=BB6_12353 Depth=3
	s_delay_alu instid0(SALU_CYCLE_1)
	s_or_b32 exec_lo, exec_lo, s72
.LBB6_12711:                            ;   in Loop: Header=BB6_12353 Depth=3
	s_delay_alu instid0(SALU_CYCLE_1) | instskip(SKIP_3) | instid1(VALU_DEP_1)
	s_or_b32 exec_lo, exec_lo, s14
	v_lshrrev_b32_e32 v0, 16, v10
	s_mov_b32 s72, 0
	s_mov_b32 s14, exec_lo
	v_and_b32_e32 v9, 0xff, v0
	s_delay_alu instid0(VALU_DEP_1)
	v_cmpx_lt_i16_e32 0x7f, v9
	s_xor_b32 s14, exec_lo, s14
	s_cbranch_execz .LBB6_12920
; %bb.12712:                            ;   in Loop: Header=BB6_12353 Depth=3
	s_mov_b32 s72, -1
	s_mov_b32 s73, exec_lo
	v_cmpx_eq_u16_e32 0x80, v9
; %bb.12713:                            ;   in Loop: Header=BB6_12353 Depth=3
	s_xor_b32 s72, exec_lo, -1
; %bb.12714:                            ;   in Loop: Header=BB6_12353 Depth=3
	s_or_b32 exec_lo, exec_lo, s73
	s_delay_alu instid0(SALU_CYCLE_1)
	s_and_b32 s72, s72, exec_lo
                                        ; implicit-def: $vgpr9
	s_or_saveexec_b32 s14, s14
	v_bfrev_b32_e32 v8, 1
	s_xor_b32 exec_lo, exec_lo, s14
	s_cbranch_execnz .LBB6_12921
.LBB6_12715:                            ;   in Loop: Header=BB6_12353 Depth=3
	s_or_b32 exec_lo, exec_lo, s14
	s_and_saveexec_b32 s14, s72
	s_cbranch_execz .LBB6_12717
.LBB6_12716:                            ;   in Loop: Header=BB6_12353 Depth=3
	v_and_b32_e32 v12, 3, v0
	v_bfe_u32 v14, v10, 18, 5
	s_delay_alu instid0(VALU_DEP_2) | instskip(NEXT) | instid1(VALU_DEP_2)
	v_clz_i32_u32_e32 v8, v12
	v_cmp_eq_u32_e64 s13, 0, v14
	s_delay_alu instid0(VALU_DEP_2) | instskip(NEXT) | instid1(VALU_DEP_1)
	v_min_u32_e32 v13, 32, v8
	v_subrev_nc_u32_e32 v8, 29, v13
	s_delay_alu instid0(VALU_DEP_1) | instskip(SKIP_2) | instid1(VALU_DEP_2)
	v_lshlrev_b64_e32 v[8:9], v8, v[0:1]
	v_dual_lshlrev_b32 v9, 24, v0 :: v_dual_sub_nc_u32 v13, 30, v13
	v_bfe_i32 v0, v0, 0, 8
	v_and_b32_e32 v9, 0x80000000, v9
	s_delay_alu instid0(VALU_DEP_3) | instskip(NEXT) | instid1(VALU_DEP_1)
	v_dual_cndmask_b32 v13, v14, v13, s13 :: v_dual_bitop2_b32 v8, 3, v8 bitop3:0x40
	v_cndmask_b32_e64 v8, v12, v8, s13
	s_delay_alu instid0(VALU_DEP_2) | instskip(SKIP_2) | instid1(VALU_DEP_3)
	v_lshl_add_u32 v9, v13, 23, v9
	v_cmp_lt_i16_e64 s13, -1, v0
	v_mov_b32_e32 v0, 0x7f800000
	v_lshl_or_b32 v8, v8, 21, v9
	v_and_b32_e32 v9, 0x7c0000, v10
	s_delay_alu instid0(VALU_DEP_3) | instskip(SKIP_1) | instid1(VALU_DEP_4)
	v_cndmask_b32_e64 v0, 0xff800000, v0, s13
	v_cmp_eq_u32_e64 s13, 0, v12
	v_add_nc_u32_e32 v8, 0x38000000, v8
	s_delay_alu instid0(VALU_DEP_2) | instskip(SKIP_1) | instid1(VALU_DEP_1)
	v_cndmask_b32_e64 v0, 0x7f800001, v0, s13
	v_cmp_eq_u32_e64 s13, 0x7c0000, v9
	v_cndmask_b32_e64 v8, v8, v0, s13
.LBB6_12717:                            ;   in Loop: Header=BB6_12353 Depth=3
	s_or_b32 exec_lo, exec_lo, s14
	s_delay_alu instid0(VALU_DEP_1) | instskip(SKIP_2) | instid1(VALU_DEP_2)
	v_mul_f32_e32 v8, v1, v8
	v_dual_mov_b32 v13, v21 :: v_dual_mov_b32 v1, v21
                                        ; implicit-def: $vgpr35
	s_mov_b32 s14, exec_lo
	v_and_b32_e32 v12, 0x7f800000, v8
	v_and_b32_e32 v0, 0x7fffff, v8
	v_lshrrev_b32_e32 v9, 24, v8
	s_delay_alu instid0(VALU_DEP_3)
	v_cmpx_ne_u64_e32 0x7f800000, v[12:13]
	s_xor_b32 s72, exec_lo, s14
	s_cbranch_execz .LBB6_12731
; %bb.12718:                            ;   in Loop: Header=BB6_12353 Depth=3
	v_and_b32_e32 v12, 0x7fffffff, v8
	v_mov_b32_e32 v13, v21
                                        ; implicit-def: $vgpr35
	s_delay_alu instid0(VALU_DEP_1) | instskip(SKIP_2) | instid1(SALU_CYCLE_1)
	v_cmp_gt_u64_e64 s13, 0x47600001, v[12:13]
	v_and_b32_e32 v12, 0x80, v9
	s_and_saveexec_b32 s14, s13
	s_xor_b32 s73, exec_lo, s14
	s_cbranch_execz .LBB6_12728
; %bb.12719:                            ;   in Loop: Header=BB6_12353 Depth=3
	v_mov_b32_e32 v35, 0
	s_mov_b32 s74, exec_lo
	v_cmpx_ne_u32_e32 0, v8
	s_cbranch_execz .LBB6_12727
; %bb.12720:                            ;   in Loop: Header=BB6_12353 Depth=3
	v_bfe_u32 v13, v8, 23, 8
	v_or_b32_e32 v15, 0x800000, v0
	s_delay_alu instid0(VALU_DEP_2) | instskip(SKIP_1) | instid1(VALU_DEP_1)
	v_sub_nc_u32_e32 v8, 0x71, v13
	v_cmp_gt_u32_e64 s13, 0x72, v13
	v_cndmask_b32_e64 v8, 0, v8, s13
	v_cmp_eq_u32_e64 s13, 0, v13
	s_delay_alu instid0(VALU_DEP_1) | instskip(NEXT) | instid1(VALU_DEP_1)
	v_cndmask_b32_e64 v14, v8, 0x70, s13
	v_dual_cndmask_b32 v0, v15, v0, s13 :: v_dual_add_nc_u32 v8, 21, v14
	v_add_nc_u32_e32 v35, 20, v14
	s_delay_alu instid0(VALU_DEP_2) | instskip(NEXT) | instid1(VALU_DEP_2)
	v_lshlrev_b64_e64 v[8:9], v8, -1
	v_lshlrev_b64_e64 v[36:37], v35, 1
	s_delay_alu instid0(VALU_DEP_2) | instskip(SKIP_1) | instid1(VALU_DEP_4)
	v_bfi_b32 v8, v8, 0, v0
	v_lshrrev_b64 v[0:1], v14, v[0:1]
	v_bfi_b32 v9, v9, 0, 0
	s_delay_alu instid0(VALU_DEP_1) | instskip(NEXT) | instid1(VALU_DEP_3)
	v_cmp_eq_u64_e64 s14, v[8:9], v[36:37]
	v_mov_b64_e32 v[8:9], v[0:1]
	s_and_saveexec_b32 s75, s14
; %bb.12721:                            ;   in Loop: Header=BB6_12353 Depth=3
	v_bfe_u32 v8, v0, 21, 1
	v_mov_b32_e32 v9, v21
	s_delay_alu instid0(VALU_DEP_1) | instskip(NEXT) | instid1(VALU_DEP_1)
	v_add_nc_u64_e32 v[8:9], v[0:1], v[8:9]
	v_add_nc_u64_e32 v[8:9], -1, v[8:9]
; %bb.12722:                            ;   in Loop: Header=BB6_12353 Depth=3
	s_or_b32 exec_lo, exec_lo, s75
	v_add_nc_u32_e32 v1, 0xffffff81, v13
	v_lshrrev_b32_e32 v9, 23, v0
	s_mov_b32 s14, exec_lo
	s_delay_alu instid0(VALU_DEP_2) | instskip(NEXT) | instid1(VALU_DEP_1)
	v_cndmask_b32_e64 v1, v1, 0xffffff82, s13
	v_add3_u32 v9, v14, v1, v9
	v_and_b32_e32 v1, 0x1fffff, v8
                                        ; implicit-def: $vgpr8
	s_delay_alu instid0(VALU_DEP_1) | instskip(SKIP_1) | instid1(VALU_DEP_2)
	v_dual_add_nc_u32 v13, 14, v9 :: v_dual_add_nc_u32 v0, v1, v0
	v_mov_b32_e32 v1, v21
	v_cmpx_ne_u32_e32 0, v13
	s_xor_b32 s14, exec_lo, s14
; %bb.12723:                            ;   in Loop: Header=BB6_12353 Depth=3
	s_delay_alu instid0(VALU_DEP_2) | instskip(SKIP_1) | instid1(VALU_DEP_2)
	v_cmp_lt_u64_e64 s13, 0xffffff, v[0:1]
	v_add_nc_u32_e32 v8, 15, v9
	v_cndmask_b32_e64 v9, 0, 1, s13
	s_delay_alu instid0(VALU_DEP_2) | instskip(NEXT) | instid1(VALU_DEP_2)
	v_cndmask_b32_e64 v8, v13, v8, s13
	v_lshrrev_b64 v[0:1], v9, v[0:1]
; %bb.12724:                            ;   in Loop: Header=BB6_12353 Depth=3
	s_and_not1_saveexec_b32 s13, s14
; %bb.12725:                            ;   in Loop: Header=BB6_12353 Depth=3
	s_delay_alu instid0(VALU_DEP_1)
	v_bfe_u32 v8, v0, 23, 1
; %bb.12726:                            ;   in Loop: Header=BB6_12353 Depth=3
	s_or_b32 exec_lo, exec_lo, s13
	s_delay_alu instid0(VALU_DEP_2) | instskip(NEXT) | instid1(VALU_DEP_2)
	v_lshrrev_b64 v[0:1], 21, v[0:1]
	v_cmp_gt_i32_e64 s13, 32, v8
	v_min_i32_e32 v9, 31, v8
	v_cmp_eq_u32_e64 s14, 0, v8
	s_delay_alu instid0(VALU_DEP_3) | instskip(NEXT) | instid1(VALU_DEP_3)
	v_cndmask_b32_e64 v1, 0, v1, s13
	v_dual_lshlrev_b32 v9, 2, v9 :: v_dual_cndmask_b32 v0, 3, v0, s13
	s_delay_alu instid0(VALU_DEP_1) | instskip(NEXT) | instid1(VALU_DEP_2)
	v_and_b32_e32 v9, 0xfc, v9
	v_cmp_eq_u64_e64 s13, 0, v[0:1]
	s_delay_alu instid0(VALU_DEP_2)
	v_and_or_b32 v0, v0, 3, v9
	s_and_b32 s13, s14, s13
	s_delay_alu instid0(VALU_DEP_1) | instid1(SALU_CYCLE_1)
	v_cndmask_b32_e64 v0, v0, 0, s13
	s_delay_alu instid0(VALU_DEP_1)
	v_or_b32_e32 v35, v0, v12
.LBB6_12727:                            ;   in Loop: Header=BB6_12353 Depth=3
	s_or_b32 exec_lo, exec_lo, s74
                                        ; implicit-def: $vgpr12
.LBB6_12728:                            ;   in Loop: Header=BB6_12353 Depth=3
	s_and_not1_saveexec_b32 s13, s73
; %bb.12729:                            ;   in Loop: Header=BB6_12353 Depth=3
	v_or_b32_e32 v35, 0x7b, v12
; %bb.12730:                            ;   in Loop: Header=BB6_12353 Depth=3
	s_or_b32 exec_lo, exec_lo, s13
                                        ; implicit-def: $vgpr8
                                        ; implicit-def: $vgpr0_vgpr1
                                        ; implicit-def: $vgpr9
.LBB6_12731:                            ;   in Loop: Header=BB6_12353 Depth=3
	s_and_not1_saveexec_b32 s14, s72
	s_cbranch_execz .LBB6_12737
; %bb.12732:                            ;   in Loop: Header=BB6_12353 Depth=3
	v_cmp_ne_u64_e64 s13, 0, v[0:1]
                                        ; implicit-def: $vgpr35
	s_and_saveexec_b32 s72, s13
	s_delay_alu instid0(SALU_CYCLE_1)
	s_xor_b32 s13, exec_lo, s72
; %bb.12733:                            ;   in Loop: Header=BB6_12353 Depth=3
	v_or_b32_e32 v35, 0x7f, v9
                                        ; implicit-def: $vgpr8
; %bb.12734:                            ;   in Loop: Header=BB6_12353 Depth=3
	s_and_not1_saveexec_b32 s72, s13
; %bb.12735:                            ;   in Loop: Header=BB6_12353 Depth=3
	v_cmp_lt_i32_e64 s13, -1, v8
	v_mov_b32_e32 v0, 0x7c
	s_delay_alu instid0(VALU_DEP_1)
	v_cndmask_b32_e64 v35, 0xfc, v0, s13
; %bb.12736:                            ;   in Loop: Header=BB6_12353 Depth=3
	s_or_b32 exec_lo, exec_lo, s72
.LBB6_12737:                            ;   in Loop: Header=BB6_12353 Depth=3
	s_delay_alu instid0(SALU_CYCLE_1)
	s_or_b32 exec_lo, exec_lo, s14
	v_mov_b32_e32 v1, 0
	s_mov_b32 s14, exec_lo
	v_cmpx_lt_u32_e32 0xffffff, v2
	s_cbranch_execz .LBB6_12747
; %bb.12738:                            ;   in Loop: Header=BB6_12353 Depth=3
	v_lshrrev_b32_e32 v0, 24, v2
	v_bfrev_b32_e32 v1, 1
	s_mov_b32 s72, exec_lo
	s_delay_alu instid0(VALU_DEP_2)
	v_cmpx_ne_u32_e32 0x80, v0
	s_cbranch_execz .LBB6_12746
; %bb.12739:                            ;   in Loop: Header=BB6_12353 Depth=3
	v_and_b32_e32 v1, 0x7c000000, v2
	v_bfe_u32 v8, v2, 24, 2
	s_delay_alu instid0(VALU_DEP_2) | instskip(SKIP_1) | instid1(SALU_CYCLE_1)
	v_cmp_ne_u32_e64 s13, 0x7c000000, v1
                                        ; implicit-def: $vgpr1
	s_and_saveexec_b32 s73, s13
	s_xor_b32 s73, exec_lo, s73
	s_cbranch_execz .LBB6_12743
; %bb.12740:                            ;   in Loop: Header=BB6_12353 Depth=3
	v_bfe_u32 v1, v2, 26, 5
	s_mov_b32 s74, exec_lo
	s_delay_alu instid0(VALU_DEP_1)
	v_cmpx_eq_u32_e32 0, v1
; %bb.12741:                            ;   in Loop: Header=BB6_12353 Depth=3
	v_clz_i32_u32_e32 v1, v8
	s_delay_alu instid0(VALU_DEP_1) | instskip(NEXT) | instid1(VALU_DEP_1)
	v_min_u32_e32 v8, 32, v1
	v_subrev_nc_u32_e32 v1, 29, v8
	s_delay_alu instid0(VALU_DEP_1) | instskip(SKIP_1) | instid1(VALU_DEP_2)
	v_lshlrev_b64_e32 v[0:1], v1, v[0:1]
	v_sub_nc_u32_e32 v1, 30, v8
	v_and_b32_e32 v8, 3, v0
; %bb.12742:                            ;   in Loop: Header=BB6_12353 Depth=3
	s_or_b32 exec_lo, exec_lo, s74
	v_and_b32_e32 v0, 0x80000000, v2
	s_delay_alu instid0(VALU_DEP_1) | instskip(NEXT) | instid1(VALU_DEP_1)
	v_lshl_add_u32 v0, v1, 23, v0
	v_lshl_or_b32 v0, v8, 21, v0
                                        ; implicit-def: $vgpr8
	s_delay_alu instid0(VALU_DEP_1)
	v_add_nc_u32_e32 v1, 0x38000000, v0
.LBB6_12743:                            ;   in Loop: Header=BB6_12353 Depth=3
	s_and_not1_saveexec_b32 s73, s73
; %bb.12744:                            ;   in Loop: Header=BB6_12353 Depth=3
	v_cmp_lt_i32_e64 s13, -1, v2
	v_mov_b32_e32 v0, 0x7f800000
	s_delay_alu instid0(VALU_DEP_1) | instskip(SKIP_1) | instid1(VALU_DEP_1)
	v_cndmask_b32_e64 v0, 0xff800000, v0, s13
	v_cmp_eq_u32_e64 s13, 0, v8
	v_cndmask_b32_e64 v1, 0x7f800001, v0, s13
; %bb.12745:                            ;   in Loop: Header=BB6_12353 Depth=3
	s_or_b32 exec_lo, exec_lo, s73
.LBB6_12746:                            ;   in Loop: Header=BB6_12353 Depth=3
	s_delay_alu instid0(SALU_CYCLE_1)
	s_or_b32 exec_lo, exec_lo, s72
.LBB6_12747:                            ;   in Loop: Header=BB6_12353 Depth=3
	s_delay_alu instid0(SALU_CYCLE_1) | instskip(SKIP_3) | instid1(VALU_DEP_2)
	s_or_b32 exec_lo, exec_lo, s14
	v_bfe_u32 v12, v10, 24, 2
	v_bfe_u32 v14, v10, 26, 5
                                        ; implicit-def: $vgpr36
	s_mov_b32 s14, exec_lo
	v_clz_i32_u32_e32 v0, v12
	s_delay_alu instid0(VALU_DEP_2) | instskip(NEXT) | instid1(VALU_DEP_2)
	v_cmp_eq_u32_e64 s13, 0, v14
	v_min_u32_e32 v13, 32, v0
	v_lshrrev_b32_e32 v0, 24, v10
	s_delay_alu instid0(VALU_DEP_2) | instskip(NEXT) | instid1(VALU_DEP_1)
	v_subrev_nc_u32_e32 v8, 29, v13
	v_lshlrev_b64_e32 v[8:9], v8, v[0:1]
	v_sub_nc_u32_e32 v9, 30, v13
	v_and_b32_e32 v13, 0x80000000, v10
	s_delay_alu instid0(VALU_DEP_2) | instskip(NEXT) | instid1(VALU_DEP_1)
	v_dual_cndmask_b32 v9, v14, v9, s13 :: v_dual_bitop2_b32 v8, 3, v8 bitop3:0x40
	v_lshl_add_u32 v9, v9, 23, v13
	s_delay_alu instid0(VALU_DEP_2) | instskip(SKIP_2) | instid1(VALU_DEP_1)
	v_cndmask_b32_e64 v8, v12, v8, s13
	v_cmp_lt_i32_e64 s13, -1, v10
	v_mov_b32_e32 v13, 0x7f800000
	v_cndmask_b32_e64 v13, 0xff800000, v13, s13
	v_cmp_eq_u32_e64 s13, 0, v12
	s_delay_alu instid0(VALU_DEP_1) | instskip(SKIP_3) | instid1(VALU_DEP_2)
	v_cndmask_b32_e64 v12, 0x7f800001, v13, s13
	v_mov_b32_e32 v13, v21
	v_lshl_or_b32 v8, v8, 21, v9
	v_and_b32_e32 v9, 0x7c000000, v10
	v_add_nc_u32_e32 v8, 0x38000000, v8
	s_delay_alu instid0(VALU_DEP_2) | instskip(NEXT) | instid1(VALU_DEP_1)
	v_cmp_eq_u32_e64 s13, 0x7c000000, v9
	v_cndmask_b32_e64 v8, v8, v12, s13
	v_cmp_ne_u32_e64 s13, 0x80, v0
	s_delay_alu instid0(VALU_DEP_1) | instskip(SKIP_1) | instid1(VALU_DEP_1)
	v_cndmask_b32_e64 v0, 0x80000000, v8, s13
	v_cmp_lt_u32_e64 s13, 0xffffff, v10
	v_cndmask_b32_e64 v0, 0, v0, s13
	s_delay_alu instid0(VALU_DEP_1) | instskip(NEXT) | instid1(VALU_DEP_1)
	v_dual_mul_f32 v8, v0, v1 :: v_dual_mov_b32 v1, v21
	v_and_b32_e32 v12, 0x7f800000, v8
	v_and_b32_e32 v0, 0x7fffff, v8
	v_lshrrev_b32_e32 v9, 24, v8
	s_delay_alu instid0(VALU_DEP_3)
	v_cmpx_ne_u64_e32 0x7f800000, v[12:13]
	s_xor_b32 s72, exec_lo, s14
	s_cbranch_execz .LBB6_12761
; %bb.12748:                            ;   in Loop: Header=BB6_12353 Depth=3
	v_and_b32_e32 v12, 0x7fffffff, v8
	v_mov_b32_e32 v13, v21
                                        ; implicit-def: $vgpr36
	s_delay_alu instid0(VALU_DEP_1) | instskip(SKIP_2) | instid1(SALU_CYCLE_1)
	v_cmp_gt_u64_e64 s13, 0x47600001, v[12:13]
	v_and_b32_e32 v12, 0x80, v9
	s_and_saveexec_b32 s14, s13
	s_xor_b32 s73, exec_lo, s14
	s_cbranch_execz .LBB6_12758
; %bb.12749:                            ;   in Loop: Header=BB6_12353 Depth=3
	v_mov_b32_e32 v36, 0
	s_mov_b32 s74, exec_lo
	v_cmpx_ne_u32_e32 0, v8
	s_cbranch_execz .LBB6_12757
; %bb.12750:                            ;   in Loop: Header=BB6_12353 Depth=3
	v_bfe_u32 v13, v8, 23, 8
	v_or_b32_e32 v15, 0x800000, v0
	s_delay_alu instid0(VALU_DEP_2) | instskip(SKIP_1) | instid1(VALU_DEP_1)
	v_sub_nc_u32_e32 v8, 0x71, v13
	v_cmp_gt_u32_e64 s13, 0x72, v13
	v_cndmask_b32_e64 v8, 0, v8, s13
	v_cmp_eq_u32_e64 s13, 0, v13
	s_delay_alu instid0(VALU_DEP_1) | instskip(NEXT) | instid1(VALU_DEP_1)
	v_cndmask_b32_e64 v14, v8, 0x70, s13
	v_dual_cndmask_b32 v0, v15, v0, s13 :: v_dual_add_nc_u32 v8, 21, v14
	v_add_nc_u32_e32 v36, 20, v14
	s_delay_alu instid0(VALU_DEP_2) | instskip(NEXT) | instid1(VALU_DEP_2)
	v_lshlrev_b64_e64 v[8:9], v8, -1
	v_lshlrev_b64_e64 v[36:37], v36, 1
	s_delay_alu instid0(VALU_DEP_2) | instskip(SKIP_1) | instid1(VALU_DEP_4)
	v_bfi_b32 v8, v8, 0, v0
	v_lshrrev_b64 v[0:1], v14, v[0:1]
	v_bfi_b32 v9, v9, 0, 0
	s_delay_alu instid0(VALU_DEP_1) | instskip(NEXT) | instid1(VALU_DEP_3)
	v_cmp_eq_u64_e64 s14, v[8:9], v[36:37]
	v_mov_b64_e32 v[8:9], v[0:1]
	s_and_saveexec_b32 s75, s14
; %bb.12751:                            ;   in Loop: Header=BB6_12353 Depth=3
	v_bfe_u32 v8, v0, 21, 1
	v_mov_b32_e32 v9, v21
	s_delay_alu instid0(VALU_DEP_1) | instskip(NEXT) | instid1(VALU_DEP_1)
	v_add_nc_u64_e32 v[8:9], v[0:1], v[8:9]
	v_add_nc_u64_e32 v[8:9], -1, v[8:9]
; %bb.12752:                            ;   in Loop: Header=BB6_12353 Depth=3
	s_or_b32 exec_lo, exec_lo, s75
	v_add_nc_u32_e32 v1, 0xffffff81, v13
	v_lshrrev_b32_e32 v9, 23, v0
	s_mov_b32 s14, exec_lo
	s_delay_alu instid0(VALU_DEP_2) | instskip(NEXT) | instid1(VALU_DEP_1)
	v_cndmask_b32_e64 v1, v1, 0xffffff82, s13
	v_add3_u32 v9, v14, v1, v9
	v_and_b32_e32 v1, 0x1fffff, v8
                                        ; implicit-def: $vgpr8
	s_delay_alu instid0(VALU_DEP_1) | instskip(SKIP_1) | instid1(VALU_DEP_2)
	v_dual_add_nc_u32 v13, 14, v9 :: v_dual_add_nc_u32 v0, v1, v0
	v_mov_b32_e32 v1, v21
	v_cmpx_ne_u32_e32 0, v13
	s_xor_b32 s14, exec_lo, s14
; %bb.12753:                            ;   in Loop: Header=BB6_12353 Depth=3
	s_delay_alu instid0(VALU_DEP_2) | instskip(SKIP_1) | instid1(VALU_DEP_2)
	v_cmp_lt_u64_e64 s13, 0xffffff, v[0:1]
	v_add_nc_u32_e32 v8, 15, v9
	v_cndmask_b32_e64 v9, 0, 1, s13
	s_delay_alu instid0(VALU_DEP_2) | instskip(NEXT) | instid1(VALU_DEP_2)
	v_cndmask_b32_e64 v8, v13, v8, s13
	v_lshrrev_b64 v[0:1], v9, v[0:1]
; %bb.12754:                            ;   in Loop: Header=BB6_12353 Depth=3
	s_and_not1_saveexec_b32 s13, s14
; %bb.12755:                            ;   in Loop: Header=BB6_12353 Depth=3
	s_delay_alu instid0(VALU_DEP_1)
	v_bfe_u32 v8, v0, 23, 1
; %bb.12756:                            ;   in Loop: Header=BB6_12353 Depth=3
	s_or_b32 exec_lo, exec_lo, s13
	s_delay_alu instid0(VALU_DEP_2) | instskip(NEXT) | instid1(VALU_DEP_2)
	v_lshrrev_b64 v[0:1], 21, v[0:1]
	v_cmp_gt_i32_e64 s13, 32, v8
	v_min_i32_e32 v9, 31, v8
	v_cmp_eq_u32_e64 s14, 0, v8
	s_delay_alu instid0(VALU_DEP_3) | instskip(NEXT) | instid1(VALU_DEP_3)
	v_cndmask_b32_e64 v1, 0, v1, s13
	v_dual_lshlrev_b32 v9, 2, v9 :: v_dual_cndmask_b32 v0, 3, v0, s13
	s_delay_alu instid0(VALU_DEP_1) | instskip(NEXT) | instid1(VALU_DEP_2)
	v_and_b32_e32 v9, 0xfc, v9
	v_cmp_eq_u64_e64 s13, 0, v[0:1]
	s_delay_alu instid0(VALU_DEP_2)
	v_and_or_b32 v0, v0, 3, v9
	s_and_b32 s13, s14, s13
	s_delay_alu instid0(VALU_DEP_1) | instid1(SALU_CYCLE_1)
	v_cndmask_b32_e64 v0, v0, 0, s13
	s_delay_alu instid0(VALU_DEP_1)
	v_or_b32_e32 v36, v0, v12
.LBB6_12757:                            ;   in Loop: Header=BB6_12353 Depth=3
	s_or_b32 exec_lo, exec_lo, s74
                                        ; implicit-def: $vgpr12
.LBB6_12758:                            ;   in Loop: Header=BB6_12353 Depth=3
	s_and_not1_saveexec_b32 s13, s73
; %bb.12759:                            ;   in Loop: Header=BB6_12353 Depth=3
	v_or_b32_e32 v36, 0x7b, v12
; %bb.12760:                            ;   in Loop: Header=BB6_12353 Depth=3
	s_or_b32 exec_lo, exec_lo, s13
                                        ; implicit-def: $vgpr8
                                        ; implicit-def: $vgpr0_vgpr1
                                        ; implicit-def: $vgpr9
.LBB6_12761:                            ;   in Loop: Header=BB6_12353 Depth=3
	s_and_not1_saveexec_b32 s14, s72
	s_cbranch_execz .LBB6_12767
; %bb.12762:                            ;   in Loop: Header=BB6_12353 Depth=3
	v_cmp_ne_u64_e64 s13, 0, v[0:1]
                                        ; implicit-def: $vgpr36
	s_and_saveexec_b32 s72, s13
	s_delay_alu instid0(SALU_CYCLE_1)
	s_xor_b32 s13, exec_lo, s72
; %bb.12763:                            ;   in Loop: Header=BB6_12353 Depth=3
	v_or_b32_e32 v36, 0x7f, v9
                                        ; implicit-def: $vgpr8
; %bb.12764:                            ;   in Loop: Header=BB6_12353 Depth=3
	s_and_not1_saveexec_b32 s72, s13
; %bb.12765:                            ;   in Loop: Header=BB6_12353 Depth=3
	v_cmp_lt_i32_e64 s13, -1, v8
	v_mov_b32_e32 v0, 0x7c
	s_delay_alu instid0(VALU_DEP_1)
	v_cndmask_b32_e64 v36, 0xfc, v0, s13
; %bb.12766:                            ;   in Loop: Header=BB6_12353 Depth=3
	s_or_b32 exec_lo, exec_lo, s72
.LBB6_12767:                            ;   in Loop: Header=BB6_12353 Depth=3
	s_delay_alu instid0(SALU_CYCLE_1) | instskip(SKIP_4) | instid1(VALU_DEP_3)
	s_or_b32 exec_lo, exec_lo, s14
	v_and_b32_e32 v0, 0xff, v3
	v_dual_mov_b32 v8, v3 :: v_dual_mov_b32 v9, v21
	v_mov_b32_e32 v12, 0
	s_mov_b32 s14, exec_lo
	v_cmpx_ne_u16_e32 0, v0
	s_cbranch_execz .LBB6_12777
; %bb.12768:                            ;   in Loop: Header=BB6_12353 Depth=3
	v_bfrev_b32_e32 v12, 1
	s_mov_b32 s72, exec_lo
	v_cmpx_ne_u16_e32 0x80, v0
	s_cbranch_execz .LBB6_12776
; %bb.12769:                            ;   in Loop: Header=BB6_12353 Depth=3
	v_and_b32_e32 v1, 0x7c, v3
	v_and_b32_e32 v0, 3, v3
	s_mov_b32 s73, exec_lo
                                        ; implicit-def: $vgpr12
	s_delay_alu instid0(VALU_DEP_2)
	v_cmpx_ne_u32_e32 0x7c, v1
	s_xor_b32 s73, exec_lo, s73
	s_cbranch_execz .LBB6_12773
; %bb.12770:                            ;   in Loop: Header=BB6_12353 Depth=3
	v_bfe_u32 v1, v3, 2, 5
	s_mov_b32 s74, exec_lo
	s_delay_alu instid0(VALU_DEP_1)
	v_cmpx_eq_u32_e32 0, v1
; %bb.12771:                            ;   in Loop: Header=BB6_12353 Depth=3
	v_clz_i32_u32_e32 v0, v0
	s_delay_alu instid0(VALU_DEP_1) | instskip(NEXT) | instid1(VALU_DEP_1)
	v_min_u32_e32 v12, 32, v0
	v_subrev_nc_u32_e32 v0, 29, v12
	s_delay_alu instid0(VALU_DEP_1) | instskip(SKIP_1) | instid1(VALU_DEP_2)
	v_lshlrev_b64_e32 v[0:1], v0, v[8:9]
	v_sub_nc_u32_e32 v1, 30, v12
	v_and_b32_e32 v0, 3, v0
; %bb.12772:                            ;   in Loop: Header=BB6_12353 Depth=3
	s_or_b32 exec_lo, exec_lo, s74
	v_lshlrev_b32_e32 v9, 24, v3
	s_delay_alu instid0(VALU_DEP_1) | instskip(NEXT) | instid1(VALU_DEP_1)
	v_and_b32_e32 v9, 0x80000000, v9
	v_lshl_add_u32 v1, v1, 23, v9
	s_delay_alu instid0(VALU_DEP_1) | instskip(NEXT) | instid1(VALU_DEP_1)
	v_lshl_or_b32 v0, v0, 21, v1
	v_add_nc_u32_e32 v12, 0x38000000, v0
                                        ; implicit-def: $vgpr0
.LBB6_12773:                            ;   in Loop: Header=BB6_12353 Depth=3
	s_and_not1_saveexec_b32 s73, s73
; %bb.12774:                            ;   in Loop: Header=BB6_12353 Depth=3
	v_bfe_i32 v1, v3, 0, 8
	s_delay_alu instid0(VALU_DEP_1) | instskip(SKIP_1) | instid1(VALU_DEP_1)
	v_cmp_lt_i16_e64 s13, -1, v1
	v_mov_b32_e32 v1, 0x7f800000
	v_cndmask_b32_e64 v1, 0xff800000, v1, s13
	v_cmp_eq_u32_e64 s13, 0, v0
	s_delay_alu instid0(VALU_DEP_1)
	v_cndmask_b32_e64 v12, 0x7f800001, v1, s13
; %bb.12775:                            ;   in Loop: Header=BB6_12353 Depth=3
	s_or_b32 exec_lo, exec_lo, s73
.LBB6_12776:                            ;   in Loop: Header=BB6_12353 Depth=3
	s_delay_alu instid0(SALU_CYCLE_1)
	s_or_b32 exec_lo, exec_lo, s72
.LBB6_12777:                            ;   in Loop: Header=BB6_12353 Depth=3
	s_delay_alu instid0(SALU_CYCLE_1) | instskip(SKIP_4) | instid1(VALU_DEP_2)
	s_or_b32 exec_lo, exec_lo, s14
	v_and_b32_e32 v1, 0xff, v11
	v_mov_b32_e32 v0, v11
	s_mov_b32 s72, 0
	s_mov_b32 s14, exec_lo
	v_cmpx_lt_i16_e32 0x7f, v1
	s_xor_b32 s14, exec_lo, s14
	s_cbranch_execz .LBB6_12922
; %bb.12778:                            ;   in Loop: Header=BB6_12353 Depth=3
	s_mov_b32 s72, -1
	s_mov_b32 s73, exec_lo
	v_cmpx_eq_u16_e32 0x80, v1
; %bb.12779:                            ;   in Loop: Header=BB6_12353 Depth=3
	s_xor_b32 s72, exec_lo, -1
; %bb.12780:                            ;   in Loop: Header=BB6_12353 Depth=3
	s_or_b32 exec_lo, exec_lo, s73
	s_delay_alu instid0(SALU_CYCLE_1)
	s_and_b32 s72, s72, exec_lo
                                        ; implicit-def: $vgpr1
	s_or_saveexec_b32 s14, s14
	v_bfrev_b32_e32 v9, 1
	s_xor_b32 exec_lo, exec_lo, s14
	s_cbranch_execnz .LBB6_12923
.LBB6_12781:                            ;   in Loop: Header=BB6_12353 Depth=3
	s_or_b32 exec_lo, exec_lo, s14
	v_mov_b32_e32 v1, v21
	s_and_saveexec_b32 s14, s72
	s_cbranch_execz .LBB6_12783
.LBB6_12782:                            ;   in Loop: Header=BB6_12353 Depth=3
	v_and_b32_e32 v9, 3, v11
	s_delay_alu instid0(VALU_DEP_1) | instskip(NEXT) | instid1(VALU_DEP_1)
	v_clz_i32_u32_e32 v13, v9
	v_min_u32_e32 v13, 32, v13
	s_delay_alu instid0(VALU_DEP_1) | instskip(NEXT) | instid1(VALU_DEP_1)
	v_subrev_nc_u32_e32 v14, 29, v13
	v_lshlrev_b64_e32 v[14:15], v14, v[0:1]
	v_bfe_u32 v15, v11, 2, 5
	v_dual_lshlrev_b32 v1, 24, v11 :: v_dual_sub_nc_u32 v13, 30, v13
	s_delay_alu instid0(VALU_DEP_2) | instskip(NEXT) | instid1(VALU_DEP_2)
	v_cmp_eq_u32_e64 s13, 0, v15
	v_and_b32_e32 v1, 0x80000000, v1
	s_delay_alu instid0(VALU_DEP_2) | instskip(SKIP_1) | instid1(VALU_DEP_2)
	v_dual_cndmask_b32 v13, v15, v13, s13 :: v_dual_bitop2_b32 v14, 3, v14 bitop3:0x40
	v_bfe_i32 v15, v11, 0, 8
	v_cndmask_b32_e64 v14, v9, v14, s13
	s_delay_alu instid0(VALU_DEP_3) | instskip(NEXT) | instid1(VALU_DEP_3)
	v_lshl_add_u32 v1, v13, 23, v1
	v_cmp_lt_i16_e64 s13, -1, v15
	v_mov_b32_e32 v13, 0x7f800000
	s_delay_alu instid0(VALU_DEP_3) | instskip(SKIP_1) | instid1(VALU_DEP_3)
	v_lshl_or_b32 v1, v14, 21, v1
	v_and_b32_e32 v14, 0x7c, v11
	v_cndmask_b32_e64 v13, 0xff800000, v13, s13
	v_cmp_eq_u32_e64 s13, 0, v9
	s_delay_alu instid0(VALU_DEP_4) | instskip(NEXT) | instid1(VALU_DEP_2)
	v_add_nc_u32_e32 v1, 0x38000000, v1
	v_cndmask_b32_e64 v9, 0x7f800001, v13, s13
	v_cmp_eq_u32_e64 s13, 0x7c, v14
	s_delay_alu instid0(VALU_DEP_1)
	v_cndmask_b32_e64 v9, v1, v9, s13
.LBB6_12783:                            ;   in Loop: Header=BB6_12353 Depth=3
	s_or_b32 exec_lo, exec_lo, s14
	s_delay_alu instid0(VALU_DEP_1) | instskip(NEXT) | instid1(VALU_DEP_1)
	v_dual_mul_f32 v9, v12, v9 :: v_dual_mov_b32 v15, v21
	v_dual_mov_b32 v13, v21 :: v_dual_lshrrev_b32 v1, 24, v9
	v_and_b32_e32 v14, 0x7f800000, v9
	v_and_b32_e32 v12, 0x7fffff, v9
	s_delay_alu instid0(VALU_DEP_2) | instskip(SKIP_1) | instid1(SALU_CYCLE_1)
	v_cmp_ne_u64_e64 s13, 0x7f800000, v[14:15]
                                        ; implicit-def: $vgpr14
	s_and_saveexec_b32 s14, s13
	s_xor_b32 s72, exec_lo, s14
	s_cbranch_execz .LBB6_12797
; %bb.12784:                            ;   in Loop: Header=BB6_12353 Depth=3
	v_and_b32_e32 v14, 0x7fffffff, v9
	v_mov_b32_e32 v15, v21
	v_and_b32_e32 v1, 0x80, v1
	s_delay_alu instid0(VALU_DEP_2) | instskip(SKIP_1) | instid1(SALU_CYCLE_1)
	v_cmp_gt_u64_e64 s13, 0x47600001, v[14:15]
                                        ; implicit-def: $vgpr14
	s_and_saveexec_b32 s14, s13
	s_xor_b32 s73, exec_lo, s14
	s_cbranch_execz .LBB6_12794
; %bb.12785:                            ;   in Loop: Header=BB6_12353 Depth=3
	v_mov_b32_e32 v14, 0
	s_mov_b32 s74, exec_lo
	v_cmpx_ne_u32_e32 0, v9
	s_cbranch_execz .LBB6_12793
; %bb.12786:                            ;   in Loop: Header=BB6_12353 Depth=3
	v_bfe_u32 v9, v9, 23, 8
	v_or_b32_e32 v38, 0x800000, v12
	s_delay_alu instid0(VALU_DEP_2) | instskip(SKIP_1) | instid1(VALU_DEP_1)
	v_sub_nc_u32_e32 v14, 0x71, v9
	v_cmp_gt_u32_e64 s13, 0x72, v9
	v_cndmask_b32_e64 v14, 0, v14, s13
	v_cmp_eq_u32_e64 s13, 0, v9
	s_delay_alu instid0(VALU_DEP_1) | instskip(NEXT) | instid1(VALU_DEP_1)
	v_cndmask_b32_e64 v37, v14, 0x70, s13
	v_dual_cndmask_b32 v12, v38, v12, s13 :: v_dual_add_nc_u32 v14, 21, v37
	v_add_nc_u32_e32 v39, 20, v37
	s_delay_alu instid0(VALU_DEP_2) | instskip(NEXT) | instid1(VALU_DEP_2)
	v_lshlrev_b64_e64 v[14:15], v14, -1
	v_lshlrev_b64_e64 v[38:39], v39, 1
	s_delay_alu instid0(VALU_DEP_2) | instskip(SKIP_1) | instid1(VALU_DEP_4)
	v_bfi_b32 v14, v14, 0, v12
	v_lshrrev_b64 v[12:13], v37, v[12:13]
	v_bfi_b32 v15, v15, 0, 0
	s_delay_alu instid0(VALU_DEP_1) | instskip(NEXT) | instid1(VALU_DEP_3)
	v_cmp_eq_u64_e64 s14, v[14:15], v[38:39]
	v_mov_b64_e32 v[14:15], v[12:13]
	s_and_saveexec_b32 s75, s14
; %bb.12787:                            ;   in Loop: Header=BB6_12353 Depth=3
	v_bfe_u32 v14, v12, 21, 1
	v_mov_b32_e32 v15, v21
	s_delay_alu instid0(VALU_DEP_1) | instskip(NEXT) | instid1(VALU_DEP_1)
	v_add_nc_u64_e32 v[14:15], v[12:13], v[14:15]
	v_add_nc_u64_e32 v[14:15], -1, v[14:15]
; %bb.12788:                            ;   in Loop: Header=BB6_12353 Depth=3
	s_or_b32 exec_lo, exec_lo, s75
	v_add_nc_u32_e32 v9, 0xffffff81, v9
	v_lshrrev_b32_e32 v13, 23, v12
	s_mov_b32 s14, exec_lo
	s_delay_alu instid0(VALU_DEP_2) | instskip(NEXT) | instid1(VALU_DEP_1)
	v_cndmask_b32_e64 v9, v9, 0xffffff82, s13
	v_add3_u32 v15, v37, v9, v13
	v_and_b32_e32 v9, 0x1fffff, v14
	s_delay_alu instid0(VALU_DEP_2) | instskip(NEXT) | instid1(VALU_DEP_2)
	v_dual_mov_b32 v13, v21 :: v_dual_add_nc_u32 v14, 14, v15
	v_add_nc_u32_e32 v12, v9, v12
                                        ; implicit-def: $vgpr9
	s_delay_alu instid0(VALU_DEP_2)
	v_cmpx_ne_u32_e32 0, v14
	s_xor_b32 s14, exec_lo, s14
; %bb.12789:                            ;   in Loop: Header=BB6_12353 Depth=3
	s_delay_alu instid0(VALU_DEP_2) | instskip(SKIP_1) | instid1(VALU_DEP_1)
	v_cmp_lt_u64_e64 s13, 0xffffff, v[12:13]
	v_add_nc_u32_e32 v9, 15, v15
	v_cndmask_b32_e64 v9, v14, v9, s13
	v_cndmask_b32_e64 v14, 0, 1, s13
	s_delay_alu instid0(VALU_DEP_1)
	v_lshrrev_b64 v[12:13], v14, v[12:13]
; %bb.12790:                            ;   in Loop: Header=BB6_12353 Depth=3
	s_and_not1_saveexec_b32 s13, s14
; %bb.12791:                            ;   in Loop: Header=BB6_12353 Depth=3
	s_delay_alu instid0(VALU_DEP_1)
	v_bfe_u32 v9, v12, 23, 1
; %bb.12792:                            ;   in Loop: Header=BB6_12353 Depth=3
	s_or_b32 exec_lo, exec_lo, s13
	s_delay_alu instid0(VALU_DEP_2) | instskip(NEXT) | instid1(VALU_DEP_2)
	v_lshrrev_b64 v[12:13], 21, v[12:13]
	v_cmp_gt_i32_e64 s13, 32, v9
	v_min_i32_e32 v14, 31, v9
	v_cmp_eq_u32_e64 s14, 0, v9
	s_delay_alu instid0(VALU_DEP_2) | instskip(SKIP_1) | instid1(VALU_DEP_2)
	v_dual_cndmask_b32 v12, 3, v12, s13 :: v_dual_lshlrev_b32 v14, 2, v14
	v_cndmask_b32_e64 v13, 0, v13, s13
	v_and_b32_e32 v14, 0xfc, v14
	s_delay_alu instid0(VALU_DEP_2) | instskip(NEXT) | instid1(VALU_DEP_2)
	v_cmp_eq_u64_e64 s13, 0, v[12:13]
	v_and_or_b32 v9, v12, 3, v14
	s_and_b32 s13, s14, s13
	s_delay_alu instid0(VALU_DEP_1) | instid1(SALU_CYCLE_1)
	v_cndmask_b32_e64 v9, v9, 0, s13
	s_delay_alu instid0(VALU_DEP_1)
	v_or_b32_e32 v14, v9, v1
.LBB6_12793:                            ;   in Loop: Header=BB6_12353 Depth=3
	s_or_b32 exec_lo, exec_lo, s74
                                        ; implicit-def: $vgpr1
.LBB6_12794:                            ;   in Loop: Header=BB6_12353 Depth=3
	s_and_not1_saveexec_b32 s13, s73
; %bb.12795:                            ;   in Loop: Header=BB6_12353 Depth=3
	v_or_b32_e32 v14, 0x7b, v1
; %bb.12796:                            ;   in Loop: Header=BB6_12353 Depth=3
	s_or_b32 exec_lo, exec_lo, s13
                                        ; implicit-def: $vgpr9
                                        ; implicit-def: $vgpr12_vgpr13
                                        ; implicit-def: $vgpr1
.LBB6_12797:                            ;   in Loop: Header=BB6_12353 Depth=3
	s_and_not1_saveexec_b32 s14, s72
	s_cbranch_execz .LBB6_12803
; %bb.12798:                            ;   in Loop: Header=BB6_12353 Depth=3
	v_cmp_ne_u64_e64 s13, 0, v[12:13]
                                        ; implicit-def: $vgpr14
	s_and_saveexec_b32 s72, s13
	s_delay_alu instid0(SALU_CYCLE_1)
	s_xor_b32 s13, exec_lo, s72
; %bb.12799:                            ;   in Loop: Header=BB6_12353 Depth=3
	v_or_b32_e32 v14, 0x7f, v1
                                        ; implicit-def: $vgpr9
; %bb.12800:                            ;   in Loop: Header=BB6_12353 Depth=3
	s_and_not1_saveexec_b32 s72, s13
; %bb.12801:                            ;   in Loop: Header=BB6_12353 Depth=3
	v_cmp_lt_i32_e64 s13, -1, v9
	v_mov_b32_e32 v1, 0x7c
	s_delay_alu instid0(VALU_DEP_1)
	v_cndmask_b32_e64 v14, 0xfc, v1, s13
; %bb.12802:                            ;   in Loop: Header=BB6_12353 Depth=3
	s_or_b32 exec_lo, exec_lo, s72
.LBB6_12803:                            ;   in Loop: Header=BB6_12353 Depth=3
	s_delay_alu instid0(SALU_CYCLE_1) | instskip(SKIP_3) | instid1(VALU_DEP_2)
	s_or_b32 exec_lo, exec_lo, s14
	v_lshrrev_b16 v12, 8, v8
	v_mov_b32_e32 v1, 0
	s_mov_b32 s14, exec_lo
	v_cmpx_ne_u16_e32 0, v12
	s_cbranch_execz .LBB6_12813
; %bb.12804:                            ;   in Loop: Header=BB6_12353 Depth=3
	v_bfrev_b32_e32 v1, 1
	s_mov_b32 s72, exec_lo
	v_cmpx_ne_u16_e32 0x80, v12
	s_cbranch_execz .LBB6_12812
; %bb.12805:                            ;   in Loop: Header=BB6_12353 Depth=3
	v_and_b32_e32 v9, 0xffff, v12
	s_delay_alu instid0(VALU_DEP_1) | instskip(SKIP_1) | instid1(VALU_DEP_2)
	v_and_b32_e32 v1, 0x7c, v9
	v_and_b32_e32 v13, 3, v9
	v_cmp_ne_u32_e64 s13, 0x7c, v1
                                        ; implicit-def: $vgpr1
	s_and_saveexec_b32 s73, s13
	s_delay_alu instid0(SALU_CYCLE_1)
	s_xor_b32 s73, exec_lo, s73
	s_cbranch_execz .LBB6_12809
; %bb.12806:                            ;   in Loop: Header=BB6_12353 Depth=3
	v_bfe_u32 v1, v9, 2, 5
	s_mov_b32 s74, exec_lo
	s_delay_alu instid0(VALU_DEP_1)
	v_cmpx_eq_u32_e32 0, v1
	s_cbranch_execz .LBB6_12808
; %bb.12807:                            ;   in Loop: Header=BB6_12353 Depth=3
	v_clz_i32_u32_e32 v1, v13
	s_delay_alu instid0(VALU_DEP_1) | instskip(SKIP_1) | instid1(VALU_DEP_2)
	v_min_u32_e32 v1, 32, v1
	v_mov_b32_e32 v13, v21
	v_subrev_nc_u32_e32 v9, 29, v1
	v_sub_nc_u32_e32 v1, 30, v1
	s_delay_alu instid0(VALU_DEP_2) | instskip(NEXT) | instid1(VALU_DEP_1)
	v_lshlrev_b64_e32 v[12:13], v9, v[12:13]
	v_and_b32_e32 v13, 3, v12
.LBB6_12808:                            ;   in Loop: Header=BB6_12353 Depth=3
	s_or_b32 exec_lo, exec_lo, s74
	v_lshlrev_b32_e32 v8, 16, v8
	s_delay_alu instid0(VALU_DEP_1) | instskip(NEXT) | instid1(VALU_DEP_1)
	v_and_b32_e32 v8, 0x80000000, v8
	v_lshl_add_u32 v1, v1, 23, v8
                                        ; implicit-def: $vgpr8_vgpr9
	s_delay_alu instid0(VALU_DEP_1) | instskip(NEXT) | instid1(VALU_DEP_1)
	v_lshl_or_b32 v1, v13, 21, v1
                                        ; implicit-def: $vgpr13
	v_add_nc_u32_e32 v1, 0x38000000, v1
.LBB6_12809:                            ;   in Loop: Header=BB6_12353 Depth=3
	s_and_not1_saveexec_b32 s73, s73
; %bb.12810:                            ;   in Loop: Header=BB6_12353 Depth=3
	v_cmp_lt_i16_e64 s13, -1, v8
	v_mov_b32_e32 v1, 0x7f800000
	s_delay_alu instid0(VALU_DEP_1) | instskip(SKIP_1) | instid1(VALU_DEP_1)
	v_cndmask_b32_e64 v1, 0xff800000, v1, s13
	v_cmp_eq_u32_e64 s13, 0, v13
	v_cndmask_b32_e64 v1, 0x7f800001, v1, s13
; %bb.12811:                            ;   in Loop: Header=BB6_12353 Depth=3
	s_or_b32 exec_lo, exec_lo, s73
.LBB6_12812:                            ;   in Loop: Header=BB6_12353 Depth=3
	s_delay_alu instid0(SALU_CYCLE_1)
	s_or_b32 exec_lo, exec_lo, s72
.LBB6_12813:                            ;   in Loop: Header=BB6_12353 Depth=3
	s_delay_alu instid0(SALU_CYCLE_1) | instskip(SKIP_3) | instid1(VALU_DEP_1)
	s_or_b32 exec_lo, exec_lo, s14
	v_lshrrev_b16 v8, 8, v0
	s_mov_b32 s72, 0
	s_mov_b32 s14, exec_lo
	v_cmpx_lt_i16_e32 0x7f, v8
	s_xor_b32 s14, exec_lo, s14
	s_cbranch_execz .LBB6_12924
; %bb.12814:                            ;   in Loop: Header=BB6_12353 Depth=3
	s_mov_b32 s72, -1
	s_mov_b32 s73, exec_lo
	v_cmpx_eq_u16_e32 0x80, v8
; %bb.12815:                            ;   in Loop: Header=BB6_12353 Depth=3
	s_xor_b32 s72, exec_lo, -1
; %bb.12816:                            ;   in Loop: Header=BB6_12353 Depth=3
	s_or_b32 exec_lo, exec_lo, s73
	s_delay_alu instid0(SALU_CYCLE_1)
	s_and_b32 s72, s72, exec_lo
	s_or_saveexec_b32 s14, s14
	v_bfrev_b32_e32 v9, 1
	s_xor_b32 exec_lo, exec_lo, s14
	s_cbranch_execnz .LBB6_12925
.LBB6_12817:                            ;   in Loop: Header=BB6_12353 Depth=3
	s_or_b32 exec_lo, exec_lo, s14
	s_and_saveexec_b32 s14, s72
	s_cbranch_execz .LBB6_12819
.LBB6_12818:                            ;   in Loop: Header=BB6_12353 Depth=3
	v_and_b32_e32 v15, 0xffff, v8
	s_delay_alu instid0(VALU_DEP_1) | instskip(NEXT) | instid1(VALU_DEP_1)
	v_and_b32_e32 v37, 3, v15
	v_clz_i32_u32_e32 v9, v37
	s_delay_alu instid0(VALU_DEP_1) | instskip(SKIP_1) | instid1(VALU_DEP_2)
	v_min_u32_e32 v38, 32, v9
	v_mov_b32_e32 v9, v21
	v_subrev_nc_u32_e32 v12, 29, v38
	s_delay_alu instid0(VALU_DEP_1) | instskip(SKIP_2) | instid1(VALU_DEP_2)
	v_lshlrev_b64_e32 v[12:13], v12, v[8:9]
	v_bfe_u32 v9, v15, 2, 5
	v_dual_lshlrev_b32 v8, 24, v8 :: v_dual_sub_nc_u32 v13, 30, v38
	v_cmp_eq_u32_e64 s13, 0, v9
	s_delay_alu instid0(VALU_DEP_2) | instskip(NEXT) | instid1(VALU_DEP_2)
	v_and_b32_e32 v8, 0x80000000, v8
	v_dual_cndmask_b32 v9, v9, v13, s13 :: v_dual_bitop2_b32 v12, 3, v12 bitop3:0x40
	s_delay_alu instid0(VALU_DEP_1) | instskip(SKIP_2) | instid1(VALU_DEP_4)
	v_cndmask_b32_e64 v12, v37, v12, s13
	v_cmp_lt_i16_e64 s13, -1, v0
	v_mov_b32_e32 v0, 0x7f800000
	v_lshl_add_u32 v8, v9, 23, v8
	v_and_b32_e32 v9, 0x7c, v15
	s_delay_alu instid0(VALU_DEP_3) | instskip(NEXT) | instid1(VALU_DEP_3)
	v_cndmask_b32_e64 v0, 0xff800000, v0, s13
	v_lshl_or_b32 v8, v12, 21, v8
	v_cmp_eq_u32_e64 s13, 0, v37
	s_delay_alu instid0(VALU_DEP_2) | instskip(NEXT) | instid1(VALU_DEP_2)
	v_add_nc_u32_e32 v8, 0x38000000, v8
	v_cndmask_b32_e64 v0, 0x7f800001, v0, s13
	v_cmp_eq_u32_e64 s13, 0x7c, v9
	s_delay_alu instid0(VALU_DEP_1)
	v_cndmask_b32_e64 v9, v8, v0, s13
.LBB6_12819:                            ;   in Loop: Header=BB6_12353 Depth=3
	s_or_b32 exec_lo, exec_lo, s14
	s_delay_alu instid0(VALU_DEP_1) | instskip(SKIP_1) | instid1(VALU_DEP_2)
	v_mul_f32_e32 v8, v1, v9
	v_dual_mov_b32 v13, v21 :: v_dual_mov_b32 v1, v21
	v_and_b32_e32 v12, 0x7f800000, v8
	v_and_b32_e32 v0, 0x7fffff, v8
	v_lshrrev_b32_e32 v9, 24, v8
	s_delay_alu instid0(VALU_DEP_3) | instskip(SKIP_1) | instid1(SALU_CYCLE_1)
	v_cmp_ne_u64_e64 s13, 0x7f800000, v[12:13]
                                        ; implicit-def: $vgpr12
	s_and_saveexec_b32 s14, s13
	s_xor_b32 s72, exec_lo, s14
	s_cbranch_execz .LBB6_12833
; %bb.12820:                            ;   in Loop: Header=BB6_12353 Depth=3
	v_and_b32_e32 v12, 0x7fffffff, v8
	v_mov_b32_e32 v13, v21
	s_delay_alu instid0(VALU_DEP_1) | instskip(SKIP_2) | instid1(SALU_CYCLE_1)
	v_cmp_gt_u64_e64 s13, 0x47600001, v[12:13]
	v_and_b32_e32 v13, 0x80, v9
                                        ; implicit-def: $vgpr12
	s_and_saveexec_b32 s14, s13
	s_xor_b32 s73, exec_lo, s14
	s_cbranch_execz .LBB6_12830
; %bb.12821:                            ;   in Loop: Header=BB6_12353 Depth=3
	v_mov_b32_e32 v12, 0
	s_mov_b32 s74, exec_lo
	v_cmpx_ne_u32_e32 0, v8
	s_cbranch_execz .LBB6_12829
; %bb.12822:                            ;   in Loop: Header=BB6_12353 Depth=3
	v_bfe_u32 v12, v8, 23, 8
	v_or_b32_e32 v37, 0x800000, v0
	s_delay_alu instid0(VALU_DEP_2) | instskip(SKIP_1) | instid1(VALU_DEP_1)
	v_sub_nc_u32_e32 v8, 0x71, v12
	v_cmp_gt_u32_e64 s13, 0x72, v12
	v_cndmask_b32_e64 v8, 0, v8, s13
	v_cmp_eq_u32_e64 s13, 0, v12
	s_delay_alu instid0(VALU_DEP_1) | instskip(NEXT) | instid1(VALU_DEP_1)
	v_cndmask_b32_e64 v15, v8, 0x70, s13
	v_dual_cndmask_b32 v0, v37, v0, s13 :: v_dual_add_nc_u32 v8, 21, v15
	v_add_nc_u32_e32 v38, 20, v15
	s_delay_alu instid0(VALU_DEP_2) | instskip(NEXT) | instid1(VALU_DEP_2)
	v_lshlrev_b64_e64 v[8:9], v8, -1
	v_lshlrev_b64_e64 v[38:39], v38, 1
	s_delay_alu instid0(VALU_DEP_2) | instskip(SKIP_1) | instid1(VALU_DEP_4)
	v_bfi_b32 v8, v8, 0, v0
	v_lshrrev_b64 v[0:1], v15, v[0:1]
	v_bfi_b32 v9, v9, 0, 0
	s_delay_alu instid0(VALU_DEP_1) | instskip(NEXT) | instid1(VALU_DEP_3)
	v_cmp_eq_u64_e64 s14, v[8:9], v[38:39]
	v_mov_b64_e32 v[8:9], v[0:1]
	s_and_saveexec_b32 s75, s14
; %bb.12823:                            ;   in Loop: Header=BB6_12353 Depth=3
	v_bfe_u32 v8, v0, 21, 1
	v_mov_b32_e32 v9, v21
	s_delay_alu instid0(VALU_DEP_1) | instskip(NEXT) | instid1(VALU_DEP_1)
	v_add_nc_u64_e32 v[8:9], v[0:1], v[8:9]
	v_add_nc_u64_e32 v[8:9], -1, v[8:9]
; %bb.12824:                            ;   in Loop: Header=BB6_12353 Depth=3
	s_or_b32 exec_lo, exec_lo, s75
	v_add_nc_u32_e32 v1, 0xffffff81, v12
	v_lshrrev_b32_e32 v9, 23, v0
	s_mov_b32 s14, exec_lo
	s_delay_alu instid0(VALU_DEP_2) | instskip(NEXT) | instid1(VALU_DEP_1)
	v_cndmask_b32_e64 v1, v1, 0xffffff82, s13
	v_add3_u32 v9, v15, v1, v9
	v_and_b32_e32 v1, 0x1fffff, v8
                                        ; implicit-def: $vgpr8
	s_delay_alu instid0(VALU_DEP_1) | instskip(SKIP_1) | instid1(VALU_DEP_2)
	v_dual_add_nc_u32 v12, 14, v9 :: v_dual_add_nc_u32 v0, v1, v0
	v_mov_b32_e32 v1, v21
	v_cmpx_ne_u32_e32 0, v12
	s_xor_b32 s14, exec_lo, s14
; %bb.12825:                            ;   in Loop: Header=BB6_12353 Depth=3
	s_delay_alu instid0(VALU_DEP_2) | instskip(SKIP_1) | instid1(VALU_DEP_2)
	v_cmp_lt_u64_e64 s13, 0xffffff, v[0:1]
	v_add_nc_u32_e32 v8, 15, v9
	v_cndmask_b32_e64 v9, 0, 1, s13
	s_delay_alu instid0(VALU_DEP_2) | instskip(NEXT) | instid1(VALU_DEP_2)
	v_cndmask_b32_e64 v8, v12, v8, s13
	v_lshrrev_b64 v[0:1], v9, v[0:1]
; %bb.12826:                            ;   in Loop: Header=BB6_12353 Depth=3
	s_and_not1_saveexec_b32 s13, s14
; %bb.12827:                            ;   in Loop: Header=BB6_12353 Depth=3
	s_delay_alu instid0(VALU_DEP_1)
	v_bfe_u32 v8, v0, 23, 1
; %bb.12828:                            ;   in Loop: Header=BB6_12353 Depth=3
	s_or_b32 exec_lo, exec_lo, s13
	s_delay_alu instid0(VALU_DEP_2) | instskip(NEXT) | instid1(VALU_DEP_2)
	v_lshrrev_b64 v[0:1], 21, v[0:1]
	v_cmp_gt_i32_e64 s13, 32, v8
	v_min_i32_e32 v9, 31, v8
	v_cmp_eq_u32_e64 s14, 0, v8
	s_delay_alu instid0(VALU_DEP_3) | instskip(NEXT) | instid1(VALU_DEP_3)
	v_cndmask_b32_e64 v1, 0, v1, s13
	v_dual_lshlrev_b32 v9, 2, v9 :: v_dual_cndmask_b32 v0, 3, v0, s13
	s_delay_alu instid0(VALU_DEP_1) | instskip(NEXT) | instid1(VALU_DEP_2)
	v_and_b32_e32 v9, 0xfc, v9
	v_cmp_eq_u64_e64 s13, 0, v[0:1]
	s_delay_alu instid0(VALU_DEP_2)
	v_and_or_b32 v0, v0, 3, v9
	s_and_b32 s13, s14, s13
	s_delay_alu instid0(VALU_DEP_1) | instid1(SALU_CYCLE_1)
	v_cndmask_b32_e64 v0, v0, 0, s13
	s_delay_alu instid0(VALU_DEP_1)
	v_or_b32_e32 v12, v0, v13
.LBB6_12829:                            ;   in Loop: Header=BB6_12353 Depth=3
	s_or_b32 exec_lo, exec_lo, s74
                                        ; implicit-def: $vgpr13
.LBB6_12830:                            ;   in Loop: Header=BB6_12353 Depth=3
	s_and_not1_saveexec_b32 s13, s73
; %bb.12831:                            ;   in Loop: Header=BB6_12353 Depth=3
	v_or_b32_e32 v12, 0x7b, v13
; %bb.12832:                            ;   in Loop: Header=BB6_12353 Depth=3
	s_or_b32 exec_lo, exec_lo, s13
                                        ; implicit-def: $vgpr8
                                        ; implicit-def: $vgpr0_vgpr1
                                        ; implicit-def: $vgpr9
.LBB6_12833:                            ;   in Loop: Header=BB6_12353 Depth=3
	s_and_not1_saveexec_b32 s14, s72
	s_cbranch_execz .LBB6_12839
; %bb.12834:                            ;   in Loop: Header=BB6_12353 Depth=3
	v_cmp_ne_u64_e64 s13, 0, v[0:1]
                                        ; implicit-def: $vgpr12
	s_and_saveexec_b32 s72, s13
	s_delay_alu instid0(SALU_CYCLE_1)
	s_xor_b32 s13, exec_lo, s72
; %bb.12835:                            ;   in Loop: Header=BB6_12353 Depth=3
	v_or_b32_e32 v12, 0x7f, v9
                                        ; implicit-def: $vgpr8
; %bb.12836:                            ;   in Loop: Header=BB6_12353 Depth=3
	s_and_not1_saveexec_b32 s72, s13
; %bb.12837:                            ;   in Loop: Header=BB6_12353 Depth=3
	v_cmp_lt_i32_e64 s13, -1, v8
	v_mov_b32_e32 v0, 0x7c
	s_delay_alu instid0(VALU_DEP_1)
	v_cndmask_b32_e64 v12, 0xfc, v0, s13
; %bb.12838:                            ;   in Loop: Header=BB6_12353 Depth=3
	s_or_b32 exec_lo, exec_lo, s72
.LBB6_12839:                            ;   in Loop: Header=BB6_12353 Depth=3
	s_delay_alu instid0(SALU_CYCLE_1) | instskip(SKIP_2) | instid1(VALU_DEP_1)
	s_or_b32 exec_lo, exec_lo, s14
	v_dual_mov_b32 v1, 0 :: v_dual_lshrrev_b32 v0, 16, v3
	s_mov_b32 s14, exec_lo
	v_and_b32_e32 v8, 0xff, v0
	s_delay_alu instid0(VALU_DEP_1)
	v_cmpx_ne_u16_e32 0, v8
	s_cbranch_execz .LBB6_12849
; %bb.12840:                            ;   in Loop: Header=BB6_12353 Depth=3
	v_bfrev_b32_e32 v1, 1
	s_mov_b32 s72, exec_lo
	v_cmpx_ne_u16_e32 0x80, v8
	s_cbranch_execz .LBB6_12848
; %bb.12841:                            ;   in Loop: Header=BB6_12353 Depth=3
	v_and_b32_e32 v1, 0x7c0000, v3
	v_bfe_u32 v8, v3, 16, 2
	s_delay_alu instid0(VALU_DEP_2) | instskip(SKIP_1) | instid1(SALU_CYCLE_1)
	v_cmp_ne_u32_e64 s13, 0x7c0000, v1
                                        ; implicit-def: $vgpr1
	s_and_saveexec_b32 s73, s13
	s_xor_b32 s73, exec_lo, s73
	s_cbranch_execz .LBB6_12845
; %bb.12842:                            ;   in Loop: Header=BB6_12353 Depth=3
	v_bfe_u32 v1, v3, 18, 5
	s_mov_b32 s74, exec_lo
	s_delay_alu instid0(VALU_DEP_1)
	v_cmpx_eq_u32_e32 0, v1
; %bb.12843:                            ;   in Loop: Header=BB6_12353 Depth=3
	v_clz_i32_u32_e32 v1, v8
	s_delay_alu instid0(VALU_DEP_1) | instskip(NEXT) | instid1(VALU_DEP_1)
	v_min_u32_e32 v1, 32, v1
	v_subrev_nc_u32_e32 v8, 29, v1
	s_delay_alu instid0(VALU_DEP_1) | instskip(NEXT) | instid1(VALU_DEP_1)
	v_lshlrev_b64_e32 v[8:9], v8, v[0:1]
	v_dual_sub_nc_u32 v1, 30, v1 :: v_dual_bitop2_b32 v8, 3, v8 bitop3:0x40
; %bb.12844:                            ;   in Loop: Header=BB6_12353 Depth=3
	s_or_b32 exec_lo, exec_lo, s74
	v_lshlrev_b32_e32 v0, 24, v0
	s_delay_alu instid0(VALU_DEP_1) | instskip(NEXT) | instid1(VALU_DEP_1)
	v_and_b32_e32 v0, 0x80000000, v0
	v_lshl_add_u32 v0, v1, 23, v0
	s_delay_alu instid0(VALU_DEP_1) | instskip(NEXT) | instid1(VALU_DEP_1)
	v_lshl_or_b32 v0, v8, 21, v0
                                        ; implicit-def: $vgpr8
	v_add_nc_u32_e32 v1, 0x38000000, v0
                                        ; implicit-def: $vgpr0
.LBB6_12845:                            ;   in Loop: Header=BB6_12353 Depth=3
	s_and_not1_saveexec_b32 s73, s73
; %bb.12846:                            ;   in Loop: Header=BB6_12353 Depth=3
	v_bfe_i32 v0, v0, 0, 8
	s_delay_alu instid0(VALU_DEP_1) | instskip(SKIP_1) | instid1(VALU_DEP_1)
	v_cmp_lt_i16_e64 s13, -1, v0
	v_mov_b32_e32 v0, 0x7f800000
	v_cndmask_b32_e64 v0, 0xff800000, v0, s13
	v_cmp_eq_u32_e64 s13, 0, v8
	s_delay_alu instid0(VALU_DEP_1)
	v_cndmask_b32_e64 v1, 0x7f800001, v0, s13
; %bb.12847:                            ;   in Loop: Header=BB6_12353 Depth=3
	s_or_b32 exec_lo, exec_lo, s73
.LBB6_12848:                            ;   in Loop: Header=BB6_12353 Depth=3
	s_delay_alu instid0(SALU_CYCLE_1)
	s_or_b32 exec_lo, exec_lo, s72
.LBB6_12849:                            ;   in Loop: Header=BB6_12353 Depth=3
	s_delay_alu instid0(SALU_CYCLE_1) | instskip(SKIP_3) | instid1(VALU_DEP_1)
	s_or_b32 exec_lo, exec_lo, s14
	v_lshrrev_b32_e32 v0, 16, v11
	s_mov_b32 s72, 0
	s_mov_b32 s14, exec_lo
	v_and_b32_e32 v9, 0xff, v0
	s_delay_alu instid0(VALU_DEP_1)
	v_cmpx_lt_i16_e32 0x7f, v9
	s_xor_b32 s14, exec_lo, s14
	s_cbranch_execz .LBB6_12926
; %bb.12850:                            ;   in Loop: Header=BB6_12353 Depth=3
	s_mov_b32 s72, -1
	s_mov_b32 s73, exec_lo
	v_cmpx_eq_u16_e32 0x80, v9
; %bb.12851:                            ;   in Loop: Header=BB6_12353 Depth=3
	s_xor_b32 s72, exec_lo, -1
; %bb.12852:                            ;   in Loop: Header=BB6_12353 Depth=3
	s_or_b32 exec_lo, exec_lo, s73
	s_delay_alu instid0(SALU_CYCLE_1)
	s_and_b32 s72, s72, exec_lo
                                        ; implicit-def: $vgpr9
	s_or_saveexec_b32 s14, s14
	v_bfrev_b32_e32 v8, 1
	s_xor_b32 exec_lo, exec_lo, s14
	s_cbranch_execnz .LBB6_12927
.LBB6_12853:                            ;   in Loop: Header=BB6_12353 Depth=3
	s_or_b32 exec_lo, exec_lo, s14
	s_and_saveexec_b32 s14, s72
	s_cbranch_execz .LBB6_12855
.LBB6_12854:                            ;   in Loop: Header=BB6_12353 Depth=3
	v_and_b32_e32 v13, 3, v0
	v_bfe_u32 v37, v11, 18, 5
	s_delay_alu instid0(VALU_DEP_2) | instskip(NEXT) | instid1(VALU_DEP_2)
	v_clz_i32_u32_e32 v8, v13
	v_cmp_eq_u32_e64 s13, 0, v37
	s_delay_alu instid0(VALU_DEP_2) | instskip(NEXT) | instid1(VALU_DEP_1)
	v_min_u32_e32 v15, 32, v8
	v_subrev_nc_u32_e32 v8, 29, v15
	s_delay_alu instid0(VALU_DEP_1) | instskip(SKIP_2) | instid1(VALU_DEP_2)
	v_lshlrev_b64_e32 v[8:9], v8, v[0:1]
	v_dual_lshlrev_b32 v9, 24, v0 :: v_dual_sub_nc_u32 v15, 30, v15
	v_bfe_i32 v0, v0, 0, 8
	v_and_b32_e32 v9, 0x80000000, v9
	s_delay_alu instid0(VALU_DEP_3) | instskip(NEXT) | instid1(VALU_DEP_1)
	v_dual_cndmask_b32 v15, v37, v15, s13 :: v_dual_bitop2_b32 v8, 3, v8 bitop3:0x40
	v_cndmask_b32_e64 v8, v13, v8, s13
	s_delay_alu instid0(VALU_DEP_2) | instskip(SKIP_2) | instid1(VALU_DEP_3)
	v_lshl_add_u32 v9, v15, 23, v9
	v_cmp_lt_i16_e64 s13, -1, v0
	v_mov_b32_e32 v0, 0x7f800000
	v_lshl_or_b32 v8, v8, 21, v9
	v_and_b32_e32 v9, 0x7c0000, v11
	s_delay_alu instid0(VALU_DEP_3) | instskip(SKIP_1) | instid1(VALU_DEP_4)
	v_cndmask_b32_e64 v0, 0xff800000, v0, s13
	v_cmp_eq_u32_e64 s13, 0, v13
	v_add_nc_u32_e32 v8, 0x38000000, v8
	s_delay_alu instid0(VALU_DEP_2) | instskip(SKIP_1) | instid1(VALU_DEP_1)
	v_cndmask_b32_e64 v0, 0x7f800001, v0, s13
	v_cmp_eq_u32_e64 s13, 0x7c0000, v9
	v_cndmask_b32_e64 v8, v8, v0, s13
.LBB6_12855:                            ;   in Loop: Header=BB6_12353 Depth=3
	s_or_b32 exec_lo, exec_lo, s14
	s_delay_alu instid0(VALU_DEP_1) | instskip(SKIP_2) | instid1(VALU_DEP_2)
	v_mul_f32_e32 v9, v1, v8
	v_dual_mov_b32 v39, v21 :: v_dual_mov_b32 v1, v21
                                        ; implicit-def: $vgpr8
	s_mov_b32 s14, exec_lo
	v_and_b32_e32 v38, 0x7f800000, v9
	v_and_b32_e32 v0, 0x7fffff, v9
	v_lshrrev_b32_e32 v13, 24, v9
	s_delay_alu instid0(VALU_DEP_3)
	v_cmpx_ne_u64_e32 0x7f800000, v[38:39]
	s_xor_b32 s72, exec_lo, s14
	s_cbranch_execz .LBB6_12869
; %bb.12856:                            ;   in Loop: Header=BB6_12353 Depth=3
	v_and_b32_e32 v38, 0x7fffffff, v9
	v_mov_b32_e32 v39, v21
	v_and_b32_e32 v13, 0x80, v13
                                        ; implicit-def: $vgpr8
	s_mov_b32 s14, exec_lo
	s_delay_alu instid0(VALU_DEP_2)
	v_cmpx_gt_u64_e32 0x47600001, v[38:39]
	s_xor_b32 s73, exec_lo, s14
	s_cbranch_execz .LBB6_12866
; %bb.12857:                            ;   in Loop: Header=BB6_12353 Depth=3
	v_mov_b32_e32 v8, 0
	s_mov_b32 s74, exec_lo
	v_cmpx_ne_u32_e32 0, v9
	s_cbranch_execz .LBB6_12865
; %bb.12858:                            ;   in Loop: Header=BB6_12353 Depth=3
	v_bfe_u32 v15, v9, 23, 8
	v_or_b32_e32 v38, 0x800000, v0
	s_delay_alu instid0(VALU_DEP_2) | instskip(SKIP_1) | instid1(VALU_DEP_1)
	v_sub_nc_u32_e32 v8, 0x71, v15
	v_cmp_gt_u32_e64 s13, 0x72, v15
	v_cndmask_b32_e64 v8, 0, v8, s13
	v_cmp_eq_u32_e64 s13, 0, v15
	s_delay_alu instid0(VALU_DEP_1) | instskip(NEXT) | instid1(VALU_DEP_1)
	v_cndmask_b32_e64 v37, v8, 0x70, s13
	v_dual_cndmask_b32 v0, v38, v0, s13 :: v_dual_add_nc_u32 v8, 21, v37
	v_add_nc_u32_e32 v39, 20, v37
	s_delay_alu instid0(VALU_DEP_2) | instskip(NEXT) | instid1(VALU_DEP_2)
	v_lshlrev_b64_e64 v[8:9], v8, -1
	v_lshlrev_b64_e64 v[38:39], v39, 1
	s_delay_alu instid0(VALU_DEP_2) | instskip(SKIP_1) | instid1(VALU_DEP_4)
	v_bfi_b32 v8, v8, 0, v0
	v_lshrrev_b64 v[0:1], v37, v[0:1]
	v_bfi_b32 v9, v9, 0, 0
	s_delay_alu instid0(VALU_DEP_1) | instskip(NEXT) | instid1(VALU_DEP_3)
	v_cmp_eq_u64_e64 s14, v[8:9], v[38:39]
	v_mov_b64_e32 v[8:9], v[0:1]
	s_and_saveexec_b32 s75, s14
; %bb.12859:                            ;   in Loop: Header=BB6_12353 Depth=3
	v_bfe_u32 v8, v0, 21, 1
	v_mov_b32_e32 v9, v21
	s_delay_alu instid0(VALU_DEP_1) | instskip(NEXT) | instid1(VALU_DEP_1)
	v_add_nc_u64_e32 v[8:9], v[0:1], v[8:9]
	v_add_nc_u64_e32 v[8:9], -1, v[8:9]
; %bb.12860:                            ;   in Loop: Header=BB6_12353 Depth=3
	s_or_b32 exec_lo, exec_lo, s75
	v_add_nc_u32_e32 v1, 0xffffff81, v15
	v_lshrrev_b32_e32 v9, 23, v0
	s_mov_b32 s14, exec_lo
	s_delay_alu instid0(VALU_DEP_2) | instskip(NEXT) | instid1(VALU_DEP_1)
	v_cndmask_b32_e64 v1, v1, 0xffffff82, s13
	v_add3_u32 v9, v37, v1, v9
	v_and_b32_e32 v1, 0x1fffff, v8
                                        ; implicit-def: $vgpr8
	s_delay_alu instid0(VALU_DEP_1) | instskip(SKIP_1) | instid1(VALU_DEP_2)
	v_dual_add_nc_u32 v15, 14, v9 :: v_dual_add_nc_u32 v0, v1, v0
	v_mov_b32_e32 v1, v21
	v_cmpx_ne_u32_e32 0, v15
	s_xor_b32 s14, exec_lo, s14
; %bb.12861:                            ;   in Loop: Header=BB6_12353 Depth=3
	s_delay_alu instid0(VALU_DEP_2) | instskip(SKIP_1) | instid1(VALU_DEP_2)
	v_cmp_lt_u64_e64 s13, 0xffffff, v[0:1]
	v_add_nc_u32_e32 v8, 15, v9
	v_cndmask_b32_e64 v9, 0, 1, s13
	s_delay_alu instid0(VALU_DEP_2) | instskip(NEXT) | instid1(VALU_DEP_2)
	v_cndmask_b32_e64 v8, v15, v8, s13
	v_lshrrev_b64 v[0:1], v9, v[0:1]
; %bb.12862:                            ;   in Loop: Header=BB6_12353 Depth=3
	s_and_not1_saveexec_b32 s13, s14
; %bb.12863:                            ;   in Loop: Header=BB6_12353 Depth=3
	s_delay_alu instid0(VALU_DEP_1)
	v_bfe_u32 v8, v0, 23, 1
; %bb.12864:                            ;   in Loop: Header=BB6_12353 Depth=3
	s_or_b32 exec_lo, exec_lo, s13
	s_delay_alu instid0(VALU_DEP_2) | instskip(NEXT) | instid1(VALU_DEP_2)
	v_lshrrev_b64 v[0:1], 21, v[0:1]
	v_cmp_gt_i32_e64 s13, 32, v8
	v_min_i32_e32 v9, 31, v8
	v_cmp_eq_u32_e64 s14, 0, v8
	s_delay_alu instid0(VALU_DEP_3) | instskip(NEXT) | instid1(VALU_DEP_3)
	v_cndmask_b32_e64 v1, 0, v1, s13
	v_dual_lshlrev_b32 v9, 2, v9 :: v_dual_cndmask_b32 v0, 3, v0, s13
	s_delay_alu instid0(VALU_DEP_1) | instskip(NEXT) | instid1(VALU_DEP_2)
	v_and_b32_e32 v9, 0xfc, v9
	v_cmp_eq_u64_e64 s13, 0, v[0:1]
	s_delay_alu instid0(VALU_DEP_2)
	v_and_or_b32 v0, v0, 3, v9
	s_and_b32 s13, s14, s13
	s_delay_alu instid0(VALU_DEP_1) | instid1(SALU_CYCLE_1)
	v_cndmask_b32_e64 v0, v0, 0, s13
	s_delay_alu instid0(VALU_DEP_1)
	v_or_b32_e32 v8, v0, v13
.LBB6_12865:                            ;   in Loop: Header=BB6_12353 Depth=3
	s_or_b32 exec_lo, exec_lo, s74
                                        ; implicit-def: $vgpr13
.LBB6_12866:                            ;   in Loop: Header=BB6_12353 Depth=3
	s_and_not1_saveexec_b32 s13, s73
; %bb.12867:                            ;   in Loop: Header=BB6_12353 Depth=3
	v_or_b32_e32 v8, 0x7b, v13
; %bb.12868:                            ;   in Loop: Header=BB6_12353 Depth=3
	s_or_b32 exec_lo, exec_lo, s13
                                        ; implicit-def: $vgpr9
                                        ; implicit-def: $vgpr0_vgpr1
                                        ; implicit-def: $vgpr13
.LBB6_12869:                            ;   in Loop: Header=BB6_12353 Depth=3
	s_and_not1_saveexec_b32 s14, s72
	s_cbranch_execz .LBB6_12875
; %bb.12870:                            ;   in Loop: Header=BB6_12353 Depth=3
	v_cmp_ne_u64_e64 s13, 0, v[0:1]
                                        ; implicit-def: $vgpr8
	s_and_saveexec_b32 s72, s13
	s_delay_alu instid0(SALU_CYCLE_1)
	s_xor_b32 s13, exec_lo, s72
; %bb.12871:                            ;   in Loop: Header=BB6_12353 Depth=3
	v_or_b32_e32 v8, 0x7f, v13
                                        ; implicit-def: $vgpr9
; %bb.12872:                            ;   in Loop: Header=BB6_12353 Depth=3
	s_and_not1_saveexec_b32 s72, s13
; %bb.12873:                            ;   in Loop: Header=BB6_12353 Depth=3
	v_cmp_lt_i32_e64 s13, -1, v9
	v_mov_b32_e32 v0, 0x7c
	s_delay_alu instid0(VALU_DEP_1)
	v_cndmask_b32_e64 v8, 0xfc, v0, s13
; %bb.12874:                            ;   in Loop: Header=BB6_12353 Depth=3
	s_or_b32 exec_lo, exec_lo, s72
.LBB6_12875:                            ;   in Loop: Header=BB6_12353 Depth=3
	s_delay_alu instid0(SALU_CYCLE_1)
	s_or_b32 exec_lo, exec_lo, s14
	v_mov_b32_e32 v1, 0
	s_mov_b32 s14, exec_lo
	v_cmpx_lt_u64_e64 s[22:23], v[2:3]
	s_cbranch_execz .LBB6_12885
; %bb.12876:                            ;   in Loop: Header=BB6_12353 Depth=3
	v_lshrrev_b32_e32 v0, 24, v3
	v_bfrev_b32_e32 v1, 1
	s_mov_b32 s72, exec_lo
	s_delay_alu instid0(VALU_DEP_2)
	v_cmpx_ne_u32_e32 0x80, v0
	s_cbranch_execz .LBB6_12884
; %bb.12877:                            ;   in Loop: Header=BB6_12353 Depth=3
	v_and_b32_e32 v1, 0x7c000000, v3
	v_bfe_u32 v9, v3, 24, 2
	s_delay_alu instid0(VALU_DEP_2) | instskip(SKIP_1) | instid1(SALU_CYCLE_1)
	v_cmp_ne_u32_e64 s13, 0x7c000000, v1
                                        ; implicit-def: $vgpr1
	s_and_saveexec_b32 s73, s13
	s_xor_b32 s73, exec_lo, s73
	s_cbranch_execz .LBB6_12881
; %bb.12878:                            ;   in Loop: Header=BB6_12353 Depth=3
	v_bfe_u32 v1, v3, 26, 5
	s_mov_b32 s74, exec_lo
	s_delay_alu instid0(VALU_DEP_1)
	v_cmpx_eq_u32_e32 0, v1
; %bb.12879:                            ;   in Loop: Header=BB6_12353 Depth=3
	v_clz_i32_u32_e32 v1, v9
	s_delay_alu instid0(VALU_DEP_1) | instskip(NEXT) | instid1(VALU_DEP_1)
	v_min_u32_e32 v2, 32, v1
	v_subrev_nc_u32_e32 v1, 29, v2
	s_delay_alu instid0(VALU_DEP_1) | instskip(NEXT) | instid1(VALU_DEP_1)
	v_lshlrev_b64_e32 v[0:1], v1, v[0:1]
	v_dual_sub_nc_u32 v1, 30, v2 :: v_dual_bitop2_b32 v9, 3, v0 bitop3:0x40
; %bb.12880:                            ;   in Loop: Header=BB6_12353 Depth=3
	s_or_b32 exec_lo, exec_lo, s74
	v_and_b32_e32 v0, 0x80000000, v3
                                        ; implicit-def: $vgpr2_vgpr3
	s_delay_alu instid0(VALU_DEP_1) | instskip(NEXT) | instid1(VALU_DEP_1)
	v_lshl_add_u32 v0, v1, 23, v0
	v_lshl_or_b32 v0, v9, 21, v0
                                        ; implicit-def: $vgpr9
	s_delay_alu instid0(VALU_DEP_1)
	v_add_nc_u32_e32 v1, 0x38000000, v0
.LBB6_12881:                            ;   in Loop: Header=BB6_12353 Depth=3
	s_and_not1_saveexec_b32 s73, s73
; %bb.12882:                            ;   in Loop: Header=BB6_12353 Depth=3
	v_cmp_lt_i64_e64 s13, -1, v[2:3]
	v_mov_b32_e32 v0, 0x7f800000
	s_delay_alu instid0(VALU_DEP_1) | instskip(SKIP_1) | instid1(VALU_DEP_1)
	v_cndmask_b32_e64 v0, 0xff800000, v0, s13
	v_cmp_eq_u32_e64 s13, 0, v9
	v_cndmask_b32_e64 v1, 0x7f800001, v0, s13
; %bb.12883:                            ;   in Loop: Header=BB6_12353 Depth=3
	s_or_b32 exec_lo, exec_lo, s73
.LBB6_12884:                            ;   in Loop: Header=BB6_12353 Depth=3
	s_delay_alu instid0(SALU_CYCLE_1)
	s_or_b32 exec_lo, exec_lo, s72
.LBB6_12885:                            ;   in Loop: Header=BB6_12353 Depth=3
	s_delay_alu instid0(SALU_CYCLE_1) | instskip(SKIP_3) | instid1(VALU_DEP_2)
	s_or_b32 exec_lo, exec_lo, s14
	v_bfe_u32 v9, v11, 24, 2
	v_bfe_u32 v15, v11, 26, 5
	s_mov_b32 s14, exec_lo
	v_clz_i32_u32_e32 v0, v9
	s_delay_alu instid0(VALU_DEP_2) | instskip(NEXT) | instid1(VALU_DEP_2)
	v_cmp_eq_u32_e64 s13, 0, v15
	v_min_u32_e32 v13, 32, v0
	v_lshrrev_b32_e32 v0, 24, v11
	s_delay_alu instid0(VALU_DEP_2) | instskip(NEXT) | instid1(VALU_DEP_1)
	v_subrev_nc_u32_e32 v2, 29, v13
	v_lshlrev_b64_e32 v[2:3], v2, v[0:1]
	v_sub_nc_u32_e32 v3, 30, v13
	v_and_b32_e32 v13, 0x80000000, v11
	s_delay_alu instid0(VALU_DEP_2) | instskip(NEXT) | instid1(VALU_DEP_1)
	v_dual_cndmask_b32 v3, v15, v3, s13 :: v_dual_bitop2_b32 v2, 3, v2 bitop3:0x40
	v_lshl_add_u32 v3, v3, 23, v13
	s_delay_alu instid0(VALU_DEP_2) | instskip(SKIP_2) | instid1(VALU_DEP_3)
	v_cndmask_b32_e64 v2, v9, v2, s13
	v_cmp_lt_i64_e64 s13, -1, v[10:11]
	v_mov_b32_e32 v13, 0x7f800000
	v_lshl_or_b32 v2, v2, 21, v3
	v_and_b32_e32 v3, 0x7c000000, v11
	s_delay_alu instid0(VALU_DEP_3) | instskip(SKIP_1) | instid1(VALU_DEP_4)
	v_cndmask_b32_e64 v13, 0xff800000, v13, s13
	v_cmp_eq_u32_e64 s13, 0, v9
	v_add_nc_u32_e32 v2, 0x38000000, v2
	s_delay_alu instid0(VALU_DEP_2) | instskip(SKIP_1) | instid1(VALU_DEP_1)
	v_cndmask_b32_e64 v9, 0x7f800001, v13, s13
	v_cmp_eq_u32_e64 s13, 0x7c000000, v3
	v_cndmask_b32_e64 v2, v2, v9, s13
	v_cmp_ne_u32_e64 s13, 0x80, v0
	s_delay_alu instid0(VALU_DEP_1) | instskip(SKIP_2) | instid1(VALU_DEP_2)
	v_cndmask_b32_e64 v0, 0x80000000, v2, s13
	v_cmp_lt_u64_e64 s13, s[22:23], v[10:11]
	v_mov_b32_e32 v11, v21
                                        ; implicit-def: $vgpr2
	v_cndmask_b32_e64 v0, 0, v0, s13
	s_delay_alu instid0(VALU_DEP_1) | instskip(NEXT) | instid1(VALU_DEP_1)
	v_dual_mul_f32 v3, v0, v1 :: v_dual_mov_b32 v1, v21
	v_lshrrev_b32_e32 v9, 24, v3
	v_and_b32_e32 v10, 0x7f800000, v3
	v_and_b32_e32 v0, 0x7fffff, v3
	s_delay_alu instid0(VALU_DEP_2)
	v_cmpx_ne_u64_e32 0x7f800000, v[10:11]
	s_xor_b32 s72, exec_lo, s14
	s_cbranch_execz .LBB6_12899
; %bb.12886:                            ;   in Loop: Header=BB6_12353 Depth=3
	v_and_b32_e32 v10, 0x7fffffff, v3
	v_mov_b32_e32 v11, v21
	v_and_b32_e32 v9, 0x80, v9
                                        ; implicit-def: $vgpr2
	s_mov_b32 s14, exec_lo
	s_delay_alu instid0(VALU_DEP_2)
	v_cmpx_gt_u64_e32 0x47600001, v[10:11]
	s_xor_b32 s73, exec_lo, s14
	s_cbranch_execz .LBB6_12896
; %bb.12887:                            ;   in Loop: Header=BB6_12353 Depth=3
	v_mov_b32_e32 v2, 0
	s_mov_b32 s74, exec_lo
	v_cmpx_ne_u32_e32 0, v3
	s_cbranch_execz .LBB6_12895
; %bb.12888:                            ;   in Loop: Header=BB6_12353 Depth=3
	v_bfe_u32 v10, v3, 23, 8
	v_or_b32_e32 v13, 0x800000, v0
	s_delay_alu instid0(VALU_DEP_2) | instskip(SKIP_1) | instid1(VALU_DEP_1)
	v_sub_nc_u32_e32 v2, 0x71, v10
	v_cmp_gt_u32_e64 s13, 0x72, v10
	v_cndmask_b32_e64 v2, 0, v2, s13
	v_cmp_eq_u32_e64 s13, 0, v10
	s_delay_alu instid0(VALU_DEP_1) | instskip(NEXT) | instid1(VALU_DEP_1)
	v_cndmask_b32_e64 v11, v2, 0x70, s13
	v_dual_cndmask_b32 v0, v13, v0, s13 :: v_dual_add_nc_u32 v2, 21, v11
	v_add_nc_u32_e32 v15, 20, v11
	s_delay_alu instid0(VALU_DEP_2) | instskip(NEXT) | instid1(VALU_DEP_2)
	v_lshlrev_b64_e64 v[2:3], v2, -1
	v_lshlrev_b64_e64 v[38:39], v15, 1
	s_delay_alu instid0(VALU_DEP_2) | instskip(SKIP_1) | instid1(VALU_DEP_4)
	v_bfi_b32 v2, v2, 0, v0
	v_lshrrev_b64 v[0:1], v11, v[0:1]
	v_bfi_b32 v3, v3, 0, 0
	s_delay_alu instid0(VALU_DEP_1) | instskip(NEXT) | instid1(VALU_DEP_3)
	v_cmp_eq_u64_e64 s14, v[2:3], v[38:39]
	v_mov_b64_e32 v[2:3], v[0:1]
	s_and_saveexec_b32 s75, s14
; %bb.12889:                            ;   in Loop: Header=BB6_12353 Depth=3
	v_bfe_u32 v2, v0, 21, 1
	v_mov_b32_e32 v3, v21
	s_delay_alu instid0(VALU_DEP_1) | instskip(NEXT) | instid1(VALU_DEP_1)
	v_add_nc_u64_e32 v[2:3], v[0:1], v[2:3]
	v_add_nc_u64_e32 v[2:3], -1, v[2:3]
; %bb.12890:                            ;   in Loop: Header=BB6_12353 Depth=3
	s_or_b32 exec_lo, exec_lo, s75
	v_add_nc_u32_e32 v1, 0xffffff81, v10
	v_lshrrev_b32_e32 v3, 23, v0
	s_mov_b32 s14, exec_lo
	s_delay_alu instid0(VALU_DEP_2) | instskip(NEXT) | instid1(VALU_DEP_1)
	v_cndmask_b32_e64 v1, v1, 0xffffff82, s13
	v_add3_u32 v3, v11, v1, v3
	v_and_b32_e32 v1, 0x1fffff, v2
                                        ; implicit-def: $vgpr2
	s_delay_alu instid0(VALU_DEP_1) | instskip(SKIP_1) | instid1(VALU_DEP_2)
	v_dual_add_nc_u32 v10, 14, v3 :: v_dual_add_nc_u32 v0, v1, v0
	v_mov_b32_e32 v1, v21
	v_cmpx_ne_u32_e32 0, v10
	s_xor_b32 s14, exec_lo, s14
; %bb.12891:                            ;   in Loop: Header=BB6_12353 Depth=3
	s_delay_alu instid0(VALU_DEP_2) | instskip(SKIP_1) | instid1(VALU_DEP_2)
	v_cmp_lt_u64_e64 s13, 0xffffff, v[0:1]
	v_add_nc_u32_e32 v2, 15, v3
	v_cndmask_b32_e64 v3, 0, 1, s13
	s_delay_alu instid0(VALU_DEP_2) | instskip(NEXT) | instid1(VALU_DEP_2)
	v_cndmask_b32_e64 v2, v10, v2, s13
	v_lshrrev_b64 v[0:1], v3, v[0:1]
; %bb.12892:                            ;   in Loop: Header=BB6_12353 Depth=3
	s_and_not1_saveexec_b32 s13, s14
; %bb.12893:                            ;   in Loop: Header=BB6_12353 Depth=3
	s_delay_alu instid0(VALU_DEP_1)
	v_bfe_u32 v2, v0, 23, 1
; %bb.12894:                            ;   in Loop: Header=BB6_12353 Depth=3
	s_or_b32 exec_lo, exec_lo, s13
	s_delay_alu instid0(VALU_DEP_2) | instskip(NEXT) | instid1(VALU_DEP_2)
	v_lshrrev_b64 v[0:1], 21, v[0:1]
	v_cmp_gt_i32_e64 s13, 32, v2
	v_min_i32_e32 v3, 31, v2
	v_cmp_eq_u32_e64 s14, 0, v2
	s_delay_alu instid0(VALU_DEP_2) | instskip(SKIP_1) | instid1(VALU_DEP_2)
	v_dual_cndmask_b32 v1, 0, v1, s13 :: v_dual_lshlrev_b32 v3, 2, v3
	v_cndmask_b32_e64 v0, 3, v0, s13
	v_and_b32_e32 v3, 0xfc, v3
	s_delay_alu instid0(VALU_DEP_2) | instskip(NEXT) | instid1(VALU_DEP_2)
	v_cmp_eq_u64_e64 s13, 0, v[0:1]
	v_and_or_b32 v0, v0, 3, v3
	s_and_b32 s13, s14, s13
	s_delay_alu instid0(VALU_DEP_1) | instid1(SALU_CYCLE_1)
	v_cndmask_b32_e64 v0, v0, 0, s13
	s_delay_alu instid0(VALU_DEP_1)
	v_or_b32_e32 v2, v0, v9
.LBB6_12895:                            ;   in Loop: Header=BB6_12353 Depth=3
	s_or_b32 exec_lo, exec_lo, s74
                                        ; implicit-def: $vgpr9
.LBB6_12896:                            ;   in Loop: Header=BB6_12353 Depth=3
	s_and_not1_saveexec_b32 s13, s73
; %bb.12897:                            ;   in Loop: Header=BB6_12353 Depth=3
	v_or_b32_e32 v2, 0x7b, v9
; %bb.12898:                            ;   in Loop: Header=BB6_12353 Depth=3
	s_or_b32 exec_lo, exec_lo, s13
                                        ; implicit-def: $vgpr3
                                        ; implicit-def: $vgpr0_vgpr1
                                        ; implicit-def: $vgpr9
.LBB6_12899:                            ;   in Loop: Header=BB6_12353 Depth=3
	s_and_not1_saveexec_b32 s14, s72
	s_cbranch_execz .LBB6_12352
; %bb.12900:                            ;   in Loop: Header=BB6_12353 Depth=3
	v_cmp_ne_u64_e64 s13, 0, v[0:1]
                                        ; implicit-def: $vgpr2
	s_and_saveexec_b32 s72, s13
	s_delay_alu instid0(SALU_CYCLE_1)
	s_xor_b32 s13, exec_lo, s72
; %bb.12901:                            ;   in Loop: Header=BB6_12353 Depth=3
	v_or_b32_e32 v2, 0x7f, v9
                                        ; implicit-def: $vgpr3
; %bb.12902:                            ;   in Loop: Header=BB6_12353 Depth=3
	s_and_not1_saveexec_b32 s72, s13
	s_cbranch_execz .LBB6_12351
; %bb.12903:                            ;   in Loop: Header=BB6_12353 Depth=3
	v_cmp_lt_i32_e64 s13, -1, v3
	v_mov_b32_e32 v0, 0x7c
	s_delay_alu instid0(VALU_DEP_1)
	v_cndmask_b32_e64 v2, 0xfc, v0, s13
	s_branch .LBB6_12351
.LBB6_12904:                            ;   in Loop: Header=BB6_12353 Depth=3
	s_or_saveexec_b32 s14, s14
	v_bfrev_b32_e32 v13, 1
	s_xor_b32 exec_lo, exec_lo, s14
	s_cbranch_execz .LBB6_12367
.LBB6_12905:                            ;   in Loop: Header=BB6_12353 Depth=3
	v_cmp_ne_u16_e64 s13, 0, v14
	v_mov_b32_e32 v13, 0
	s_and_not1_b32 s72, s72, exec_lo
	s_and_b32 s13, s13, exec_lo
	s_delay_alu instid0(SALU_CYCLE_1)
	s_or_b32 s72, s72, s13
	s_or_b32 exec_lo, exec_lo, s14
	s_and_saveexec_b32 s14, s72
	s_cbranch_execnz .LBB6_12368
	s_branch .LBB6_12369
.LBB6_12906:                            ;   in Loop: Header=BB6_12353 Depth=3
	s_or_saveexec_b32 s14, s14
	v_bfrev_b32_e32 v13, 1
	s_xor_b32 exec_lo, exec_lo, s14
	s_cbranch_execz .LBB6_12403
.LBB6_12907:                            ;   in Loop: Header=BB6_12353 Depth=3
	v_cmp_ne_u16_e64 s13, 0, v12
	v_mov_b32_e32 v13, 0
	s_and_not1_b32 s72, s72, exec_lo
	s_and_b32 s13, s13, exec_lo
	s_delay_alu instid0(SALU_CYCLE_1)
	s_or_b32 s72, s72, s13
	s_or_b32 exec_lo, exec_lo, s14
	s_and_saveexec_b32 s14, s72
	s_cbranch_execnz .LBB6_12404
	s_branch .LBB6_12405
.LBB6_12908:                            ;   in Loop: Header=BB6_12353 Depth=3
	s_or_saveexec_b32 s14, s14
	v_bfrev_b32_e32 v14, 1
	s_xor_b32 exec_lo, exec_lo, s14
	s_cbranch_execz .LBB6_12439
.LBB6_12909:                            ;   in Loop: Header=BB6_12353 Depth=3
	v_cmp_ne_u16_e64 s13, 0, v15
	v_mov_b32_e32 v14, 0
	s_and_not1_b32 s72, s72, exec_lo
	s_and_b32 s13, s13, exec_lo
	s_delay_alu instid0(SALU_CYCLE_1)
	s_or_b32 s72, s72, s13
	s_or_b32 exec_lo, exec_lo, s14
	s_and_saveexec_b32 s14, s72
	s_cbranch_execnz .LBB6_12440
	s_branch .LBB6_12441
.LBB6_12910:                            ;   in Loop: Header=BB6_12353 Depth=3
	s_or_saveexec_b32 s14, s14
	v_bfrev_b32_e32 v15, 1
	s_xor_b32 exec_lo, exec_lo, s14
	s_cbranch_execz .LBB6_12505
.LBB6_12911:                            ;   in Loop: Header=BB6_12353 Depth=3
	v_cmp_ne_u16_e64 s13, 0, v13
	v_mov_b32_e32 v15, 0
	s_and_not1_b32 s72, s72, exec_lo
	s_and_b32 s13, s13, exec_lo
	s_delay_alu instid0(SALU_CYCLE_1)
	s_or_b32 s72, s72, s13
	s_or_b32 exec_lo, exec_lo, s14
	v_mov_b32_e32 v13, v21
	s_and_saveexec_b32 s14, s72
	s_cbranch_execnz .LBB6_12506
	s_branch .LBB6_12507
.LBB6_12912:                            ;   in Loop: Header=BB6_12353 Depth=3
	s_or_saveexec_b32 s14, s14
	v_bfrev_b32_e32 v15, 1
	s_xor_b32 exec_lo, exec_lo, s14
	s_cbranch_execz .LBB6_12541
.LBB6_12913:                            ;   in Loop: Header=BB6_12353 Depth=3
	v_cmp_ne_u16_e64 s13, 0, v14
	v_mov_b32_e32 v15, 0
	s_and_not1_b32 s72, s72, exec_lo
	s_and_b32 s13, s13, exec_lo
	s_delay_alu instid0(SALU_CYCLE_1)
	s_or_b32 s72, s72, s13
	s_or_b32 exec_lo, exec_lo, s14
	s_and_saveexec_b32 s14, s72
	s_cbranch_execnz .LBB6_12542
	s_branch .LBB6_12543
.LBB6_12914:                            ;   in Loop: Header=BB6_12353 Depth=3
	s_or_saveexec_b32 s14, s14
	v_bfrev_b32_e32 v14, 1
	s_xor_b32 exec_lo, exec_lo, s14
	s_cbranch_execz .LBB6_12577
.LBB6_12915:                            ;   in Loop: Header=BB6_12353 Depth=3
	v_cmp_ne_u16_e64 s13, 0, v15
	v_mov_b32_e32 v14, 0
	s_and_not1_b32 s72, s72, exec_lo
	s_and_b32 s13, s13, exec_lo
	s_delay_alu instid0(SALU_CYCLE_1)
	s_or_b32 s72, s72, s13
	s_or_b32 exec_lo, exec_lo, s14
	s_and_saveexec_b32 s14, s72
	s_cbranch_execnz .LBB6_12578
	s_branch .LBB6_12579
.LBB6_12916:                            ;   in Loop: Header=BB6_12353 Depth=3
	s_or_saveexec_b32 s14, s14
	v_bfrev_b32_e32 v1, 1
	s_xor_b32 exec_lo, exec_lo, s14
	s_cbranch_execz .LBB6_12643
.LBB6_12917:                            ;   in Loop: Header=BB6_12353 Depth=3
	v_cmp_ne_u16_e64 s13, 0, v8
	v_mov_b32_e32 v1, 0
	s_and_not1_b32 s72, s72, exec_lo
	s_and_b32 s13, s13, exec_lo
	s_delay_alu instid0(SALU_CYCLE_1)
	s_or_b32 s72, s72, s13
	s_or_b32 exec_lo, exec_lo, s14
	s_and_saveexec_b32 s14, s72
	s_cbranch_execnz .LBB6_12644
	s_branch .LBB6_12645
.LBB6_12918:                            ;   in Loop: Header=BB6_12353 Depth=3
	s_or_saveexec_b32 s14, s14
	v_bfrev_b32_e32 v1, 1
	s_xor_b32 exec_lo, exec_lo, s14
	s_cbranch_execz .LBB6_12679
.LBB6_12919:                            ;   in Loop: Header=BB6_12353 Depth=3
	v_cmp_ne_u16_e64 s13, 0, v0
	v_mov_b32_e32 v1, 0
	s_and_not1_b32 s72, s72, exec_lo
	s_and_b32 s13, s13, exec_lo
	s_delay_alu instid0(SALU_CYCLE_1)
	s_or_b32 s72, s72, s13
	s_or_b32 exec_lo, exec_lo, s14
	s_and_saveexec_b32 s14, s72
	s_cbranch_execnz .LBB6_12680
	s_branch .LBB6_12681
.LBB6_12920:                            ;   in Loop: Header=BB6_12353 Depth=3
	s_or_saveexec_b32 s14, s14
	v_bfrev_b32_e32 v8, 1
	s_xor_b32 exec_lo, exec_lo, s14
	s_cbranch_execz .LBB6_12715
.LBB6_12921:                            ;   in Loop: Header=BB6_12353 Depth=3
	v_cmp_ne_u16_e64 s13, 0, v9
	v_mov_b32_e32 v8, 0
	s_and_not1_b32 s72, s72, exec_lo
	s_and_b32 s13, s13, exec_lo
	s_delay_alu instid0(SALU_CYCLE_1)
	s_or_b32 s72, s72, s13
	s_or_b32 exec_lo, exec_lo, s14
	s_and_saveexec_b32 s14, s72
	s_cbranch_execnz .LBB6_12716
	s_branch .LBB6_12717
.LBB6_12922:                            ;   in Loop: Header=BB6_12353 Depth=3
	s_or_saveexec_b32 s14, s14
	v_bfrev_b32_e32 v9, 1
	s_xor_b32 exec_lo, exec_lo, s14
	s_cbranch_execz .LBB6_12781
.LBB6_12923:                            ;   in Loop: Header=BB6_12353 Depth=3
	v_cmp_ne_u16_e64 s13, 0, v1
	v_mov_b32_e32 v9, 0
	s_and_not1_b32 s72, s72, exec_lo
	s_and_b32 s13, s13, exec_lo
	s_delay_alu instid0(SALU_CYCLE_1)
	s_or_b32 s72, s72, s13
	s_or_b32 exec_lo, exec_lo, s14
	v_mov_b32_e32 v1, v21
	s_and_saveexec_b32 s14, s72
	s_cbranch_execnz .LBB6_12782
	s_branch .LBB6_12783
.LBB6_12924:                            ;   in Loop: Header=BB6_12353 Depth=3
	s_or_saveexec_b32 s14, s14
	v_bfrev_b32_e32 v9, 1
	s_xor_b32 exec_lo, exec_lo, s14
	s_cbranch_execz .LBB6_12817
.LBB6_12925:                            ;   in Loop: Header=BB6_12353 Depth=3
	v_cmp_ne_u16_e64 s13, 0, v8
	v_mov_b32_e32 v9, 0
	s_and_not1_b32 s72, s72, exec_lo
	s_and_b32 s13, s13, exec_lo
	s_delay_alu instid0(SALU_CYCLE_1)
	s_or_b32 s72, s72, s13
	s_or_b32 exec_lo, exec_lo, s14
	s_and_saveexec_b32 s14, s72
	s_cbranch_execnz .LBB6_12818
	s_branch .LBB6_12819
.LBB6_12926:                            ;   in Loop: Header=BB6_12353 Depth=3
	s_or_saveexec_b32 s14, s14
	v_bfrev_b32_e32 v8, 1
	s_xor_b32 exec_lo, exec_lo, s14
	s_cbranch_execz .LBB6_12853
.LBB6_12927:                            ;   in Loop: Header=BB6_12353 Depth=3
	v_cmp_ne_u16_e64 s13, 0, v9
	v_mov_b32_e32 v8, 0
	s_and_not1_b32 s72, s72, exec_lo
	s_and_b32 s13, s13, exec_lo
	s_delay_alu instid0(SALU_CYCLE_1)
	s_or_b32 s72, s72, s13
	s_or_b32 exec_lo, exec_lo, s14
	s_and_saveexec_b32 s14, s72
	s_cbranch_execnz .LBB6_12854
	s_branch .LBB6_12855
.LBB6_12928:                            ;   in Loop: Header=BB6_5083 Depth=2
	s_or_b32 exec_lo, exec_lo, s43
.LBB6_12929:                            ;   in Loop: Header=BB6_5083 Depth=2
	s_delay_alu instid0(SALU_CYCLE_1)
	s_or_b32 exec_lo, exec_lo, s42
	scratch_load_b32 v0, off, s33 offset:296 ; 4-byte Folded Reload
	s_mov_b32 s14, 0
	s_mov_b32 s42, exec_lo
                                        ; implicit-def: $vgpr4
	s_wait_loadcnt 0x0
	v_dual_mov_b32 v8, 0 :: v_dual_bitop2_b32 v1, 15, v0 bitop3:0x40
                                        ; implicit-def: $vgpr0
	s_delay_alu instid0(VALU_DEP_1) | instskip(SKIP_1) | instid1(VALU_DEP_1)
	v_cndmask_b32_e32 v126, v26, v1, vcc_lo
	s_wait_xcnt 0x0
	v_cmpx_ne_u32_e32 0, v126
	s_cbranch_execz .LBB6_12931
; %bb.12930:                            ;   in Loop: Header=BB6_5083 Depth=2
	scratch_load_b64 v[2:3], off, s33 offset:188 ; 8-byte Folded Reload
	v_cmp_lt_i32_e64 s13, 0, v27
	s_mov_b32 s14, exec_lo
	v_sub_nc_u32_e32 v1, v26, v1
	s_delay_alu instid0(VALU_DEP_1) | instskip(NEXT) | instid1(VALU_DEP_1)
	v_cndmask_b32_e32 v1, 0, v1, vcc_lo
	v_add3_u32 v8, v24, v20, v1
	s_wait_loadcnt 0x0
	v_cndmask_b32_e64 v0, 0, v2, s13
	s_delay_alu instid0(VALU_DEP_1) | instskip(NEXT) | instid1(VALU_DEP_1)
	v_sub_nc_u32_e32 v0, v0, v27
	v_lshl_add_u32 v4, v0, 5, v25
	s_delay_alu instid0(VALU_DEP_1) | instskip(NEXT) | instid1(VALU_DEP_1)
	v_ashrrev_i32_e32 v0, 31, v4
	v_lshrrev_b32_e32 v0, 27, v0
	s_delay_alu instid0(VALU_DEP_1) | instskip(NEXT) | instid1(VALU_DEP_1)
	v_add_nc_u32_e32 v0, v4, v0
	v_ashrrev_i32_e32 v0, 5, v0
.LBB6_12931:                            ;   in Loop: Header=BB6_5083 Depth=2
	s_wait_xcnt 0x0
	s_or_b32 exec_lo, exec_lo, s42
	scratch_load_b64 v[26:27], off, s33 offset:188 ; 8-byte Folded Reload
	s_and_b32 s13, s14, exec_lo
.LBB6_12932:                            ;   in Loop: Header=BB6_5083 Depth=2
	s_wait_xcnt 0x0
	s_or_b32 exec_lo, exec_lo, s15
	s_and_saveexec_b32 s14, s13
	s_cbranch_execz .LBB6_14393
.LBB6_12933:                            ;   in Loop: Header=BB6_5083 Depth=2
	s_wait_loadcnt 0x0
	v_ashrrev_i32_e32 v1, 31, v126
	s_mov_b32 s15, exec_lo
	s_delay_alu instid0(VALU_DEP_1) | instskip(NEXT) | instid1(VALU_DEP_1)
	v_lshrrev_b32_e32 v1, 22, v1
	v_add_nc_u32_e32 v1, v126, v1
	s_delay_alu instid0(VALU_DEP_1) | instskip(NEXT) | instid1(VALU_DEP_1)
	v_ashrrev_i32_e32 v1, 10, v1
	v_sub_nc_u32_e32 v20, v1, v0
	s_delay_alu instid0(VALU_DEP_1)
	v_cmpx_lt_i32_e32 0, v20
	s_cbranch_execz .LBB6_14345
; %bb.12934:                            ;   in Loop: Header=BB6_5083 Depth=2
	s_clause 0x6
	scratch_store_b32 off, v1, s33 offset:512
	scratch_store_b64 off, v[106:107], s33 offset:328
	scratch_store_b64 off, v[90:91], s33 offset:320
	;; [unrolled: 1-line block ×5, first 2 shown]
	scratch_store_b32 off, v81, s33 offset:268
	s_wait_xcnt 0x6
	v_ashrrev_i32_e32 v1, 31, v4
	s_trap 2
	ds_load_b64 v[2:3], v0
	s_clause 0x1
	scratch_store_b32 off, v4, s33 offset:312
	scratch_store_b32 off, v8, s33 offset:260
	v_dual_lshrrev_b32 v1, 27, v1 :: v_dual_lshlrev_b32 v0, 10, v0
	s_mov_b32 s42, 0
	s_delay_alu instid0(VALU_DEP_1) | instskip(NEXT) | instid1(VALU_DEP_1)
	v_add_nc_u32_e32 v1, v4, v1
	v_and_b32_e32 v1, 0xffffffe0, v1
	s_delay_alu instid0(VALU_DEP_1) | instskip(SKIP_2) | instid1(VALU_DEP_1)
	v_sub_nc_u32_e32 v1, v4, v1
	scratch_load_b64 v[4:5], off, s33 offset:304 th:TH_LOAD_LU ; 8-byte Folded Reload
	v_add3_u32 v0, v8, v1, v0
	v_ashrrev_i32_e32 v1, 31, v0
	s_wait_xcnt 0x1
	s_delay_alu instid0(VALU_DEP_1) | instskip(SKIP_4) | instid1(VALU_DEP_1)
	v_add_nc_u64_e32 v[8:9], v[0:1], v[48:49]
	s_wait_dscnt 0x0
	v_add_nc_u64_e32 v[10:11], v[2:3], v[0:1]
	s_wait_loadcnt 0x0
	v_add_nc_u64_e32 v[4:5], 0x3e0, v[4:5]
	v_add_nc_u64_e32 v[12:13], v[4:5], v[0:1]
	s_branch .LBB6_12937
.LBB6_12935:                            ;   in Loop: Header=BB6_12937 Depth=3
	s_or_b32 exec_lo, exec_lo, s43
.LBB6_12936:                            ;   in Loop: Header=BB6_12937 Depth=3
	s_delay_alu instid0(SALU_CYCLE_1)
	s_or_b32 exec_lo, exec_lo, s13
	s_clause 0x17
	flat_store_b8 v[12:13], v22 offset:-992 th:TH_STORE_NT
	flat_store_b8 v[12:13], v18 offset:-960 th:TH_STORE_NT
	;; [unrolled: 1-line block ×24, first 2 shown]
	scratch_load_b64 v[0:1], off, s33 offset:188 ; 8-byte Folded Reload
	s_clause 0x7
	flat_store_b8 v[12:13], v52 offset:-224 th:TH_STORE_NT
	flat_store_b8 v[12:13], v50 offset:-192 th:TH_STORE_NT
	;; [unrolled: 1-line block ×7, first 2 shown]
	flat_store_b8 v[12:13], v2 th:TH_STORE_NT
	s_wait_loadcnt 0x0
	v_sub_nc_u32_e32 v20, v20, v0
	scratch_load_b64 v[0:1], off, s33 offset:244 ; 8-byte Folded Reload
	v_cmp_gt_i32_e32 vcc_lo, 1, v20
	s_or_b32 s42, vcc_lo, s42
	s_wait_loadcnt 0x0
	v_add_nc_u64_e32 v[8:9], v[8:9], v[0:1]
	v_add_nc_u64_e32 v[10:11], v[10:11], v[0:1]
	s_wait_xcnt 0x1
	v_add_nc_u64_e32 v[12:13], v[12:13], v[0:1]
	s_wait_xcnt 0x0
	s_and_not1_b32 exec_lo, exec_lo, s42
	s_cbranch_execz .LBB6_14344
.LBB6_12937:                            ;   Parent Loop BB6_47 Depth=1
                                        ;     Parent Loop BB6_5083 Depth=2
                                        ; =>    This Inner Loop Header: Depth=3
	s_clause 0x1d
	flat_load_i8 v22, v[8:9] th:TH_LOAD_NT
	flat_load_i8 v16, v[8:9] offset:32 th:TH_LOAD_NT
	flat_load_i8 v76, v[8:9] offset:64 th:TH_LOAD_NT
	;; [unrolled: 1-line block ×29, first 2 shown]
	s_mov_b32 s43, exec_lo
	v_mov_b32_e32 v3, 0
	s_wait_loadcnt_dscnt 0x0
	scratch_store_b64 off, v[0:1], s33 offset:236 ; 8-byte Folded Spill
	flat_load_i8 v0, v[8:9] offset:960 th:TH_LOAD_NT
	s_wait_loadcnt_dscnt 0x0
	scratch_store_b64 off, v[0:1], s33 offset:220 ; 8-byte Folded Spill
	flat_load_i8 v0, v[8:9] offset:992 th:TH_LOAD_NT
	s_wait_loadcnt_dscnt 0x0
	scratch_store_b64 off, v[0:1], s33 offset:204 ; 8-byte Folded Spill
	s_clause 0x1d
	flat_load_i8 v18, v[10:11] th:TH_LOAD_NT
	flat_load_i8 v14, v[10:11] offset:32 th:TH_LOAD_NT
	flat_load_i8 v82, v[10:11] offset:64 th:TH_LOAD_NT
	;; [unrolled: 1-line block ×29, first 2 shown]
	v_mov_b32_e32 v1, 0
	s_wait_loadcnt_dscnt 0x0
	scratch_store_b64 off, v[24:25], s33 offset:228 ; 8-byte Folded Spill
	flat_load_i8 v24, v[10:11] offset:960 th:TH_LOAD_NT
	s_wait_loadcnt_dscnt 0x0
	scratch_store_b64 off, v[24:25], s33 offset:212 ; 8-byte Folded Spill
	flat_load_i8 v24, v[10:11] offset:992 th:TH_LOAD_NT
	s_wait_loadcnt_dscnt 0x0
	scratch_store_b64 off, v[24:25], s33 offset:196 ; 8-byte Folded Spill
	s_wait_xcnt 0x0
	v_cmpx_ne_u16_e32 0, v22
	s_cbranch_execz .LBB6_12947
; %bb.12938:                            ;   in Loop: Header=BB6_12937 Depth=3
	v_bfrev_b32_e32 v3, 1
	s_mov_b32 s72, exec_lo
	v_cmpx_ne_u16_e32 0xff80, v22
	s_cbranch_execz .LBB6_12946
; %bb.12939:                            ;   in Loop: Header=BB6_12937 Depth=3
	v_and_b32_e32 v3, 0x7c, v22
	v_and_b32_e32 v5, 3, v22
	s_delay_alu instid0(VALU_DEP_2) | instskip(SKIP_1) | instid1(SALU_CYCLE_1)
	v_cmp_ne_u32_e32 vcc_lo, 0x7c, v3
                                        ; implicit-def: $vgpr3
	s_and_saveexec_b32 s13, vcc_lo
	s_xor_b32 s13, exec_lo, s13
	s_cbranch_execz .LBB6_12943
; %bb.12940:                            ;   in Loop: Header=BB6_12937 Depth=3
	v_and_b32_e32 v3, 0xff, v22
	s_mov_b32 s73, exec_lo
	s_delay_alu instid0(VALU_DEP_1) | instskip(NEXT) | instid1(VALU_DEP_1)
	v_bfe_u32 v3, v3, 2, 5
	v_cmpx_eq_u32_e32 0, v3
	s_cbranch_execz .LBB6_12942
; %bb.12941:                            ;   in Loop: Header=BB6_12937 Depth=3
	v_clz_i32_u32_e32 v3, v5
	s_delay_alu instid0(VALU_DEP_1) | instskip(SKIP_1) | instid1(VALU_DEP_2)
	v_min_u32_e32 v3, 32, v3
	v_mov_b32_e32 v23, v21
	v_subrev_nc_u32_e32 v5, 29, v3
	v_sub_nc_u32_e32 v3, 30, v3
	s_delay_alu instid0(VALU_DEP_2) | instskip(NEXT) | instid1(VALU_DEP_1)
	v_lshlrev_b64_e32 v[24:25], v5, v[22:23]
	v_and_b32_e32 v5, 3, v24
.LBB6_12942:                            ;   in Loop: Header=BB6_12937 Depth=3
	s_or_b32 exec_lo, exec_lo, s73
	v_bfe_i32 v7, v22, 0, 16
                                        ; implicit-def: $vgpr22
	s_delay_alu instid0(VALU_DEP_1) | instskip(NEXT) | instid1(VALU_DEP_1)
	v_and_b32_e32 v7, 0x80000000, v7
	v_lshl_add_u32 v3, v3, 23, v7
	s_delay_alu instid0(VALU_DEP_1) | instskip(NEXT) | instid1(VALU_DEP_1)
	v_lshl_or_b32 v3, v5, 21, v3
                                        ; implicit-def: $vgpr5
	v_add_nc_u32_e32 v3, 0x38000000, v3
.LBB6_12943:                            ;   in Loop: Header=BB6_12937 Depth=3
	s_and_not1_saveexec_b32 s73, s13
; %bb.12944:                            ;   in Loop: Header=BB6_12937 Depth=3
	v_cmp_lt_i16_e64 s13, -1, v22
	v_mov_b32_e32 v3, 0x7f800000
	v_cmp_eq_u32_e32 vcc_lo, 0, v5
	s_delay_alu instid0(VALU_DEP_2) | instskip(NEXT) | instid1(VALU_DEP_1)
	v_cndmask_b32_e64 v3, 0xff800000, v3, s13
	v_cndmask_b32_e32 v3, 0x7f800001, v3, vcc_lo
; %bb.12945:                            ;   in Loop: Header=BB6_12937 Depth=3
	s_or_b32 exec_lo, exec_lo, s73
.LBB6_12946:                            ;   in Loop: Header=BB6_12937 Depth=3
	s_delay_alu instid0(SALU_CYCLE_1)
	s_or_b32 exec_lo, exec_lo, s72
.LBB6_12947:                            ;   in Loop: Header=BB6_12937 Depth=3
	s_delay_alu instid0(SALU_CYCLE_1) | instskip(NEXT) | instid1(SALU_CYCLE_1)
	s_or_b32 exec_lo, exec_lo, s43
	s_mov_b32 s43, exec_lo
	v_cmpx_ne_u16_e32 0, v18
	s_cbranch_execz .LBB6_12957
; %bb.12948:                            ;   in Loop: Header=BB6_12937 Depth=3
	v_bfrev_b32_e32 v1, 1
	s_mov_b32 s72, exec_lo
	v_cmpx_ne_u16_e32 0xff80, v18
	s_cbranch_execz .LBB6_12956
; %bb.12949:                            ;   in Loop: Header=BB6_12937 Depth=3
	v_and_b32_e32 v1, 0x7c, v18
	v_and_b32_e32 v5, 3, v18
	s_delay_alu instid0(VALU_DEP_2) | instskip(SKIP_1) | instid1(SALU_CYCLE_1)
	v_cmp_ne_u32_e32 vcc_lo, 0x7c, v1
                                        ; implicit-def: $vgpr1
	s_and_saveexec_b32 s13, vcc_lo
	s_xor_b32 s13, exec_lo, s13
	s_cbranch_execz .LBB6_12953
; %bb.12950:                            ;   in Loop: Header=BB6_12937 Depth=3
	v_and_b32_e32 v1, 0xff, v18
	s_mov_b32 s73, exec_lo
	s_delay_alu instid0(VALU_DEP_1) | instskip(NEXT) | instid1(VALU_DEP_1)
	v_bfe_u32 v1, v1, 2, 5
	v_cmpx_eq_u32_e32 0, v1
	s_cbranch_execz .LBB6_12952
; %bb.12951:                            ;   in Loop: Header=BB6_12937 Depth=3
	v_clz_i32_u32_e32 v1, v5
	s_delay_alu instid0(VALU_DEP_1) | instskip(SKIP_1) | instid1(VALU_DEP_2)
	v_min_u32_e32 v1, 32, v1
	v_mov_b32_e32 v19, v21
	v_subrev_nc_u32_e32 v5, 29, v1
	v_sub_nc_u32_e32 v1, 30, v1
	s_delay_alu instid0(VALU_DEP_2) | instskip(NEXT) | instid1(VALU_DEP_1)
	v_lshlrev_b64_e32 v[22:23], v5, v[18:19]
	v_and_b32_e32 v5, 3, v22
.LBB6_12952:                            ;   in Loop: Header=BB6_12937 Depth=3
	s_or_b32 exec_lo, exec_lo, s73
	v_bfe_i32 v7, v18, 0, 16
                                        ; implicit-def: $vgpr18
	s_delay_alu instid0(VALU_DEP_1) | instskip(NEXT) | instid1(VALU_DEP_1)
	v_and_b32_e32 v7, 0x80000000, v7
	v_lshl_add_u32 v1, v1, 23, v7
	s_delay_alu instid0(VALU_DEP_1) | instskip(NEXT) | instid1(VALU_DEP_1)
	v_lshl_or_b32 v1, v5, 21, v1
                                        ; implicit-def: $vgpr5
	v_add_nc_u32_e32 v1, 0x38000000, v1
.LBB6_12953:                            ;   in Loop: Header=BB6_12937 Depth=3
	s_and_not1_saveexec_b32 s73, s13
; %bb.12954:                            ;   in Loop: Header=BB6_12937 Depth=3
	v_cmp_lt_i16_e64 s13, -1, v18
	v_mov_b32_e32 v1, 0x7f800000
	v_cmp_eq_u32_e32 vcc_lo, 0, v5
	s_delay_alu instid0(VALU_DEP_2) | instskip(NEXT) | instid1(VALU_DEP_1)
	v_cndmask_b32_e64 v1, 0xff800000, v1, s13
	v_cndmask_b32_e32 v1, 0x7f800001, v1, vcc_lo
; %bb.12955:                            ;   in Loop: Header=BB6_12937 Depth=3
	s_or_b32 exec_lo, exec_lo, s73
.LBB6_12956:                            ;   in Loop: Header=BB6_12937 Depth=3
	s_delay_alu instid0(SALU_CYCLE_1)
	s_or_b32 exec_lo, exec_lo, s72
.LBB6_12957:                            ;   in Loop: Header=BB6_12937 Depth=3
	s_delay_alu instid0(SALU_CYCLE_1) | instskip(NEXT) | instid1(VALU_DEP_1)
	s_or_b32 exec_lo, exec_lo, s43
	v_dual_mul_f32 v3, v3, v1 :: v_dual_mov_b32 v19, v21
                                        ; implicit-def: $vgpr22
	s_delay_alu instid0(VALU_DEP_1) | instskip(NEXT) | instid1(VALU_DEP_1)
	v_and_b32_e32 v18, 0x7f800000, v3
	v_cmp_ne_u64_e32 vcc_lo, 0x7f800000, v[18:19]
	v_and_b32_e32 v18, 0x7fffff, v3
	s_and_saveexec_b32 s13, vcc_lo
	s_delay_alu instid0(SALU_CYCLE_1)
	s_xor_b32 s43, exec_lo, s13
	s_cbranch_execz .LBB6_12975
; %bb.12958:                            ;   in Loop: Header=BB6_12937 Depth=3
	v_and_b32_e32 v22, 0x7fffffff, v3
	v_dual_mov_b32 v23, v21 :: v_dual_lshrrev_b32 v1, 24, v3
	s_delay_alu instid0(VALU_DEP_1) | instskip(NEXT) | instid1(VALU_DEP_2)
	v_cmp_gt_u64_e32 vcc_lo, 0x47600001, v[22:23]
	v_and_b32_e32 v1, 0x80, v1
                                        ; implicit-def: $vgpr22
	s_and_saveexec_b32 s13, vcc_lo
	s_delay_alu instid0(SALU_CYCLE_1)
	s_xor_b32 s72, exec_lo, s13
	s_cbranch_execz .LBB6_12972
; %bb.12959:                            ;   in Loop: Header=BB6_12937 Depth=3
	v_mov_b32_e32 v22, 0
	s_mov_b32 s73, exec_lo
	v_cmpx_ne_u32_e32 0, v3
	s_cbranch_execz .LBB6_12971
; %bb.12960:                            ;   in Loop: Header=BB6_12937 Depth=3
	v_bfe_u32 v3, v3, 23, 8
	v_or_b32_e32 v7, 0x800000, v18
	s_delay_alu instid0(VALU_DEP_2) | instskip(SKIP_1) | instid1(VALU_DEP_3)
	v_cmp_eq_u32_e32 vcc_lo, 0, v3
	v_cmp_gt_u32_e64 s13, 0x72, v3
	v_dual_cndmask_b32 v18, v7, v18 :: v_dual_sub_nc_u32 v5, 0x71, v3
	s_delay_alu instid0(VALU_DEP_1) | instskip(NEXT) | instid1(VALU_DEP_1)
	v_cndmask_b32_e64 v5, 0, v5, s13
	v_cndmask_b32_e64 v5, v5, 0x70, vcc_lo
	s_delay_alu instid0(VALU_DEP_1) | instskip(NEXT) | instid1(VALU_DEP_1)
	v_add_nc_u32_e32 v7, 21, v5
	v_lshlrev_b64_e64 v[22:23], v7, -1
	v_add_nc_u32_e32 v7, 20, v5
	s_delay_alu instid0(VALU_DEP_1) | instskip(NEXT) | instid1(VALU_DEP_3)
	v_lshlrev_b64_e64 v[24:25], v7, 1
	v_bfi_b32 v22, v22, 0, v18
	v_lshrrev_b64 v[18:19], v5, v[18:19]
	v_bfi_b32 v23, v23, 0, 0
	s_delay_alu instid0(VALU_DEP_1) | instskip(NEXT) | instid1(VALU_DEP_3)
	v_cmp_eq_u64_e64 s13, v[22:23], v[24:25]
	v_mov_b64_e32 v[22:23], v[18:19]
	s_and_saveexec_b32 s74, s13
; %bb.12961:                            ;   in Loop: Header=BB6_12937 Depth=3
	v_bfe_u32 v22, v18, 21, 1
	v_mov_b32_e32 v23, v21
	s_delay_alu instid0(VALU_DEP_1) | instskip(NEXT) | instid1(VALU_DEP_1)
	v_add_nc_u64_e32 v[22:23], v[18:19], v[22:23]
	v_add_nc_u64_e32 v[22:23], -1, v[22:23]
; %bb.12962:                            ;   in Loop: Header=BB6_12937 Depth=3
	s_or_b32 exec_lo, exec_lo, s74
	v_add_nc_u32_e32 v3, 0xffffff81, v3
	v_lshrrev_b32_e32 v7, 23, v18
	s_mov_b32 s13, exec_lo
	v_mov_b32_e32 v19, v21
	s_delay_alu instid0(VALU_DEP_3) | instskip(NEXT) | instid1(VALU_DEP_1)
	v_cndmask_b32_e64 v3, v3, 0xffffff82, vcc_lo
	v_add3_u32 v7, v5, v3, v7
	v_and_b32_e32 v3, 0x1fffff, v22
	s_delay_alu instid0(VALU_DEP_1) | instskip(NEXT) | instid1(VALU_DEP_1)
	v_dual_add_nc_u32 v5, 14, v7 :: v_dual_add_nc_u32 v18, v3, v18
                                        ; implicit-def: $vgpr3
	v_cmpx_ne_u32_e32 0, v5
	s_xor_b32 s13, exec_lo, s13
; %bb.12963:                            ;   in Loop: Header=BB6_12937 Depth=3
	s_delay_alu instid0(VALU_DEP_2) | instskip(SKIP_1) | instid1(VALU_DEP_1)
	v_cmp_lt_u64_e32 vcc_lo, 0xffffff, v[18:19]
	v_add_nc_u32_e32 v3, 15, v7
	v_cndmask_b32_e32 v3, v5, v3, vcc_lo
	v_cndmask_b32_e64 v5, 0, 1, vcc_lo
	s_delay_alu instid0(VALU_DEP_1)
	v_lshrrev_b64 v[18:19], v5, v[18:19]
; %bb.12964:                            ;   in Loop: Header=BB6_12937 Depth=3
	s_and_not1_saveexec_b32 s13, s13
; %bb.12965:                            ;   in Loop: Header=BB6_12937 Depth=3
	s_delay_alu instid0(VALU_DEP_1)
	v_bfe_u32 v3, v18, 23, 1
; %bb.12966:                            ;   in Loop: Header=BB6_12937 Depth=3
	s_or_b32 exec_lo, exec_lo, s13
	s_delay_alu instid0(VALU_DEP_2) | instskip(NEXT) | instid1(VALU_DEP_2)
	v_lshrrev_b64 v[18:19], 21, v[18:19]
	v_cmp_gt_i32_e32 vcc_lo, 32, v3
	v_cmp_ne_u32_e64 s13, 0, v3
                                        ; implicit-def: $vgpr22
	s_delay_alu instid0(VALU_DEP_3) | instskip(NEXT) | instid1(VALU_DEP_1)
	v_dual_cndmask_b32 v19, 0, v19 :: v_dual_cndmask_b32 v18, 3, v18
	v_cmp_ne_u64_e32 vcc_lo, 0, v[18:19]
	s_or_b32 s13, s13, vcc_lo
	s_delay_alu instid0(SALU_CYCLE_1) | instskip(NEXT) | instid1(SALU_CYCLE_1)
	s_and_saveexec_b32 s74, s13
	s_xor_b32 s13, exec_lo, s74
; %bb.12967:                            ;   in Loop: Header=BB6_12937 Depth=3
	v_min_i32_e32 v3, 31, v3
	s_delay_alu instid0(VALU_DEP_1) | instskip(NEXT) | instid1(VALU_DEP_1)
	v_lshl_or_b32 v1, v3, 2, v1
	v_and_or_b32 v22, v18, 3, v1
                                        ; implicit-def: $vgpr1
; %bb.12968:                            ;   in Loop: Header=BB6_12937 Depth=3
	s_and_not1_saveexec_b32 s13, s13
; %bb.12969:                            ;   in Loop: Header=BB6_12937 Depth=3
	v_mov_b32_e32 v22, v1
; %bb.12970:                            ;   in Loop: Header=BB6_12937 Depth=3
	s_or_b32 exec_lo, exec_lo, s13
.LBB6_12971:                            ;   in Loop: Header=BB6_12937 Depth=3
	s_delay_alu instid0(SALU_CYCLE_1)
	s_or_b32 exec_lo, exec_lo, s73
                                        ; implicit-def: $vgpr1
.LBB6_12972:                            ;   in Loop: Header=BB6_12937 Depth=3
	s_and_not1_saveexec_b32 s13, s72
; %bb.12973:                            ;   in Loop: Header=BB6_12937 Depth=3
	v_or_b32_e32 v22, 0x7b, v1
; %bb.12974:                            ;   in Loop: Header=BB6_12937 Depth=3
	s_or_b32 exec_lo, exec_lo, s13
                                        ; implicit-def: $vgpr3
                                        ; implicit-def: $vgpr18_vgpr19
.LBB6_12975:                            ;   in Loop: Header=BB6_12937 Depth=3
	s_and_not1_saveexec_b32 s13, s43
	s_cbranch_execz .LBB6_12981
; %bb.12976:                            ;   in Loop: Header=BB6_12937 Depth=3
	s_mov_b32 s43, exec_lo
                                        ; implicit-def: $vgpr22
	v_cmpx_ne_u64_e32 0, v[18:19]
	s_xor_b32 s43, exec_lo, s43
; %bb.12977:                            ;   in Loop: Header=BB6_12937 Depth=3
	v_lshrrev_b32_e32 v1, 24, v3
                                        ; implicit-def: $vgpr3
	s_delay_alu instid0(VALU_DEP_1)
	v_or_b32_e32 v22, 0x7f, v1
; %bb.12978:                            ;   in Loop: Header=BB6_12937 Depth=3
	s_and_not1_saveexec_b32 s43, s43
; %bb.12979:                            ;   in Loop: Header=BB6_12937 Depth=3
	v_cmp_lt_i32_e32 vcc_lo, -1, v3
	v_cndmask_b32_e64 v22, -4, 0x7c, vcc_lo
; %bb.12980:                            ;   in Loop: Header=BB6_12937 Depth=3
	s_or_b32 exec_lo, exec_lo, s43
.LBB6_12981:                            ;   in Loop: Header=BB6_12937 Depth=3
	s_delay_alu instid0(SALU_CYCLE_1)
	s_or_b32 exec_lo, exec_lo, s13
	v_dual_mov_b32 v1, 0 :: v_dual_mov_b32 v3, 0
	s_mov_b32 s43, exec_lo
	v_cmpx_ne_u16_e32 0, v16
	s_cbranch_execz .LBB6_12991
; %bb.12982:                            ;   in Loop: Header=BB6_12937 Depth=3
	v_bfrev_b32_e32 v3, 1
	s_mov_b32 s72, exec_lo
	v_cmpx_ne_u16_e32 0xff80, v16
	s_cbranch_execz .LBB6_12990
; %bb.12983:                            ;   in Loop: Header=BB6_12937 Depth=3
	v_and_b32_e32 v3, 0x7c, v16
	v_and_b32_e32 v5, 3, v16
	s_delay_alu instid0(VALU_DEP_2) | instskip(SKIP_1) | instid1(SALU_CYCLE_1)
	v_cmp_ne_u32_e32 vcc_lo, 0x7c, v3
                                        ; implicit-def: $vgpr3
	s_and_saveexec_b32 s13, vcc_lo
	s_xor_b32 s13, exec_lo, s13
	s_cbranch_execz .LBB6_12987
; %bb.12984:                            ;   in Loop: Header=BB6_12937 Depth=3
	v_and_b32_e32 v3, 0xff, v16
	s_mov_b32 s73, exec_lo
	s_delay_alu instid0(VALU_DEP_1) | instskip(NEXT) | instid1(VALU_DEP_1)
	v_bfe_u32 v3, v3, 2, 5
	v_cmpx_eq_u32_e32 0, v3
	s_cbranch_execz .LBB6_12986
; %bb.12985:                            ;   in Loop: Header=BB6_12937 Depth=3
	v_clz_i32_u32_e32 v3, v5
	s_delay_alu instid0(VALU_DEP_1) | instskip(SKIP_1) | instid1(VALU_DEP_2)
	v_min_u32_e32 v3, 32, v3
	v_mov_b32_e32 v17, v21
	v_subrev_nc_u32_e32 v5, 29, v3
	v_sub_nc_u32_e32 v3, 30, v3
	s_delay_alu instid0(VALU_DEP_2) | instskip(NEXT) | instid1(VALU_DEP_1)
	v_lshlrev_b64_e32 v[18:19], v5, v[16:17]
	v_and_b32_e32 v5, 3, v18
.LBB6_12986:                            ;   in Loop: Header=BB6_12937 Depth=3
	s_or_b32 exec_lo, exec_lo, s73
	v_bfe_i32 v7, v16, 0, 16
                                        ; implicit-def: $vgpr16
	s_delay_alu instid0(VALU_DEP_1) | instskip(NEXT) | instid1(VALU_DEP_1)
	v_and_b32_e32 v7, 0x80000000, v7
	v_lshl_add_u32 v3, v3, 23, v7
	s_delay_alu instid0(VALU_DEP_1) | instskip(NEXT) | instid1(VALU_DEP_1)
	v_lshl_or_b32 v3, v5, 21, v3
                                        ; implicit-def: $vgpr5
	v_add_nc_u32_e32 v3, 0x38000000, v3
.LBB6_12987:                            ;   in Loop: Header=BB6_12937 Depth=3
	s_and_not1_saveexec_b32 s73, s13
; %bb.12988:                            ;   in Loop: Header=BB6_12937 Depth=3
	v_cmp_lt_i16_e64 s13, -1, v16
	v_mov_b32_e32 v3, 0x7f800000
	v_cmp_eq_u32_e32 vcc_lo, 0, v5
	s_delay_alu instid0(VALU_DEP_2) | instskip(NEXT) | instid1(VALU_DEP_1)
	v_cndmask_b32_e64 v3, 0xff800000, v3, s13
	v_cndmask_b32_e32 v3, 0x7f800001, v3, vcc_lo
; %bb.12989:                            ;   in Loop: Header=BB6_12937 Depth=3
	s_or_b32 exec_lo, exec_lo, s73
.LBB6_12990:                            ;   in Loop: Header=BB6_12937 Depth=3
	s_delay_alu instid0(SALU_CYCLE_1)
	s_or_b32 exec_lo, exec_lo, s72
.LBB6_12991:                            ;   in Loop: Header=BB6_12937 Depth=3
	s_delay_alu instid0(SALU_CYCLE_1) | instskip(NEXT) | instid1(SALU_CYCLE_1)
	s_or_b32 exec_lo, exec_lo, s43
	s_mov_b32 s43, exec_lo
	v_cmpx_ne_u16_e32 0, v14
	s_cbranch_execz .LBB6_13001
; %bb.12992:                            ;   in Loop: Header=BB6_12937 Depth=3
	v_bfrev_b32_e32 v1, 1
	s_mov_b32 s72, exec_lo
	v_cmpx_ne_u16_e32 0xff80, v14
	s_cbranch_execz .LBB6_13000
; %bb.12993:                            ;   in Loop: Header=BB6_12937 Depth=3
	v_and_b32_e32 v1, 0x7c, v14
	v_and_b32_e32 v5, 3, v14
	s_delay_alu instid0(VALU_DEP_2) | instskip(SKIP_1) | instid1(SALU_CYCLE_1)
	v_cmp_ne_u32_e32 vcc_lo, 0x7c, v1
                                        ; implicit-def: $vgpr1
	s_and_saveexec_b32 s13, vcc_lo
	s_xor_b32 s13, exec_lo, s13
	s_cbranch_execz .LBB6_12997
; %bb.12994:                            ;   in Loop: Header=BB6_12937 Depth=3
	v_and_b32_e32 v1, 0xff, v14
	s_mov_b32 s73, exec_lo
	s_delay_alu instid0(VALU_DEP_1) | instskip(NEXT) | instid1(VALU_DEP_1)
	v_bfe_u32 v1, v1, 2, 5
	v_cmpx_eq_u32_e32 0, v1
	s_cbranch_execz .LBB6_12996
; %bb.12995:                            ;   in Loop: Header=BB6_12937 Depth=3
	v_clz_i32_u32_e32 v1, v5
	s_delay_alu instid0(VALU_DEP_1) | instskip(SKIP_1) | instid1(VALU_DEP_2)
	v_min_u32_e32 v1, 32, v1
	v_mov_b32_e32 v15, v21
	v_subrev_nc_u32_e32 v5, 29, v1
	v_sub_nc_u32_e32 v1, 30, v1
	s_delay_alu instid0(VALU_DEP_2) | instskip(NEXT) | instid1(VALU_DEP_1)
	v_lshlrev_b64_e32 v[16:17], v5, v[14:15]
	v_and_b32_e32 v5, 3, v16
.LBB6_12996:                            ;   in Loop: Header=BB6_12937 Depth=3
	s_or_b32 exec_lo, exec_lo, s73
	v_bfe_i32 v7, v14, 0, 16
                                        ; implicit-def: $vgpr14
	s_delay_alu instid0(VALU_DEP_1) | instskip(NEXT) | instid1(VALU_DEP_1)
	v_and_b32_e32 v7, 0x80000000, v7
	v_lshl_add_u32 v1, v1, 23, v7
	s_delay_alu instid0(VALU_DEP_1) | instskip(NEXT) | instid1(VALU_DEP_1)
	v_lshl_or_b32 v1, v5, 21, v1
                                        ; implicit-def: $vgpr5
	v_add_nc_u32_e32 v1, 0x38000000, v1
.LBB6_12997:                            ;   in Loop: Header=BB6_12937 Depth=3
	s_and_not1_saveexec_b32 s73, s13
; %bb.12998:                            ;   in Loop: Header=BB6_12937 Depth=3
	v_cmp_lt_i16_e64 s13, -1, v14
	v_mov_b32_e32 v1, 0x7f800000
	v_cmp_eq_u32_e32 vcc_lo, 0, v5
	s_delay_alu instid0(VALU_DEP_2) | instskip(NEXT) | instid1(VALU_DEP_1)
	v_cndmask_b32_e64 v1, 0xff800000, v1, s13
	v_cndmask_b32_e32 v1, 0x7f800001, v1, vcc_lo
; %bb.12999:                            ;   in Loop: Header=BB6_12937 Depth=3
	s_or_b32 exec_lo, exec_lo, s73
.LBB6_13000:                            ;   in Loop: Header=BB6_12937 Depth=3
	s_delay_alu instid0(SALU_CYCLE_1)
	s_or_b32 exec_lo, exec_lo, s72
.LBB6_13001:                            ;   in Loop: Header=BB6_12937 Depth=3
	s_delay_alu instid0(SALU_CYCLE_1) | instskip(NEXT) | instid1(VALU_DEP_1)
	s_or_b32 exec_lo, exec_lo, s43
	v_dual_mul_f32 v3, v3, v1 :: v_dual_mov_b32 v15, v21
                                        ; implicit-def: $vgpr18
	s_delay_alu instid0(VALU_DEP_1) | instskip(NEXT) | instid1(VALU_DEP_1)
	v_and_b32_e32 v14, 0x7f800000, v3
	v_cmp_ne_u64_e32 vcc_lo, 0x7f800000, v[14:15]
	v_and_b32_e32 v14, 0x7fffff, v3
	s_and_saveexec_b32 s13, vcc_lo
	s_delay_alu instid0(SALU_CYCLE_1)
	s_xor_b32 s43, exec_lo, s13
	s_cbranch_execz .LBB6_13019
; %bb.13002:                            ;   in Loop: Header=BB6_12937 Depth=3
	v_dual_mov_b32 v17, v21 :: v_dual_lshrrev_b32 v1, 24, v3
	v_and_b32_e32 v16, 0x7fffffff, v3
                                        ; implicit-def: $vgpr18
	s_mov_b32 s13, exec_lo
	s_delay_alu instid0(VALU_DEP_2) | instskip(NEXT) | instid1(VALU_DEP_2)
	v_and_b32_e32 v1, 0x80, v1
	v_cmpx_gt_u64_e32 0x47600001, v[16:17]
	s_xor_b32 s72, exec_lo, s13
	s_cbranch_execz .LBB6_13016
; %bb.13003:                            ;   in Loop: Header=BB6_12937 Depth=3
	v_mov_b32_e32 v18, 0
	s_mov_b32 s73, exec_lo
	v_cmpx_ne_u32_e32 0, v3
	s_cbranch_execz .LBB6_13015
; %bb.13004:                            ;   in Loop: Header=BB6_12937 Depth=3
	v_bfe_u32 v3, v3, 23, 8
	v_or_b32_e32 v7, 0x800000, v14
	s_delay_alu instid0(VALU_DEP_2) | instskip(SKIP_1) | instid1(VALU_DEP_3)
	v_cmp_eq_u32_e32 vcc_lo, 0, v3
	v_cmp_gt_u32_e64 s13, 0x72, v3
	v_dual_cndmask_b32 v14, v7, v14 :: v_dual_sub_nc_u32 v5, 0x71, v3
	s_delay_alu instid0(VALU_DEP_1) | instskip(NEXT) | instid1(VALU_DEP_1)
	v_cndmask_b32_e64 v5, 0, v5, s13
	v_cndmask_b32_e64 v5, v5, 0x70, vcc_lo
	s_delay_alu instid0(VALU_DEP_1) | instskip(NEXT) | instid1(VALU_DEP_1)
	v_add_nc_u32_e32 v7, 21, v5
	v_lshlrev_b64_e64 v[16:17], v7, -1
	v_add_nc_u32_e32 v7, 20, v5
	s_delay_alu instid0(VALU_DEP_1) | instskip(NEXT) | instid1(VALU_DEP_3)
	v_lshlrev_b64_e64 v[18:19], v7, 1
	v_bfi_b32 v16, v16, 0, v14
	v_lshrrev_b64 v[14:15], v5, v[14:15]
	v_bfi_b32 v17, v17, 0, 0
	s_delay_alu instid0(VALU_DEP_1) | instskip(NEXT) | instid1(VALU_DEP_3)
	v_cmp_eq_u64_e64 s13, v[16:17], v[18:19]
	v_mov_b64_e32 v[16:17], v[14:15]
	s_and_saveexec_b32 s74, s13
; %bb.13005:                            ;   in Loop: Header=BB6_12937 Depth=3
	v_bfe_u32 v16, v14, 21, 1
	v_mov_b32_e32 v17, v21
	s_delay_alu instid0(VALU_DEP_1) | instskip(NEXT) | instid1(VALU_DEP_1)
	v_add_nc_u64_e32 v[16:17], v[14:15], v[16:17]
	v_add_nc_u64_e32 v[16:17], -1, v[16:17]
; %bb.13006:                            ;   in Loop: Header=BB6_12937 Depth=3
	s_or_b32 exec_lo, exec_lo, s74
	v_add_nc_u32_e32 v3, 0xffffff81, v3
	v_lshrrev_b32_e32 v7, 23, v14
	s_mov_b32 s13, exec_lo
	v_mov_b32_e32 v15, v21
	s_delay_alu instid0(VALU_DEP_3) | instskip(NEXT) | instid1(VALU_DEP_1)
	v_cndmask_b32_e64 v3, v3, 0xffffff82, vcc_lo
	v_add3_u32 v7, v5, v3, v7
	v_and_b32_e32 v3, 0x1fffff, v16
	s_delay_alu instid0(VALU_DEP_1) | instskip(NEXT) | instid1(VALU_DEP_1)
	v_dual_add_nc_u32 v5, 14, v7 :: v_dual_add_nc_u32 v14, v3, v14
                                        ; implicit-def: $vgpr3
	v_cmpx_ne_u32_e32 0, v5
	s_xor_b32 s13, exec_lo, s13
; %bb.13007:                            ;   in Loop: Header=BB6_12937 Depth=3
	s_delay_alu instid0(VALU_DEP_2) | instskip(SKIP_1) | instid1(VALU_DEP_1)
	v_cmp_lt_u64_e32 vcc_lo, 0xffffff, v[14:15]
	v_add_nc_u32_e32 v3, 15, v7
	v_cndmask_b32_e32 v3, v5, v3, vcc_lo
	v_cndmask_b32_e64 v5, 0, 1, vcc_lo
	s_delay_alu instid0(VALU_DEP_1)
	v_lshrrev_b64 v[14:15], v5, v[14:15]
; %bb.13008:                            ;   in Loop: Header=BB6_12937 Depth=3
	s_and_not1_saveexec_b32 s13, s13
; %bb.13009:                            ;   in Loop: Header=BB6_12937 Depth=3
	s_delay_alu instid0(VALU_DEP_1)
	v_bfe_u32 v3, v14, 23, 1
; %bb.13010:                            ;   in Loop: Header=BB6_12937 Depth=3
	s_or_b32 exec_lo, exec_lo, s13
	s_delay_alu instid0(VALU_DEP_2) | instskip(NEXT) | instid1(VALU_DEP_2)
	v_lshrrev_b64 v[14:15], 21, v[14:15]
	v_cmp_gt_i32_e32 vcc_lo, 32, v3
	v_cmp_ne_u32_e64 s13, 0, v3
                                        ; implicit-def: $vgpr18
	s_delay_alu instid0(VALU_DEP_3) | instskip(NEXT) | instid1(VALU_DEP_1)
	v_dual_cndmask_b32 v15, 0, v15 :: v_dual_cndmask_b32 v14, 3, v14
	v_cmp_ne_u64_e32 vcc_lo, 0, v[14:15]
	s_or_b32 s13, s13, vcc_lo
	s_delay_alu instid0(SALU_CYCLE_1) | instskip(NEXT) | instid1(SALU_CYCLE_1)
	s_and_saveexec_b32 s74, s13
	s_xor_b32 s13, exec_lo, s74
; %bb.13011:                            ;   in Loop: Header=BB6_12937 Depth=3
	v_min_i32_e32 v3, 31, v3
	s_delay_alu instid0(VALU_DEP_1) | instskip(NEXT) | instid1(VALU_DEP_1)
	v_lshl_or_b32 v1, v3, 2, v1
	v_and_or_b32 v18, v14, 3, v1
                                        ; implicit-def: $vgpr1
; %bb.13012:                            ;   in Loop: Header=BB6_12937 Depth=3
	s_and_not1_saveexec_b32 s13, s13
; %bb.13013:                            ;   in Loop: Header=BB6_12937 Depth=3
	v_mov_b32_e32 v18, v1
; %bb.13014:                            ;   in Loop: Header=BB6_12937 Depth=3
	s_or_b32 exec_lo, exec_lo, s13
.LBB6_13015:                            ;   in Loop: Header=BB6_12937 Depth=3
	s_delay_alu instid0(SALU_CYCLE_1)
	s_or_b32 exec_lo, exec_lo, s73
                                        ; implicit-def: $vgpr1
.LBB6_13016:                            ;   in Loop: Header=BB6_12937 Depth=3
	s_and_not1_saveexec_b32 s13, s72
; %bb.13017:                            ;   in Loop: Header=BB6_12937 Depth=3
	v_or_b32_e32 v18, 0x7b, v1
; %bb.13018:                            ;   in Loop: Header=BB6_12937 Depth=3
	s_or_b32 exec_lo, exec_lo, s13
                                        ; implicit-def: $vgpr3
                                        ; implicit-def: $vgpr14_vgpr15
.LBB6_13019:                            ;   in Loop: Header=BB6_12937 Depth=3
	s_and_not1_saveexec_b32 s13, s43
	s_cbranch_execz .LBB6_13025
; %bb.13020:                            ;   in Loop: Header=BB6_12937 Depth=3
	s_mov_b32 s43, exec_lo
                                        ; implicit-def: $vgpr18
	v_cmpx_ne_u64_e32 0, v[14:15]
	s_xor_b32 s43, exec_lo, s43
; %bb.13021:                            ;   in Loop: Header=BB6_12937 Depth=3
	v_lshrrev_b32_e32 v1, 24, v3
                                        ; implicit-def: $vgpr3
	s_delay_alu instid0(VALU_DEP_1)
	v_or_b32_e32 v18, 0x7f, v1
; %bb.13022:                            ;   in Loop: Header=BB6_12937 Depth=3
	s_and_not1_saveexec_b32 s43, s43
; %bb.13023:                            ;   in Loop: Header=BB6_12937 Depth=3
	v_cmp_lt_i32_e32 vcc_lo, -1, v3
	v_cndmask_b32_e64 v18, -4, 0x7c, vcc_lo
; %bb.13024:                            ;   in Loop: Header=BB6_12937 Depth=3
	s_or_b32 exec_lo, exec_lo, s43
.LBB6_13025:                            ;   in Loop: Header=BB6_12937 Depth=3
	s_delay_alu instid0(SALU_CYCLE_1)
	s_or_b32 exec_lo, exec_lo, s13
	v_dual_mov_b32 v1, 0 :: v_dual_mov_b32 v3, 0
	s_mov_b32 s43, exec_lo
	v_cmpx_ne_u16_e32 0, v76
	s_cbranch_execz .LBB6_13035
; %bb.13026:                            ;   in Loop: Header=BB6_12937 Depth=3
	v_bfrev_b32_e32 v3, 1
	s_mov_b32 s72, exec_lo
	v_cmpx_ne_u16_e32 0xff80, v76
	s_cbranch_execz .LBB6_13034
; %bb.13027:                            ;   in Loop: Header=BB6_12937 Depth=3
	v_and_b32_e32 v3, 0x7c, v76
	v_and_b32_e32 v5, 3, v76
	s_delay_alu instid0(VALU_DEP_2) | instskip(SKIP_1) | instid1(SALU_CYCLE_1)
	v_cmp_ne_u32_e32 vcc_lo, 0x7c, v3
                                        ; implicit-def: $vgpr3
	s_and_saveexec_b32 s13, vcc_lo
	s_xor_b32 s13, exec_lo, s13
	s_cbranch_execz .LBB6_13031
; %bb.13028:                            ;   in Loop: Header=BB6_12937 Depth=3
	v_and_b32_e32 v3, 0xff, v76
	s_mov_b32 s73, exec_lo
	s_delay_alu instid0(VALU_DEP_1) | instskip(NEXT) | instid1(VALU_DEP_1)
	v_bfe_u32 v3, v3, 2, 5
	v_cmpx_eq_u32_e32 0, v3
	s_cbranch_execz .LBB6_13030
; %bb.13029:                            ;   in Loop: Header=BB6_12937 Depth=3
	v_clz_i32_u32_e32 v3, v5
	s_delay_alu instid0(VALU_DEP_1) | instskip(SKIP_1) | instid1(VALU_DEP_2)
	v_min_u32_e32 v3, 32, v3
	v_mov_b32_e32 v77, v21
	v_subrev_nc_u32_e32 v5, 29, v3
	v_sub_nc_u32_e32 v3, 30, v3
	s_delay_alu instid0(VALU_DEP_2) | instskip(NEXT) | instid1(VALU_DEP_1)
	v_lshlrev_b64_e32 v[14:15], v5, v[76:77]
	v_and_b32_e32 v5, 3, v14
.LBB6_13030:                            ;   in Loop: Header=BB6_12937 Depth=3
	s_or_b32 exec_lo, exec_lo, s73
	v_bfe_i32 v7, v76, 0, 16
                                        ; implicit-def: $vgpr76
	s_delay_alu instid0(VALU_DEP_1) | instskip(NEXT) | instid1(VALU_DEP_1)
	v_and_b32_e32 v7, 0x80000000, v7
	v_lshl_add_u32 v3, v3, 23, v7
	s_delay_alu instid0(VALU_DEP_1) | instskip(NEXT) | instid1(VALU_DEP_1)
	v_lshl_or_b32 v3, v5, 21, v3
                                        ; implicit-def: $vgpr5
	v_add_nc_u32_e32 v3, 0x38000000, v3
.LBB6_13031:                            ;   in Loop: Header=BB6_12937 Depth=3
	s_and_not1_saveexec_b32 s73, s13
; %bb.13032:                            ;   in Loop: Header=BB6_12937 Depth=3
	v_cmp_lt_i16_e64 s13, -1, v76
	v_mov_b32_e32 v3, 0x7f800000
	v_cmp_eq_u32_e32 vcc_lo, 0, v5
	s_delay_alu instid0(VALU_DEP_2) | instskip(NEXT) | instid1(VALU_DEP_1)
	v_cndmask_b32_e64 v3, 0xff800000, v3, s13
	v_cndmask_b32_e32 v3, 0x7f800001, v3, vcc_lo
; %bb.13033:                            ;   in Loop: Header=BB6_12937 Depth=3
	s_or_b32 exec_lo, exec_lo, s73
.LBB6_13034:                            ;   in Loop: Header=BB6_12937 Depth=3
	s_delay_alu instid0(SALU_CYCLE_1)
	s_or_b32 exec_lo, exec_lo, s72
.LBB6_13035:                            ;   in Loop: Header=BB6_12937 Depth=3
	s_delay_alu instid0(SALU_CYCLE_1) | instskip(NEXT) | instid1(SALU_CYCLE_1)
	s_or_b32 exec_lo, exec_lo, s43
	s_mov_b32 s43, exec_lo
	v_cmpx_ne_u16_e32 0, v82
	s_cbranch_execz .LBB6_13045
; %bb.13036:                            ;   in Loop: Header=BB6_12937 Depth=3
	v_bfrev_b32_e32 v1, 1
	s_mov_b32 s72, exec_lo
	v_cmpx_ne_u16_e32 0xff80, v82
	s_cbranch_execz .LBB6_13044
; %bb.13037:                            ;   in Loop: Header=BB6_12937 Depth=3
	v_and_b32_e32 v1, 0x7c, v82
	v_and_b32_e32 v5, 3, v82
	s_delay_alu instid0(VALU_DEP_2) | instskip(SKIP_1) | instid1(SALU_CYCLE_1)
	v_cmp_ne_u32_e32 vcc_lo, 0x7c, v1
                                        ; implicit-def: $vgpr1
	s_and_saveexec_b32 s13, vcc_lo
	s_xor_b32 s13, exec_lo, s13
	s_cbranch_execz .LBB6_13041
; %bb.13038:                            ;   in Loop: Header=BB6_12937 Depth=3
	v_and_b32_e32 v1, 0xff, v82
	s_mov_b32 s73, exec_lo
	s_delay_alu instid0(VALU_DEP_1) | instskip(NEXT) | instid1(VALU_DEP_1)
	v_bfe_u32 v1, v1, 2, 5
	v_cmpx_eq_u32_e32 0, v1
	s_cbranch_execz .LBB6_13040
; %bb.13039:                            ;   in Loop: Header=BB6_12937 Depth=3
	v_clz_i32_u32_e32 v1, v5
	s_delay_alu instid0(VALU_DEP_1) | instskip(SKIP_1) | instid1(VALU_DEP_2)
	v_min_u32_e32 v1, 32, v1
	v_mov_b32_e32 v83, v21
	v_subrev_nc_u32_e32 v5, 29, v1
	v_sub_nc_u32_e32 v1, 30, v1
	s_delay_alu instid0(VALU_DEP_2) | instskip(NEXT) | instid1(VALU_DEP_1)
	v_lshlrev_b64_e32 v[14:15], v5, v[82:83]
	v_and_b32_e32 v5, 3, v14
.LBB6_13040:                            ;   in Loop: Header=BB6_12937 Depth=3
	s_or_b32 exec_lo, exec_lo, s73
	v_bfe_i32 v7, v82, 0, 16
                                        ; implicit-def: $vgpr82
	s_delay_alu instid0(VALU_DEP_1) | instskip(NEXT) | instid1(VALU_DEP_1)
	v_and_b32_e32 v7, 0x80000000, v7
	v_lshl_add_u32 v1, v1, 23, v7
	s_delay_alu instid0(VALU_DEP_1) | instskip(NEXT) | instid1(VALU_DEP_1)
	v_lshl_or_b32 v1, v5, 21, v1
                                        ; implicit-def: $vgpr5
	v_add_nc_u32_e32 v1, 0x38000000, v1
.LBB6_13041:                            ;   in Loop: Header=BB6_12937 Depth=3
	s_and_not1_saveexec_b32 s73, s13
; %bb.13042:                            ;   in Loop: Header=BB6_12937 Depth=3
	v_cmp_lt_i16_e64 s13, -1, v82
	v_mov_b32_e32 v1, 0x7f800000
	v_cmp_eq_u32_e32 vcc_lo, 0, v5
	s_delay_alu instid0(VALU_DEP_2) | instskip(NEXT) | instid1(VALU_DEP_1)
	v_cndmask_b32_e64 v1, 0xff800000, v1, s13
	v_cndmask_b32_e32 v1, 0x7f800001, v1, vcc_lo
; %bb.13043:                            ;   in Loop: Header=BB6_12937 Depth=3
	s_or_b32 exec_lo, exec_lo, s73
.LBB6_13044:                            ;   in Loop: Header=BB6_12937 Depth=3
	s_delay_alu instid0(SALU_CYCLE_1)
	s_or_b32 exec_lo, exec_lo, s72
.LBB6_13045:                            ;   in Loop: Header=BB6_12937 Depth=3
	s_delay_alu instid0(SALU_CYCLE_1) | instskip(NEXT) | instid1(VALU_DEP_1)
	s_or_b32 exec_lo, exec_lo, s43
	v_dual_mul_f32 v3, v3, v1 :: v_dual_mov_b32 v15, v21
                                        ; implicit-def: $vgpr16
	s_delay_alu instid0(VALU_DEP_1) | instskip(NEXT) | instid1(VALU_DEP_1)
	v_and_b32_e32 v14, 0x7f800000, v3
	v_cmp_ne_u64_e32 vcc_lo, 0x7f800000, v[14:15]
	v_and_b32_e32 v14, 0x7fffff, v3
	s_and_saveexec_b32 s13, vcc_lo
	s_delay_alu instid0(SALU_CYCLE_1)
	s_xor_b32 s43, exec_lo, s13
	s_cbranch_execz .LBB6_13063
; %bb.13046:                            ;   in Loop: Header=BB6_12937 Depth=3
	v_and_b32_e32 v16, 0x7fffffff, v3
	v_dual_mov_b32 v17, v21 :: v_dual_lshrrev_b32 v1, 24, v3
	s_delay_alu instid0(VALU_DEP_1) | instskip(NEXT) | instid1(VALU_DEP_2)
	v_cmp_gt_u64_e32 vcc_lo, 0x47600001, v[16:17]
	v_and_b32_e32 v1, 0x80, v1
                                        ; implicit-def: $vgpr16
	s_and_saveexec_b32 s13, vcc_lo
	s_delay_alu instid0(SALU_CYCLE_1)
	s_xor_b32 s72, exec_lo, s13
	s_cbranch_execz .LBB6_13060
; %bb.13047:                            ;   in Loop: Header=BB6_12937 Depth=3
	v_mov_b32_e32 v16, 0
	s_mov_b32 s73, exec_lo
	v_cmpx_ne_u32_e32 0, v3
	s_cbranch_execz .LBB6_13059
; %bb.13048:                            ;   in Loop: Header=BB6_12937 Depth=3
	v_bfe_u32 v3, v3, 23, 8
	v_or_b32_e32 v7, 0x800000, v14
	s_delay_alu instid0(VALU_DEP_2) | instskip(SKIP_1) | instid1(VALU_DEP_3)
	v_cmp_eq_u32_e32 vcc_lo, 0, v3
	v_cmp_gt_u32_e64 s13, 0x72, v3
	v_dual_cndmask_b32 v14, v7, v14 :: v_dual_sub_nc_u32 v5, 0x71, v3
	s_delay_alu instid0(VALU_DEP_1) | instskip(NEXT) | instid1(VALU_DEP_1)
	v_cndmask_b32_e64 v5, 0, v5, s13
	v_cndmask_b32_e64 v5, v5, 0x70, vcc_lo
	s_delay_alu instid0(VALU_DEP_1) | instskip(NEXT) | instid1(VALU_DEP_1)
	v_add_nc_u32_e32 v7, 21, v5
	v_lshlrev_b64_e64 v[16:17], v7, -1
	v_add_nc_u32_e32 v7, 20, v5
	s_delay_alu instid0(VALU_DEP_1) | instskip(NEXT) | instid1(VALU_DEP_3)
	v_lshlrev_b64_e64 v[24:25], v7, 1
	v_bfi_b32 v16, v16, 0, v14
	v_lshrrev_b64 v[14:15], v5, v[14:15]
	v_bfi_b32 v17, v17, 0, 0
	s_delay_alu instid0(VALU_DEP_1) | instskip(NEXT) | instid1(VALU_DEP_3)
	v_cmp_eq_u64_e64 s13, v[16:17], v[24:25]
	v_mov_b64_e32 v[16:17], v[14:15]
	s_and_saveexec_b32 s74, s13
; %bb.13049:                            ;   in Loop: Header=BB6_12937 Depth=3
	v_bfe_u32 v16, v14, 21, 1
	v_mov_b32_e32 v17, v21
	s_delay_alu instid0(VALU_DEP_1) | instskip(NEXT) | instid1(VALU_DEP_1)
	v_add_nc_u64_e32 v[16:17], v[14:15], v[16:17]
	v_add_nc_u64_e32 v[16:17], -1, v[16:17]
; %bb.13050:                            ;   in Loop: Header=BB6_12937 Depth=3
	s_or_b32 exec_lo, exec_lo, s74
	v_add_nc_u32_e32 v3, 0xffffff81, v3
	v_lshrrev_b32_e32 v7, 23, v14
	s_mov_b32 s13, exec_lo
	v_mov_b32_e32 v15, v21
	s_delay_alu instid0(VALU_DEP_3) | instskip(NEXT) | instid1(VALU_DEP_1)
	v_cndmask_b32_e64 v3, v3, 0xffffff82, vcc_lo
	v_add3_u32 v7, v5, v3, v7
	v_and_b32_e32 v3, 0x1fffff, v16
	s_delay_alu instid0(VALU_DEP_1) | instskip(NEXT) | instid1(VALU_DEP_1)
	v_dual_add_nc_u32 v5, 14, v7 :: v_dual_add_nc_u32 v14, v3, v14
                                        ; implicit-def: $vgpr3
	v_cmpx_ne_u32_e32 0, v5
	s_xor_b32 s13, exec_lo, s13
; %bb.13051:                            ;   in Loop: Header=BB6_12937 Depth=3
	s_delay_alu instid0(VALU_DEP_2) | instskip(SKIP_1) | instid1(VALU_DEP_1)
	v_cmp_lt_u64_e32 vcc_lo, 0xffffff, v[14:15]
	v_add_nc_u32_e32 v3, 15, v7
	v_cndmask_b32_e32 v3, v5, v3, vcc_lo
	v_cndmask_b32_e64 v5, 0, 1, vcc_lo
	s_delay_alu instid0(VALU_DEP_1)
	v_lshrrev_b64 v[14:15], v5, v[14:15]
; %bb.13052:                            ;   in Loop: Header=BB6_12937 Depth=3
	s_and_not1_saveexec_b32 s13, s13
; %bb.13053:                            ;   in Loop: Header=BB6_12937 Depth=3
	s_delay_alu instid0(VALU_DEP_1)
	v_bfe_u32 v3, v14, 23, 1
; %bb.13054:                            ;   in Loop: Header=BB6_12937 Depth=3
	s_or_b32 exec_lo, exec_lo, s13
	s_delay_alu instid0(VALU_DEP_2) | instskip(NEXT) | instid1(VALU_DEP_2)
	v_lshrrev_b64 v[14:15], 21, v[14:15]
	v_cmp_gt_i32_e32 vcc_lo, 32, v3
	v_cmp_ne_u32_e64 s13, 0, v3
                                        ; implicit-def: $vgpr16
	s_delay_alu instid0(VALU_DEP_3) | instskip(NEXT) | instid1(VALU_DEP_1)
	v_dual_cndmask_b32 v15, 0, v15 :: v_dual_cndmask_b32 v14, 3, v14
	v_cmp_ne_u64_e32 vcc_lo, 0, v[14:15]
	s_or_b32 s13, s13, vcc_lo
	s_delay_alu instid0(SALU_CYCLE_1) | instskip(NEXT) | instid1(SALU_CYCLE_1)
	s_and_saveexec_b32 s74, s13
	s_xor_b32 s13, exec_lo, s74
; %bb.13055:                            ;   in Loop: Header=BB6_12937 Depth=3
	v_min_i32_e32 v3, 31, v3
	s_delay_alu instid0(VALU_DEP_1) | instskip(NEXT) | instid1(VALU_DEP_1)
	v_lshl_or_b32 v1, v3, 2, v1
	v_and_or_b32 v16, v14, 3, v1
                                        ; implicit-def: $vgpr1
; %bb.13056:                            ;   in Loop: Header=BB6_12937 Depth=3
	s_and_not1_saveexec_b32 s13, s13
; %bb.13057:                            ;   in Loop: Header=BB6_12937 Depth=3
	v_mov_b32_e32 v16, v1
; %bb.13058:                            ;   in Loop: Header=BB6_12937 Depth=3
	s_or_b32 exec_lo, exec_lo, s13
.LBB6_13059:                            ;   in Loop: Header=BB6_12937 Depth=3
	s_delay_alu instid0(SALU_CYCLE_1)
	s_or_b32 exec_lo, exec_lo, s73
                                        ; implicit-def: $vgpr1
.LBB6_13060:                            ;   in Loop: Header=BB6_12937 Depth=3
	s_and_not1_saveexec_b32 s13, s72
; %bb.13061:                            ;   in Loop: Header=BB6_12937 Depth=3
	v_or_b32_e32 v16, 0x7b, v1
; %bb.13062:                            ;   in Loop: Header=BB6_12937 Depth=3
	s_or_b32 exec_lo, exec_lo, s13
                                        ; implicit-def: $vgpr3
                                        ; implicit-def: $vgpr14_vgpr15
.LBB6_13063:                            ;   in Loop: Header=BB6_12937 Depth=3
	s_and_not1_saveexec_b32 s13, s43
	s_cbranch_execz .LBB6_13069
; %bb.13064:                            ;   in Loop: Header=BB6_12937 Depth=3
	s_mov_b32 s43, exec_lo
                                        ; implicit-def: $vgpr16
	v_cmpx_ne_u64_e32 0, v[14:15]
	s_xor_b32 s43, exec_lo, s43
; %bb.13065:                            ;   in Loop: Header=BB6_12937 Depth=3
	v_lshrrev_b32_e32 v1, 24, v3
                                        ; implicit-def: $vgpr3
	s_delay_alu instid0(VALU_DEP_1)
	v_or_b32_e32 v16, 0x7f, v1
; %bb.13066:                            ;   in Loop: Header=BB6_12937 Depth=3
	s_and_not1_saveexec_b32 s43, s43
; %bb.13067:                            ;   in Loop: Header=BB6_12937 Depth=3
	v_cmp_lt_i32_e32 vcc_lo, -1, v3
	v_cndmask_b32_e64 v16, -4, 0x7c, vcc_lo
; %bb.13068:                            ;   in Loop: Header=BB6_12937 Depth=3
	s_or_b32 exec_lo, exec_lo, s43
.LBB6_13069:                            ;   in Loop: Header=BB6_12937 Depth=3
	s_delay_alu instid0(SALU_CYCLE_1)
	s_or_b32 exec_lo, exec_lo, s13
	v_dual_mov_b32 v1, 0 :: v_dual_mov_b32 v3, 0
	s_mov_b32 s43, exec_lo
	v_cmpx_ne_u16_e32 0, v2
	s_cbranch_execz .LBB6_13079
; %bb.13070:                            ;   in Loop: Header=BB6_12937 Depth=3
	v_bfrev_b32_e32 v3, 1
	s_mov_b32 s72, exec_lo
	v_cmpx_ne_u16_e32 0xff80, v2
	s_cbranch_execz .LBB6_13078
; %bb.13071:                            ;   in Loop: Header=BB6_12937 Depth=3
	v_and_b32_e32 v3, 0x7c, v2
	v_and_b32_e32 v5, 3, v2
	s_delay_alu instid0(VALU_DEP_2) | instskip(SKIP_1) | instid1(SALU_CYCLE_1)
	v_cmp_ne_u32_e32 vcc_lo, 0x7c, v3
                                        ; implicit-def: $vgpr3
	s_and_saveexec_b32 s13, vcc_lo
	s_xor_b32 s13, exec_lo, s13
	s_cbranch_execz .LBB6_13075
; %bb.13072:                            ;   in Loop: Header=BB6_12937 Depth=3
	v_and_b32_e32 v3, 0xff, v2
	s_mov_b32 s73, exec_lo
	s_delay_alu instid0(VALU_DEP_1) | instskip(NEXT) | instid1(VALU_DEP_1)
	v_bfe_u32 v3, v3, 2, 5
	v_cmpx_eq_u32_e32 0, v3
; %bb.13073:                            ;   in Loop: Header=BB6_12937 Depth=3
	v_clz_i32_u32_e32 v3, v5
	s_delay_alu instid0(VALU_DEP_1) | instskip(SKIP_1) | instid1(VALU_DEP_2)
	v_min_u32_e32 v5, 32, v3
	v_mov_b32_e32 v3, v21
	v_subrev_nc_u32_e32 v7, 29, v5
	s_delay_alu instid0(VALU_DEP_1) | instskip(NEXT) | instid1(VALU_DEP_1)
	v_lshlrev_b64_e32 v[14:15], v7, v[2:3]
	v_dual_sub_nc_u32 v3, 30, v5 :: v_dual_bitop2_b32 v5, 3, v14 bitop3:0x40
; %bb.13074:                            ;   in Loop: Header=BB6_12937 Depth=3
	s_or_b32 exec_lo, exec_lo, s73
	v_bfe_i32 v2, v2, 0, 16
	s_delay_alu instid0(VALU_DEP_1) | instskip(NEXT) | instid1(VALU_DEP_1)
	v_and_b32_e32 v2, 0x80000000, v2
	v_lshl_add_u32 v2, v3, 23, v2
	s_delay_alu instid0(VALU_DEP_1) | instskip(NEXT) | instid1(VALU_DEP_1)
	v_lshl_or_b32 v2, v5, 21, v2
                                        ; implicit-def: $vgpr5
	v_add_nc_u32_e32 v3, 0x38000000, v2
                                        ; implicit-def: $vgpr2
.LBB6_13075:                            ;   in Loop: Header=BB6_12937 Depth=3
	s_and_not1_saveexec_b32 s73, s13
; %bb.13076:                            ;   in Loop: Header=BB6_12937 Depth=3
	v_cmp_lt_i16_e64 s13, -1, v2
	v_mov_b32_e32 v2, 0x7f800000
	v_cmp_eq_u32_e32 vcc_lo, 0, v5
	s_delay_alu instid0(VALU_DEP_2) | instskip(NEXT) | instid1(VALU_DEP_1)
	v_cndmask_b32_e64 v2, 0xff800000, v2, s13
	v_cndmask_b32_e32 v3, 0x7f800001, v2, vcc_lo
; %bb.13077:                            ;   in Loop: Header=BB6_12937 Depth=3
	s_or_b32 exec_lo, exec_lo, s73
.LBB6_13078:                            ;   in Loop: Header=BB6_12937 Depth=3
	s_delay_alu instid0(SALU_CYCLE_1)
	s_or_b32 exec_lo, exec_lo, s72
.LBB6_13079:                            ;   in Loop: Header=BB6_12937 Depth=3
	s_delay_alu instid0(SALU_CYCLE_1) | instskip(NEXT) | instid1(SALU_CYCLE_1)
	s_or_b32 exec_lo, exec_lo, s43
	s_mov_b32 s43, exec_lo
	v_cmpx_ne_u16_e32 0, v64
	s_cbranch_execz .LBB6_13089
; %bb.13080:                            ;   in Loop: Header=BB6_12937 Depth=3
	v_bfrev_b32_e32 v1, 1
	s_mov_b32 s72, exec_lo
	v_cmpx_ne_u16_e32 0xff80, v64
	s_cbranch_execz .LBB6_13088
; %bb.13081:                            ;   in Loop: Header=BB6_12937 Depth=3
	v_and_b32_e32 v1, 0x7c, v64
	v_and_b32_e32 v2, 3, v64
	s_delay_alu instid0(VALU_DEP_2) | instskip(SKIP_1) | instid1(SALU_CYCLE_1)
	v_cmp_ne_u32_e32 vcc_lo, 0x7c, v1
                                        ; implicit-def: $vgpr1
	s_and_saveexec_b32 s13, vcc_lo
	s_xor_b32 s13, exec_lo, s13
	s_cbranch_execz .LBB6_13085
; %bb.13082:                            ;   in Loop: Header=BB6_12937 Depth=3
	v_and_b32_e32 v1, 0xff, v64
	s_mov_b32 s73, exec_lo
	s_delay_alu instid0(VALU_DEP_1) | instskip(NEXT) | instid1(VALU_DEP_1)
	v_bfe_u32 v1, v1, 2, 5
	v_cmpx_eq_u32_e32 0, v1
	s_cbranch_execz .LBB6_13084
; %bb.13083:                            ;   in Loop: Header=BB6_12937 Depth=3
	v_clz_i32_u32_e32 v1, v2
	s_delay_alu instid0(VALU_DEP_1) | instskip(SKIP_1) | instid1(VALU_DEP_2)
	v_min_u32_e32 v1, 32, v1
	v_mov_b32_e32 v65, v21
	v_subrev_nc_u32_e32 v2, 29, v1
	v_sub_nc_u32_e32 v1, 30, v1
	s_delay_alu instid0(VALU_DEP_2) | instskip(NEXT) | instid1(VALU_DEP_1)
	v_lshlrev_b64_e32 v[14:15], v2, v[64:65]
	v_and_b32_e32 v2, 3, v14
.LBB6_13084:                            ;   in Loop: Header=BB6_12937 Depth=3
	s_or_b32 exec_lo, exec_lo, s73
	v_bfe_i32 v5, v64, 0, 16
                                        ; implicit-def: $vgpr64
	s_delay_alu instid0(VALU_DEP_1) | instskip(NEXT) | instid1(VALU_DEP_1)
	v_and_b32_e32 v5, 0x80000000, v5
	v_lshl_add_u32 v1, v1, 23, v5
	s_delay_alu instid0(VALU_DEP_1) | instskip(NEXT) | instid1(VALU_DEP_1)
	v_lshl_or_b32 v1, v2, 21, v1
                                        ; implicit-def: $vgpr2
	v_add_nc_u32_e32 v1, 0x38000000, v1
.LBB6_13085:                            ;   in Loop: Header=BB6_12937 Depth=3
	s_and_not1_saveexec_b32 s73, s13
; %bb.13086:                            ;   in Loop: Header=BB6_12937 Depth=3
	v_cmp_lt_i16_e64 s13, -1, v64
	v_mov_b32_e32 v1, 0x7f800000
	v_cmp_eq_u32_e32 vcc_lo, 0, v2
	s_delay_alu instid0(VALU_DEP_2) | instskip(NEXT) | instid1(VALU_DEP_1)
	v_cndmask_b32_e64 v1, 0xff800000, v1, s13
	v_cndmask_b32_e32 v1, 0x7f800001, v1, vcc_lo
; %bb.13087:                            ;   in Loop: Header=BB6_12937 Depth=3
	s_or_b32 exec_lo, exec_lo, s73
.LBB6_13088:                            ;   in Loop: Header=BB6_12937 Depth=3
	s_delay_alu instid0(SALU_CYCLE_1)
	s_or_b32 exec_lo, exec_lo, s72
.LBB6_13089:                            ;   in Loop: Header=BB6_12937 Depth=3
	s_delay_alu instid0(SALU_CYCLE_1) | instskip(NEXT) | instid1(VALU_DEP_1)
	s_or_b32 exec_lo, exec_lo, s43
	v_dual_mul_f32 v5, v3, v1 :: v_dual_mov_b32 v3, v21
                                        ; implicit-def: $vgpr17
	s_delay_alu instid0(VALU_DEP_1) | instskip(NEXT) | instid1(VALU_DEP_1)
	v_and_b32_e32 v2, 0x7f800000, v5
	v_cmp_ne_u64_e32 vcc_lo, 0x7f800000, v[2:3]
	v_and_b32_e32 v2, 0x7fffff, v5
	s_and_saveexec_b32 s13, vcc_lo
	s_delay_alu instid0(SALU_CYCLE_1)
	s_xor_b32 s43, exec_lo, s13
	s_cbranch_execz .LBB6_13107
; %bb.13090:                            ;   in Loop: Header=BB6_12937 Depth=3
	v_dual_mov_b32 v15, v21 :: v_dual_lshrrev_b32 v1, 24, v5
	v_and_b32_e32 v14, 0x7fffffff, v5
                                        ; implicit-def: $vgpr17
	s_mov_b32 s13, exec_lo
	s_delay_alu instid0(VALU_DEP_2) | instskip(NEXT) | instid1(VALU_DEP_2)
	v_and_b32_e32 v1, 0x80, v1
	v_cmpx_gt_u64_e32 0x47600001, v[14:15]
	s_xor_b32 s72, exec_lo, s13
	s_cbranch_execz .LBB6_13104
; %bb.13091:                            ;   in Loop: Header=BB6_12937 Depth=3
	v_mov_b32_e32 v17, 0
	s_mov_b32 s73, exec_lo
	v_cmpx_ne_u32_e32 0, v5
	s_cbranch_execz .LBB6_13103
; %bb.13092:                            ;   in Loop: Header=BB6_12937 Depth=3
	v_bfe_u32 v5, v5, 23, 8
	v_or_b32_e32 v14, 0x800000, v2
	s_delay_alu instid0(VALU_DEP_2) | instskip(SKIP_1) | instid1(VALU_DEP_3)
	v_cmp_eq_u32_e32 vcc_lo, 0, v5
	v_cmp_gt_u32_e64 s13, 0x72, v5
	v_dual_cndmask_b32 v2, v14, v2 :: v_dual_sub_nc_u32 v7, 0x71, v5
	s_delay_alu instid0(VALU_DEP_1) | instskip(NEXT) | instid1(VALU_DEP_1)
	v_cndmask_b32_e64 v7, 0, v7, s13
	v_cndmask_b32_e64 v7, v7, 0x70, vcc_lo
	s_delay_alu instid0(VALU_DEP_1) | instskip(NEXT) | instid1(VALU_DEP_1)
	v_dual_add_nc_u32 v14, 21, v7 :: v_dual_add_nc_u32 v17, 20, v7
	v_lshlrev_b64_e64 v[14:15], v14, -1
	s_delay_alu instid0(VALU_DEP_2) | instskip(NEXT) | instid1(VALU_DEP_2)
	v_lshlrev_b64_e64 v[24:25], v17, 1
	v_bfi_b32 v14, v14, 0, v2
	v_lshrrev_b64 v[2:3], v7, v[2:3]
	s_delay_alu instid0(VALU_DEP_4) | instskip(NEXT) | instid1(VALU_DEP_1)
	v_bfi_b32 v15, v15, 0, 0
	v_cmp_eq_u64_e64 s13, v[14:15], v[24:25]
	s_delay_alu instid0(VALU_DEP_3)
	v_mov_b64_e32 v[14:15], v[2:3]
	s_and_saveexec_b32 s74, s13
; %bb.13093:                            ;   in Loop: Header=BB6_12937 Depth=3
	v_bfe_u32 v14, v2, 21, 1
	v_mov_b32_e32 v15, v21
	s_delay_alu instid0(VALU_DEP_1) | instskip(NEXT) | instid1(VALU_DEP_1)
	v_add_nc_u64_e32 v[14:15], v[2:3], v[14:15]
	v_add_nc_u64_e32 v[14:15], -1, v[14:15]
; %bb.13094:                            ;   in Loop: Header=BB6_12937 Depth=3
	s_or_b32 exec_lo, exec_lo, s74
	v_add_nc_u32_e32 v3, 0xffffff81, v5
	v_lshrrev_b32_e32 v5, 23, v2
	s_mov_b32 s13, exec_lo
	s_delay_alu instid0(VALU_DEP_2) | instskip(NEXT) | instid1(VALU_DEP_1)
	v_cndmask_b32_e64 v3, v3, 0xffffff82, vcc_lo
	v_add3_u32 v15, v7, v3, v5
	v_and_b32_e32 v3, 0x1fffff, v14
                                        ; implicit-def: $vgpr5
	s_delay_alu instid0(VALU_DEP_1) | instskip(SKIP_1) | instid1(VALU_DEP_2)
	v_dual_add_nc_u32 v7, 14, v15 :: v_dual_add_nc_u32 v2, v3, v2
	v_mov_b32_e32 v3, v21
	v_cmpx_ne_u32_e32 0, v7
	s_xor_b32 s13, exec_lo, s13
; %bb.13095:                            ;   in Loop: Header=BB6_12937 Depth=3
	s_delay_alu instid0(VALU_DEP_2) | instskip(SKIP_1) | instid1(VALU_DEP_1)
	v_cmp_lt_u64_e32 vcc_lo, 0xffffff, v[2:3]
	v_add_nc_u32_e32 v5, 15, v15
	v_cndmask_b32_e32 v5, v7, v5, vcc_lo
	v_cndmask_b32_e64 v7, 0, 1, vcc_lo
	s_delay_alu instid0(VALU_DEP_1)
	v_lshrrev_b64 v[2:3], v7, v[2:3]
; %bb.13096:                            ;   in Loop: Header=BB6_12937 Depth=3
	s_and_not1_saveexec_b32 s13, s13
; %bb.13097:                            ;   in Loop: Header=BB6_12937 Depth=3
	s_delay_alu instid0(VALU_DEP_1)
	v_bfe_u32 v5, v2, 23, 1
; %bb.13098:                            ;   in Loop: Header=BB6_12937 Depth=3
	s_or_b32 exec_lo, exec_lo, s13
	s_delay_alu instid0(VALU_DEP_2) | instskip(NEXT) | instid1(VALU_DEP_2)
	v_lshrrev_b64 v[2:3], 21, v[2:3]
	v_cmp_gt_i32_e32 vcc_lo, 32, v5
	v_cmp_ne_u32_e64 s13, 0, v5
                                        ; implicit-def: $vgpr17
	s_delay_alu instid0(VALU_DEP_3) | instskip(NEXT) | instid1(VALU_DEP_1)
	v_dual_cndmask_b32 v3, 0, v3 :: v_dual_cndmask_b32 v2, 3, v2
	v_cmp_ne_u64_e32 vcc_lo, 0, v[2:3]
	s_or_b32 s13, s13, vcc_lo
	s_delay_alu instid0(SALU_CYCLE_1) | instskip(NEXT) | instid1(SALU_CYCLE_1)
	s_and_saveexec_b32 s74, s13
	s_xor_b32 s13, exec_lo, s74
; %bb.13099:                            ;   in Loop: Header=BB6_12937 Depth=3
	v_min_i32_e32 v3, 31, v5
	s_delay_alu instid0(VALU_DEP_1) | instskip(NEXT) | instid1(VALU_DEP_1)
	v_lshl_or_b32 v1, v3, 2, v1
	v_and_or_b32 v17, v2, 3, v1
                                        ; implicit-def: $vgpr1
; %bb.13100:                            ;   in Loop: Header=BB6_12937 Depth=3
	s_and_not1_saveexec_b32 s13, s13
; %bb.13101:                            ;   in Loop: Header=BB6_12937 Depth=3
	v_mov_b32_e32 v17, v1
; %bb.13102:                            ;   in Loop: Header=BB6_12937 Depth=3
	s_or_b32 exec_lo, exec_lo, s13
.LBB6_13103:                            ;   in Loop: Header=BB6_12937 Depth=3
	s_delay_alu instid0(SALU_CYCLE_1)
	s_or_b32 exec_lo, exec_lo, s73
                                        ; implicit-def: $vgpr1
.LBB6_13104:                            ;   in Loop: Header=BB6_12937 Depth=3
	s_and_not1_saveexec_b32 s13, s72
; %bb.13105:                            ;   in Loop: Header=BB6_12937 Depth=3
	v_or_b32_e32 v17, 0x7b, v1
; %bb.13106:                            ;   in Loop: Header=BB6_12937 Depth=3
	s_or_b32 exec_lo, exec_lo, s13
                                        ; implicit-def: $vgpr5
                                        ; implicit-def: $vgpr2_vgpr3
.LBB6_13107:                            ;   in Loop: Header=BB6_12937 Depth=3
	s_and_not1_saveexec_b32 s13, s43
	s_cbranch_execz .LBB6_13113
; %bb.13108:                            ;   in Loop: Header=BB6_12937 Depth=3
	s_mov_b32 s43, exec_lo
                                        ; implicit-def: $vgpr17
	v_cmpx_ne_u64_e32 0, v[2:3]
	s_xor_b32 s43, exec_lo, s43
; %bb.13109:                            ;   in Loop: Header=BB6_12937 Depth=3
	v_lshrrev_b32_e32 v1, 24, v5
                                        ; implicit-def: $vgpr5
	s_delay_alu instid0(VALU_DEP_1)
	v_or_b32_e32 v17, 0x7f, v1
; %bb.13110:                            ;   in Loop: Header=BB6_12937 Depth=3
	s_and_not1_saveexec_b32 s43, s43
; %bb.13111:                            ;   in Loop: Header=BB6_12937 Depth=3
	v_cmp_lt_i32_e32 vcc_lo, -1, v5
	v_cndmask_b32_e64 v17, -4, 0x7c, vcc_lo
; %bb.13112:                            ;   in Loop: Header=BB6_12937 Depth=3
	s_or_b32 exec_lo, exec_lo, s43
.LBB6_13113:                            ;   in Loop: Header=BB6_12937 Depth=3
	s_delay_alu instid0(SALU_CYCLE_1)
	s_or_b32 exec_lo, exec_lo, s13
	v_dual_mov_b32 v1, 0 :: v_dual_mov_b32 v2, 0
	s_mov_b32 s43, exec_lo
	v_cmpx_ne_u16_e32 0, v74
	s_cbranch_execz .LBB6_13123
; %bb.13114:                            ;   in Loop: Header=BB6_12937 Depth=3
	v_bfrev_b32_e32 v2, 1
	s_mov_b32 s72, exec_lo
	v_cmpx_ne_u16_e32 0xff80, v74
	s_cbranch_execz .LBB6_13122
; %bb.13115:                            ;   in Loop: Header=BB6_12937 Depth=3
	v_and_b32_e32 v2, 0x7c, v74
	v_and_b32_e32 v3, 3, v74
	s_delay_alu instid0(VALU_DEP_2) | instskip(SKIP_1) | instid1(SALU_CYCLE_1)
	v_cmp_ne_u32_e32 vcc_lo, 0x7c, v2
                                        ; implicit-def: $vgpr2
	s_and_saveexec_b32 s13, vcc_lo
	s_xor_b32 s13, exec_lo, s13
	s_cbranch_execz .LBB6_13119
; %bb.13116:                            ;   in Loop: Header=BB6_12937 Depth=3
	v_and_b32_e32 v2, 0xff, v74
	s_mov_b32 s73, exec_lo
	s_delay_alu instid0(VALU_DEP_1) | instskip(NEXT) | instid1(VALU_DEP_1)
	v_bfe_u32 v2, v2, 2, 5
	v_cmpx_eq_u32_e32 0, v2
	s_cbranch_execz .LBB6_13118
; %bb.13117:                            ;   in Loop: Header=BB6_12937 Depth=3
	v_clz_i32_u32_e32 v2, v3
	s_delay_alu instid0(VALU_DEP_1) | instskip(SKIP_1) | instid1(VALU_DEP_2)
	v_min_u32_e32 v2, 32, v2
	v_mov_b32_e32 v75, v21
	v_subrev_nc_u32_e32 v3, 29, v2
	v_sub_nc_u32_e32 v2, 30, v2
	s_delay_alu instid0(VALU_DEP_2) | instskip(NEXT) | instid1(VALU_DEP_1)
	v_lshlrev_b64_e32 v[14:15], v3, v[74:75]
	v_and_b32_e32 v3, 3, v14
.LBB6_13118:                            ;   in Loop: Header=BB6_12937 Depth=3
	s_or_b32 exec_lo, exec_lo, s73
	v_bfe_i32 v5, v74, 0, 16
                                        ; implicit-def: $vgpr74
	s_delay_alu instid0(VALU_DEP_1) | instskip(NEXT) | instid1(VALU_DEP_1)
	v_and_b32_e32 v5, 0x80000000, v5
	v_lshl_add_u32 v2, v2, 23, v5
	s_delay_alu instid0(VALU_DEP_1) | instskip(NEXT) | instid1(VALU_DEP_1)
	v_lshl_or_b32 v2, v3, 21, v2
                                        ; implicit-def: $vgpr3
	v_add_nc_u32_e32 v2, 0x38000000, v2
.LBB6_13119:                            ;   in Loop: Header=BB6_12937 Depth=3
	s_and_not1_saveexec_b32 s73, s13
; %bb.13120:                            ;   in Loop: Header=BB6_12937 Depth=3
	v_cmp_lt_i16_e64 s13, -1, v74
	v_mov_b32_e32 v2, 0x7f800000
	v_cmp_eq_u32_e32 vcc_lo, 0, v3
	s_delay_alu instid0(VALU_DEP_2) | instskip(NEXT) | instid1(VALU_DEP_1)
	v_cndmask_b32_e64 v2, 0xff800000, v2, s13
	v_cndmask_b32_e32 v2, 0x7f800001, v2, vcc_lo
; %bb.13121:                            ;   in Loop: Header=BB6_12937 Depth=3
	s_or_b32 exec_lo, exec_lo, s73
.LBB6_13122:                            ;   in Loop: Header=BB6_12937 Depth=3
	s_delay_alu instid0(SALU_CYCLE_1)
	s_or_b32 exec_lo, exec_lo, s72
.LBB6_13123:                            ;   in Loop: Header=BB6_12937 Depth=3
	s_delay_alu instid0(SALU_CYCLE_1) | instskip(NEXT) | instid1(SALU_CYCLE_1)
	s_or_b32 exec_lo, exec_lo, s43
	s_mov_b32 s43, exec_lo
	v_cmpx_ne_u16_e32 0, v112
	s_cbranch_execz .LBB6_13133
; %bb.13124:                            ;   in Loop: Header=BB6_12937 Depth=3
	v_bfrev_b32_e32 v1, 1
	s_mov_b32 s72, exec_lo
	v_cmpx_ne_u16_e32 0xff80, v112
	s_cbranch_execz .LBB6_13132
; %bb.13125:                            ;   in Loop: Header=BB6_12937 Depth=3
	v_and_b32_e32 v1, 0x7c, v112
	v_and_b32_e32 v3, 3, v112
	s_delay_alu instid0(VALU_DEP_2) | instskip(SKIP_1) | instid1(SALU_CYCLE_1)
	v_cmp_ne_u32_e32 vcc_lo, 0x7c, v1
                                        ; implicit-def: $vgpr1
	s_and_saveexec_b32 s13, vcc_lo
	s_xor_b32 s13, exec_lo, s13
	s_cbranch_execz .LBB6_13129
; %bb.13126:                            ;   in Loop: Header=BB6_12937 Depth=3
	v_and_b32_e32 v1, 0xff, v112
	s_mov_b32 s73, exec_lo
	s_delay_alu instid0(VALU_DEP_1) | instskip(NEXT) | instid1(VALU_DEP_1)
	v_bfe_u32 v1, v1, 2, 5
	v_cmpx_eq_u32_e32 0, v1
	s_cbranch_execz .LBB6_13128
; %bb.13127:                            ;   in Loop: Header=BB6_12937 Depth=3
	v_clz_i32_u32_e32 v1, v3
	s_delay_alu instid0(VALU_DEP_1) | instskip(SKIP_1) | instid1(VALU_DEP_2)
	v_min_u32_e32 v1, 32, v1
	v_mov_b32_e32 v113, v21
	v_subrev_nc_u32_e32 v3, 29, v1
	v_sub_nc_u32_e32 v1, 30, v1
	s_delay_alu instid0(VALU_DEP_2) | instskip(NEXT) | instid1(VALU_DEP_1)
	v_lshlrev_b64_e32 v[14:15], v3, v[112:113]
	v_and_b32_e32 v3, 3, v14
.LBB6_13128:                            ;   in Loop: Header=BB6_12937 Depth=3
	s_or_b32 exec_lo, exec_lo, s73
	v_bfe_i32 v5, v112, 0, 16
                                        ; implicit-def: $vgpr112
	s_delay_alu instid0(VALU_DEP_1) | instskip(NEXT) | instid1(VALU_DEP_1)
	v_and_b32_e32 v5, 0x80000000, v5
	v_lshl_add_u32 v1, v1, 23, v5
	s_delay_alu instid0(VALU_DEP_1) | instskip(NEXT) | instid1(VALU_DEP_1)
	v_lshl_or_b32 v1, v3, 21, v1
                                        ; implicit-def: $vgpr3
	v_add_nc_u32_e32 v1, 0x38000000, v1
.LBB6_13129:                            ;   in Loop: Header=BB6_12937 Depth=3
	s_and_not1_saveexec_b32 s73, s13
; %bb.13130:                            ;   in Loop: Header=BB6_12937 Depth=3
	v_cmp_lt_i16_e64 s13, -1, v112
	v_mov_b32_e32 v1, 0x7f800000
	v_cmp_eq_u32_e32 vcc_lo, 0, v3
	s_delay_alu instid0(VALU_DEP_2) | instskip(NEXT) | instid1(VALU_DEP_1)
	v_cndmask_b32_e64 v1, 0xff800000, v1, s13
	v_cndmask_b32_e32 v1, 0x7f800001, v1, vcc_lo
; %bb.13131:                            ;   in Loop: Header=BB6_12937 Depth=3
	s_or_b32 exec_lo, exec_lo, s73
.LBB6_13132:                            ;   in Loop: Header=BB6_12937 Depth=3
	s_delay_alu instid0(SALU_CYCLE_1)
	s_or_b32 exec_lo, exec_lo, s72
.LBB6_13133:                            ;   in Loop: Header=BB6_12937 Depth=3
	s_delay_alu instid0(SALU_CYCLE_1) | instskip(NEXT) | instid1(VALU_DEP_1)
	s_or_b32 exec_lo, exec_lo, s43
	v_dual_mul_f32 v5, v2, v1 :: v_dual_mov_b32 v3, v21
                                        ; implicit-def: $vgpr19
	s_delay_alu instid0(VALU_DEP_1) | instskip(NEXT) | instid1(VALU_DEP_1)
	v_and_b32_e32 v2, 0x7f800000, v5
	v_cmp_ne_u64_e32 vcc_lo, 0x7f800000, v[2:3]
	v_and_b32_e32 v2, 0x7fffff, v5
	s_and_saveexec_b32 s13, vcc_lo
	s_delay_alu instid0(SALU_CYCLE_1)
	s_xor_b32 s43, exec_lo, s13
	s_cbranch_execz .LBB6_13151
; %bb.13134:                            ;   in Loop: Header=BB6_12937 Depth=3
	v_dual_mov_b32 v15, v21 :: v_dual_lshrrev_b32 v1, 24, v5
	v_and_b32_e32 v14, 0x7fffffff, v5
                                        ; implicit-def: $vgpr19
	s_mov_b32 s13, exec_lo
	s_delay_alu instid0(VALU_DEP_2) | instskip(NEXT) | instid1(VALU_DEP_2)
	v_and_b32_e32 v1, 0x80, v1
	v_cmpx_gt_u64_e32 0x47600001, v[14:15]
	s_xor_b32 s72, exec_lo, s13
	s_cbranch_execz .LBB6_13148
; %bb.13135:                            ;   in Loop: Header=BB6_12937 Depth=3
	v_mov_b32_e32 v19, 0
	s_mov_b32 s73, exec_lo
	v_cmpx_ne_u32_e32 0, v5
	s_cbranch_execz .LBB6_13147
; %bb.13136:                            ;   in Loop: Header=BB6_12937 Depth=3
	v_bfe_u32 v5, v5, 23, 8
	v_or_b32_e32 v14, 0x800000, v2
	s_delay_alu instid0(VALU_DEP_2) | instskip(SKIP_1) | instid1(VALU_DEP_3)
	v_cmp_eq_u32_e32 vcc_lo, 0, v5
	v_cmp_gt_u32_e64 s13, 0x72, v5
	v_dual_cndmask_b32 v2, v14, v2 :: v_dual_sub_nc_u32 v7, 0x71, v5
	s_delay_alu instid0(VALU_DEP_1) | instskip(NEXT) | instid1(VALU_DEP_1)
	v_cndmask_b32_e64 v7, 0, v7, s13
	v_cndmask_b32_e64 v7, v7, 0x70, vcc_lo
	s_delay_alu instid0(VALU_DEP_1) | instskip(NEXT) | instid1(VALU_DEP_1)
	v_dual_add_nc_u32 v14, 21, v7 :: v_dual_add_nc_u32 v19, 20, v7
	v_lshlrev_b64_e64 v[14:15], v14, -1
	s_delay_alu instid0(VALU_DEP_2) | instskip(NEXT) | instid1(VALU_DEP_2)
	v_lshlrev_b64_e64 v[24:25], v19, 1
	v_bfi_b32 v14, v14, 0, v2
	v_lshrrev_b64 v[2:3], v7, v[2:3]
	s_delay_alu instid0(VALU_DEP_4) | instskip(NEXT) | instid1(VALU_DEP_1)
	v_bfi_b32 v15, v15, 0, 0
	v_cmp_eq_u64_e64 s13, v[14:15], v[24:25]
	s_delay_alu instid0(VALU_DEP_3)
	v_mov_b64_e32 v[14:15], v[2:3]
	s_and_saveexec_b32 s74, s13
; %bb.13137:                            ;   in Loop: Header=BB6_12937 Depth=3
	v_bfe_u32 v14, v2, 21, 1
	v_mov_b32_e32 v15, v21
	s_delay_alu instid0(VALU_DEP_1) | instskip(NEXT) | instid1(VALU_DEP_1)
	v_add_nc_u64_e32 v[14:15], v[2:3], v[14:15]
	v_add_nc_u64_e32 v[14:15], -1, v[14:15]
; %bb.13138:                            ;   in Loop: Header=BB6_12937 Depth=3
	s_or_b32 exec_lo, exec_lo, s74
	v_add_nc_u32_e32 v3, 0xffffff81, v5
	v_lshrrev_b32_e32 v5, 23, v2
	s_mov_b32 s13, exec_lo
	s_delay_alu instid0(VALU_DEP_2) | instskip(NEXT) | instid1(VALU_DEP_1)
	v_cndmask_b32_e64 v3, v3, 0xffffff82, vcc_lo
	v_add3_u32 v15, v7, v3, v5
	v_and_b32_e32 v3, 0x1fffff, v14
                                        ; implicit-def: $vgpr5
	s_delay_alu instid0(VALU_DEP_1) | instskip(SKIP_1) | instid1(VALU_DEP_2)
	v_dual_add_nc_u32 v7, 14, v15 :: v_dual_add_nc_u32 v2, v3, v2
	v_mov_b32_e32 v3, v21
	v_cmpx_ne_u32_e32 0, v7
	s_xor_b32 s13, exec_lo, s13
; %bb.13139:                            ;   in Loop: Header=BB6_12937 Depth=3
	s_delay_alu instid0(VALU_DEP_2) | instskip(SKIP_1) | instid1(VALU_DEP_1)
	v_cmp_lt_u64_e32 vcc_lo, 0xffffff, v[2:3]
	v_add_nc_u32_e32 v5, 15, v15
	v_cndmask_b32_e32 v5, v7, v5, vcc_lo
	v_cndmask_b32_e64 v7, 0, 1, vcc_lo
	s_delay_alu instid0(VALU_DEP_1)
	v_lshrrev_b64 v[2:3], v7, v[2:3]
; %bb.13140:                            ;   in Loop: Header=BB6_12937 Depth=3
	s_and_not1_saveexec_b32 s13, s13
; %bb.13141:                            ;   in Loop: Header=BB6_12937 Depth=3
	s_delay_alu instid0(VALU_DEP_1)
	v_bfe_u32 v5, v2, 23, 1
; %bb.13142:                            ;   in Loop: Header=BB6_12937 Depth=3
	s_or_b32 exec_lo, exec_lo, s13
	s_delay_alu instid0(VALU_DEP_2) | instskip(NEXT) | instid1(VALU_DEP_2)
	v_lshrrev_b64 v[2:3], 21, v[2:3]
	v_cmp_gt_i32_e32 vcc_lo, 32, v5
	v_cmp_ne_u32_e64 s13, 0, v5
                                        ; implicit-def: $vgpr19
	s_delay_alu instid0(VALU_DEP_3) | instskip(NEXT) | instid1(VALU_DEP_1)
	v_dual_cndmask_b32 v3, 0, v3 :: v_dual_cndmask_b32 v2, 3, v2
	v_cmp_ne_u64_e32 vcc_lo, 0, v[2:3]
	s_or_b32 s13, s13, vcc_lo
	s_delay_alu instid0(SALU_CYCLE_1) | instskip(NEXT) | instid1(SALU_CYCLE_1)
	s_and_saveexec_b32 s74, s13
	s_xor_b32 s13, exec_lo, s74
; %bb.13143:                            ;   in Loop: Header=BB6_12937 Depth=3
	v_min_i32_e32 v3, 31, v5
	s_delay_alu instid0(VALU_DEP_1) | instskip(NEXT) | instid1(VALU_DEP_1)
	v_lshl_or_b32 v1, v3, 2, v1
	v_and_or_b32 v19, v2, 3, v1
                                        ; implicit-def: $vgpr1
; %bb.13144:                            ;   in Loop: Header=BB6_12937 Depth=3
	s_and_not1_saveexec_b32 s13, s13
; %bb.13145:                            ;   in Loop: Header=BB6_12937 Depth=3
	v_mov_b32_e32 v19, v1
; %bb.13146:                            ;   in Loop: Header=BB6_12937 Depth=3
	s_or_b32 exec_lo, exec_lo, s13
.LBB6_13147:                            ;   in Loop: Header=BB6_12937 Depth=3
	s_delay_alu instid0(SALU_CYCLE_1)
	s_or_b32 exec_lo, exec_lo, s73
                                        ; implicit-def: $vgpr1
.LBB6_13148:                            ;   in Loop: Header=BB6_12937 Depth=3
	s_and_not1_saveexec_b32 s13, s72
; %bb.13149:                            ;   in Loop: Header=BB6_12937 Depth=3
	v_or_b32_e32 v19, 0x7b, v1
; %bb.13150:                            ;   in Loop: Header=BB6_12937 Depth=3
	s_or_b32 exec_lo, exec_lo, s13
                                        ; implicit-def: $vgpr5
                                        ; implicit-def: $vgpr2_vgpr3
.LBB6_13151:                            ;   in Loop: Header=BB6_12937 Depth=3
	s_and_not1_saveexec_b32 s13, s43
	s_cbranch_execz .LBB6_13157
; %bb.13152:                            ;   in Loop: Header=BB6_12937 Depth=3
	s_mov_b32 s43, exec_lo
                                        ; implicit-def: $vgpr19
	v_cmpx_ne_u64_e32 0, v[2:3]
	s_xor_b32 s43, exec_lo, s43
; %bb.13153:                            ;   in Loop: Header=BB6_12937 Depth=3
	v_lshrrev_b32_e32 v1, 24, v5
                                        ; implicit-def: $vgpr5
	s_delay_alu instid0(VALU_DEP_1)
	v_or_b32_e32 v19, 0x7f, v1
; %bb.13154:                            ;   in Loop: Header=BB6_12937 Depth=3
	s_and_not1_saveexec_b32 s43, s43
; %bb.13155:                            ;   in Loop: Header=BB6_12937 Depth=3
	v_cmp_lt_i32_e32 vcc_lo, -1, v5
	v_cndmask_b32_e64 v19, -4, 0x7c, vcc_lo
; %bb.13156:                            ;   in Loop: Header=BB6_12937 Depth=3
	s_or_b32 exec_lo, exec_lo, s43
.LBB6_13157:                            ;   in Loop: Header=BB6_12937 Depth=3
	s_delay_alu instid0(SALU_CYCLE_1)
	s_or_b32 exec_lo, exec_lo, s13
	v_dual_mov_b32 v1, 0 :: v_dual_mov_b32 v2, 0
	s_mov_b32 s43, exec_lo
	v_cmpx_ne_u16_e32 0, v80
	s_cbranch_execz .LBB6_13167
; %bb.13158:                            ;   in Loop: Header=BB6_12937 Depth=3
	v_bfrev_b32_e32 v2, 1
	s_mov_b32 s72, exec_lo
	v_cmpx_ne_u16_e32 0xff80, v80
	s_cbranch_execz .LBB6_13166
; %bb.13159:                            ;   in Loop: Header=BB6_12937 Depth=3
	v_and_b32_e32 v2, 0x7c, v80
	v_and_b32_e32 v3, 3, v80
	s_delay_alu instid0(VALU_DEP_2) | instskip(SKIP_1) | instid1(SALU_CYCLE_1)
	v_cmp_ne_u32_e32 vcc_lo, 0x7c, v2
                                        ; implicit-def: $vgpr2
	s_and_saveexec_b32 s13, vcc_lo
	s_xor_b32 s13, exec_lo, s13
	s_cbranch_execz .LBB6_13163
; %bb.13160:                            ;   in Loop: Header=BB6_12937 Depth=3
	v_and_b32_e32 v2, 0xff, v80
	s_mov_b32 s73, exec_lo
	s_delay_alu instid0(VALU_DEP_1) | instskip(NEXT) | instid1(VALU_DEP_1)
	v_bfe_u32 v2, v2, 2, 5
	v_cmpx_eq_u32_e32 0, v2
	s_cbranch_execz .LBB6_13162
; %bb.13161:                            ;   in Loop: Header=BB6_12937 Depth=3
	v_clz_i32_u32_e32 v2, v3
	s_delay_alu instid0(VALU_DEP_1) | instskip(SKIP_1) | instid1(VALU_DEP_2)
	v_min_u32_e32 v2, 32, v2
	v_mov_b32_e32 v81, v21
	v_subrev_nc_u32_e32 v3, 29, v2
	v_sub_nc_u32_e32 v2, 30, v2
	s_delay_alu instid0(VALU_DEP_2) | instskip(NEXT) | instid1(VALU_DEP_1)
	v_lshlrev_b64_e32 v[14:15], v3, v[80:81]
	v_and_b32_e32 v3, 3, v14
.LBB6_13162:                            ;   in Loop: Header=BB6_12937 Depth=3
	s_or_b32 exec_lo, exec_lo, s73
	v_bfe_i32 v5, v80, 0, 16
                                        ; implicit-def: $vgpr80
	s_delay_alu instid0(VALU_DEP_1) | instskip(NEXT) | instid1(VALU_DEP_1)
	v_and_b32_e32 v5, 0x80000000, v5
	v_lshl_add_u32 v2, v2, 23, v5
	s_delay_alu instid0(VALU_DEP_1) | instskip(NEXT) | instid1(VALU_DEP_1)
	v_lshl_or_b32 v2, v3, 21, v2
                                        ; implicit-def: $vgpr3
	v_add_nc_u32_e32 v2, 0x38000000, v2
.LBB6_13163:                            ;   in Loop: Header=BB6_12937 Depth=3
	s_and_not1_saveexec_b32 s73, s13
; %bb.13164:                            ;   in Loop: Header=BB6_12937 Depth=3
	v_cmp_lt_i16_e64 s13, -1, v80
	v_mov_b32_e32 v2, 0x7f800000
	v_cmp_eq_u32_e32 vcc_lo, 0, v3
	s_delay_alu instid0(VALU_DEP_2) | instskip(NEXT) | instid1(VALU_DEP_1)
	v_cndmask_b32_e64 v2, 0xff800000, v2, s13
	v_cndmask_b32_e32 v2, 0x7f800001, v2, vcc_lo
; %bb.13165:                            ;   in Loop: Header=BB6_12937 Depth=3
	s_or_b32 exec_lo, exec_lo, s73
.LBB6_13166:                            ;   in Loop: Header=BB6_12937 Depth=3
	s_delay_alu instid0(SALU_CYCLE_1)
	s_or_b32 exec_lo, exec_lo, s72
.LBB6_13167:                            ;   in Loop: Header=BB6_12937 Depth=3
	s_delay_alu instid0(SALU_CYCLE_1) | instskip(NEXT) | instid1(SALU_CYCLE_1)
	s_or_b32 exec_lo, exec_lo, s43
	s_mov_b32 s43, exec_lo
	v_cmpx_ne_u16_e32 0, v84
	s_cbranch_execz .LBB6_13177
; %bb.13168:                            ;   in Loop: Header=BB6_12937 Depth=3
	v_bfrev_b32_e32 v1, 1
	s_mov_b32 s72, exec_lo
	v_cmpx_ne_u16_e32 0xff80, v84
	s_cbranch_execz .LBB6_13176
; %bb.13169:                            ;   in Loop: Header=BB6_12937 Depth=3
	v_and_b32_e32 v1, 0x7c, v84
	v_and_b32_e32 v3, 3, v84
	s_delay_alu instid0(VALU_DEP_2) | instskip(SKIP_1) | instid1(SALU_CYCLE_1)
	v_cmp_ne_u32_e32 vcc_lo, 0x7c, v1
                                        ; implicit-def: $vgpr1
	s_and_saveexec_b32 s13, vcc_lo
	s_xor_b32 s13, exec_lo, s13
	s_cbranch_execz .LBB6_13173
; %bb.13170:                            ;   in Loop: Header=BB6_12937 Depth=3
	v_and_b32_e32 v1, 0xff, v84
	s_mov_b32 s73, exec_lo
	s_delay_alu instid0(VALU_DEP_1) | instskip(NEXT) | instid1(VALU_DEP_1)
	v_bfe_u32 v1, v1, 2, 5
	v_cmpx_eq_u32_e32 0, v1
	s_cbranch_execz .LBB6_13172
; %bb.13171:                            ;   in Loop: Header=BB6_12937 Depth=3
	v_clz_i32_u32_e32 v1, v3
	s_delay_alu instid0(VALU_DEP_1) | instskip(SKIP_1) | instid1(VALU_DEP_2)
	v_min_u32_e32 v1, 32, v1
	v_mov_b32_e32 v85, v21
	v_subrev_nc_u32_e32 v3, 29, v1
	v_sub_nc_u32_e32 v1, 30, v1
	s_delay_alu instid0(VALU_DEP_2) | instskip(NEXT) | instid1(VALU_DEP_1)
	v_lshlrev_b64_e32 v[14:15], v3, v[84:85]
	v_and_b32_e32 v3, 3, v14
.LBB6_13172:                            ;   in Loop: Header=BB6_12937 Depth=3
	s_or_b32 exec_lo, exec_lo, s73
	v_bfe_i32 v5, v84, 0, 16
                                        ; implicit-def: $vgpr84
	s_delay_alu instid0(VALU_DEP_1) | instskip(NEXT) | instid1(VALU_DEP_1)
	v_and_b32_e32 v5, 0x80000000, v5
	v_lshl_add_u32 v1, v1, 23, v5
	s_delay_alu instid0(VALU_DEP_1) | instskip(NEXT) | instid1(VALU_DEP_1)
	v_lshl_or_b32 v1, v3, 21, v1
                                        ; implicit-def: $vgpr3
	v_add_nc_u32_e32 v1, 0x38000000, v1
.LBB6_13173:                            ;   in Loop: Header=BB6_12937 Depth=3
	s_and_not1_saveexec_b32 s73, s13
; %bb.13174:                            ;   in Loop: Header=BB6_12937 Depth=3
	v_cmp_lt_i16_e64 s13, -1, v84
	v_mov_b32_e32 v1, 0x7f800000
	v_cmp_eq_u32_e32 vcc_lo, 0, v3
	s_delay_alu instid0(VALU_DEP_2) | instskip(NEXT) | instid1(VALU_DEP_1)
	v_cndmask_b32_e64 v1, 0xff800000, v1, s13
	v_cndmask_b32_e32 v1, 0x7f800001, v1, vcc_lo
; %bb.13175:                            ;   in Loop: Header=BB6_12937 Depth=3
	s_or_b32 exec_lo, exec_lo, s73
.LBB6_13176:                            ;   in Loop: Header=BB6_12937 Depth=3
	s_delay_alu instid0(SALU_CYCLE_1)
	s_or_b32 exec_lo, exec_lo, s72
.LBB6_13177:                            ;   in Loop: Header=BB6_12937 Depth=3
	s_delay_alu instid0(SALU_CYCLE_1) | instskip(NEXT) | instid1(VALU_DEP_1)
	s_or_b32 exec_lo, exec_lo, s43
	v_dual_mul_f32 v5, v2, v1 :: v_dual_mov_b32 v3, v21
                                        ; implicit-def: $vgpr23
	s_delay_alu instid0(VALU_DEP_1) | instskip(NEXT) | instid1(VALU_DEP_1)
	v_and_b32_e32 v2, 0x7f800000, v5
	v_cmp_ne_u64_e32 vcc_lo, 0x7f800000, v[2:3]
	v_and_b32_e32 v2, 0x7fffff, v5
	s_and_saveexec_b32 s13, vcc_lo
	s_delay_alu instid0(SALU_CYCLE_1)
	s_xor_b32 s43, exec_lo, s13
	s_cbranch_execz .LBB6_13195
; %bb.13178:                            ;   in Loop: Header=BB6_12937 Depth=3
	v_dual_mov_b32 v15, v21 :: v_dual_lshrrev_b32 v1, 24, v5
	v_and_b32_e32 v14, 0x7fffffff, v5
                                        ; implicit-def: $vgpr23
	s_mov_b32 s13, exec_lo
	s_delay_alu instid0(VALU_DEP_2) | instskip(NEXT) | instid1(VALU_DEP_2)
	v_and_b32_e32 v1, 0x80, v1
	v_cmpx_gt_u64_e32 0x47600001, v[14:15]
	s_xor_b32 s72, exec_lo, s13
	s_cbranch_execz .LBB6_13192
; %bb.13179:                            ;   in Loop: Header=BB6_12937 Depth=3
	v_mov_b32_e32 v23, 0
	s_mov_b32 s73, exec_lo
	v_cmpx_ne_u32_e32 0, v5
	s_cbranch_execz .LBB6_13191
; %bb.13180:                            ;   in Loop: Header=BB6_12937 Depth=3
	v_bfe_u32 v5, v5, 23, 8
	v_or_b32_e32 v14, 0x800000, v2
	s_delay_alu instid0(VALU_DEP_2) | instskip(SKIP_1) | instid1(VALU_DEP_3)
	v_cmp_eq_u32_e32 vcc_lo, 0, v5
	v_cmp_gt_u32_e64 s13, 0x72, v5
	v_dual_cndmask_b32 v2, v14, v2 :: v_dual_sub_nc_u32 v7, 0x71, v5
	s_delay_alu instid0(VALU_DEP_1) | instskip(NEXT) | instid1(VALU_DEP_1)
	v_cndmask_b32_e64 v7, 0, v7, s13
	v_cndmask_b32_e64 v7, v7, 0x70, vcc_lo
	s_delay_alu instid0(VALU_DEP_1) | instskip(NEXT) | instid1(VALU_DEP_1)
	v_dual_add_nc_u32 v14, 21, v7 :: v_dual_add_nc_u32 v23, 20, v7
	v_lshlrev_b64_e64 v[14:15], v14, -1
	s_delay_alu instid0(VALU_DEP_2) | instskip(NEXT) | instid1(VALU_DEP_2)
	v_lshlrev_b64_e64 v[24:25], v23, 1
	v_bfi_b32 v14, v14, 0, v2
	v_lshrrev_b64 v[2:3], v7, v[2:3]
	s_delay_alu instid0(VALU_DEP_4) | instskip(NEXT) | instid1(VALU_DEP_1)
	v_bfi_b32 v15, v15, 0, 0
	v_cmp_eq_u64_e64 s13, v[14:15], v[24:25]
	s_delay_alu instid0(VALU_DEP_3)
	v_mov_b64_e32 v[14:15], v[2:3]
	s_and_saveexec_b32 s74, s13
; %bb.13181:                            ;   in Loop: Header=BB6_12937 Depth=3
	v_bfe_u32 v14, v2, 21, 1
	v_mov_b32_e32 v15, v21
	s_delay_alu instid0(VALU_DEP_1) | instskip(NEXT) | instid1(VALU_DEP_1)
	v_add_nc_u64_e32 v[14:15], v[2:3], v[14:15]
	v_add_nc_u64_e32 v[14:15], -1, v[14:15]
; %bb.13182:                            ;   in Loop: Header=BB6_12937 Depth=3
	s_or_b32 exec_lo, exec_lo, s74
	v_add_nc_u32_e32 v3, 0xffffff81, v5
	v_lshrrev_b32_e32 v5, 23, v2
	s_mov_b32 s13, exec_lo
	s_delay_alu instid0(VALU_DEP_2) | instskip(NEXT) | instid1(VALU_DEP_1)
	v_cndmask_b32_e64 v3, v3, 0xffffff82, vcc_lo
	v_add3_u32 v15, v7, v3, v5
	v_and_b32_e32 v3, 0x1fffff, v14
                                        ; implicit-def: $vgpr5
	s_delay_alu instid0(VALU_DEP_1) | instskip(SKIP_1) | instid1(VALU_DEP_2)
	v_dual_add_nc_u32 v7, 14, v15 :: v_dual_add_nc_u32 v2, v3, v2
	v_mov_b32_e32 v3, v21
	v_cmpx_ne_u32_e32 0, v7
	s_xor_b32 s13, exec_lo, s13
; %bb.13183:                            ;   in Loop: Header=BB6_12937 Depth=3
	s_delay_alu instid0(VALU_DEP_2) | instskip(SKIP_1) | instid1(VALU_DEP_1)
	v_cmp_lt_u64_e32 vcc_lo, 0xffffff, v[2:3]
	v_add_nc_u32_e32 v5, 15, v15
	v_cndmask_b32_e32 v5, v7, v5, vcc_lo
	v_cndmask_b32_e64 v7, 0, 1, vcc_lo
	s_delay_alu instid0(VALU_DEP_1)
	v_lshrrev_b64 v[2:3], v7, v[2:3]
; %bb.13184:                            ;   in Loop: Header=BB6_12937 Depth=3
	s_and_not1_saveexec_b32 s13, s13
; %bb.13185:                            ;   in Loop: Header=BB6_12937 Depth=3
	s_delay_alu instid0(VALU_DEP_1)
	v_bfe_u32 v5, v2, 23, 1
; %bb.13186:                            ;   in Loop: Header=BB6_12937 Depth=3
	s_or_b32 exec_lo, exec_lo, s13
	s_delay_alu instid0(VALU_DEP_2) | instskip(NEXT) | instid1(VALU_DEP_2)
	v_lshrrev_b64 v[2:3], 21, v[2:3]
	v_cmp_gt_i32_e32 vcc_lo, 32, v5
	v_cmp_ne_u32_e64 s13, 0, v5
                                        ; implicit-def: $vgpr23
	s_delay_alu instid0(VALU_DEP_3) | instskip(NEXT) | instid1(VALU_DEP_1)
	v_dual_cndmask_b32 v3, 0, v3 :: v_dual_cndmask_b32 v2, 3, v2
	v_cmp_ne_u64_e32 vcc_lo, 0, v[2:3]
	s_or_b32 s13, s13, vcc_lo
	s_delay_alu instid0(SALU_CYCLE_1) | instskip(NEXT) | instid1(SALU_CYCLE_1)
	s_and_saveexec_b32 s74, s13
	s_xor_b32 s13, exec_lo, s74
; %bb.13187:                            ;   in Loop: Header=BB6_12937 Depth=3
	v_min_i32_e32 v3, 31, v5
	s_delay_alu instid0(VALU_DEP_1) | instskip(NEXT) | instid1(VALU_DEP_1)
	v_lshl_or_b32 v1, v3, 2, v1
	v_and_or_b32 v23, v2, 3, v1
                                        ; implicit-def: $vgpr1
; %bb.13188:                            ;   in Loop: Header=BB6_12937 Depth=3
	s_and_not1_saveexec_b32 s13, s13
; %bb.13189:                            ;   in Loop: Header=BB6_12937 Depth=3
	v_mov_b32_e32 v23, v1
; %bb.13190:                            ;   in Loop: Header=BB6_12937 Depth=3
	s_or_b32 exec_lo, exec_lo, s13
.LBB6_13191:                            ;   in Loop: Header=BB6_12937 Depth=3
	s_delay_alu instid0(SALU_CYCLE_1)
	s_or_b32 exec_lo, exec_lo, s73
                                        ; implicit-def: $vgpr1
.LBB6_13192:                            ;   in Loop: Header=BB6_12937 Depth=3
	s_and_not1_saveexec_b32 s13, s72
; %bb.13193:                            ;   in Loop: Header=BB6_12937 Depth=3
	v_or_b32_e32 v23, 0x7b, v1
; %bb.13194:                            ;   in Loop: Header=BB6_12937 Depth=3
	s_or_b32 exec_lo, exec_lo, s13
                                        ; implicit-def: $vgpr5
                                        ; implicit-def: $vgpr2_vgpr3
.LBB6_13195:                            ;   in Loop: Header=BB6_12937 Depth=3
	s_and_not1_saveexec_b32 s13, s43
	s_cbranch_execz .LBB6_13201
; %bb.13196:                            ;   in Loop: Header=BB6_12937 Depth=3
	s_mov_b32 s43, exec_lo
                                        ; implicit-def: $vgpr23
	v_cmpx_ne_u64_e32 0, v[2:3]
	s_xor_b32 s43, exec_lo, s43
; %bb.13197:                            ;   in Loop: Header=BB6_12937 Depth=3
	v_lshrrev_b32_e32 v1, 24, v5
                                        ; implicit-def: $vgpr5
	s_delay_alu instid0(VALU_DEP_1)
	v_or_b32_e32 v23, 0x7f, v1
; %bb.13198:                            ;   in Loop: Header=BB6_12937 Depth=3
	s_and_not1_saveexec_b32 s43, s43
; %bb.13199:                            ;   in Loop: Header=BB6_12937 Depth=3
	v_cmp_lt_i32_e32 vcc_lo, -1, v5
	v_cndmask_b32_e64 v23, -4, 0x7c, vcc_lo
; %bb.13200:                            ;   in Loop: Header=BB6_12937 Depth=3
	s_or_b32 exec_lo, exec_lo, s43
.LBB6_13201:                            ;   in Loop: Header=BB6_12937 Depth=3
	s_delay_alu instid0(SALU_CYCLE_1)
	s_or_b32 exec_lo, exec_lo, s13
	v_dual_mov_b32 v1, 0 :: v_dual_mov_b32 v2, 0
	s_mov_b32 s43, exec_lo
	v_cmpx_ne_u16_e32 0, v60
	s_cbranch_execz .LBB6_13211
; %bb.13202:                            ;   in Loop: Header=BB6_12937 Depth=3
	v_bfrev_b32_e32 v2, 1
	s_mov_b32 s72, exec_lo
	v_cmpx_ne_u16_e32 0xff80, v60
	s_cbranch_execz .LBB6_13210
; %bb.13203:                            ;   in Loop: Header=BB6_12937 Depth=3
	v_and_b32_e32 v2, 0x7c, v60
	v_and_b32_e32 v3, 3, v60
	s_delay_alu instid0(VALU_DEP_2) | instskip(SKIP_1) | instid1(SALU_CYCLE_1)
	v_cmp_ne_u32_e32 vcc_lo, 0x7c, v2
                                        ; implicit-def: $vgpr2
	s_and_saveexec_b32 s13, vcc_lo
	s_xor_b32 s13, exec_lo, s13
	s_cbranch_execz .LBB6_13207
; %bb.13204:                            ;   in Loop: Header=BB6_12937 Depth=3
	v_and_b32_e32 v2, 0xff, v60
	s_mov_b32 s73, exec_lo
	s_delay_alu instid0(VALU_DEP_1) | instskip(NEXT) | instid1(VALU_DEP_1)
	v_bfe_u32 v2, v2, 2, 5
	v_cmpx_eq_u32_e32 0, v2
	s_cbranch_execz .LBB6_13206
; %bb.13205:                            ;   in Loop: Header=BB6_12937 Depth=3
	v_clz_i32_u32_e32 v2, v3
	s_delay_alu instid0(VALU_DEP_1) | instskip(SKIP_1) | instid1(VALU_DEP_2)
	v_min_u32_e32 v2, 32, v2
	v_mov_b32_e32 v61, v21
	v_subrev_nc_u32_e32 v3, 29, v2
	v_sub_nc_u32_e32 v2, 30, v2
	s_delay_alu instid0(VALU_DEP_2) | instskip(NEXT) | instid1(VALU_DEP_1)
	v_lshlrev_b64_e32 v[14:15], v3, v[60:61]
	v_and_b32_e32 v3, 3, v14
.LBB6_13206:                            ;   in Loop: Header=BB6_12937 Depth=3
	s_or_b32 exec_lo, exec_lo, s73
	v_bfe_i32 v5, v60, 0, 16
                                        ; implicit-def: $vgpr60
	s_delay_alu instid0(VALU_DEP_1) | instskip(NEXT) | instid1(VALU_DEP_1)
	v_and_b32_e32 v5, 0x80000000, v5
	v_lshl_add_u32 v2, v2, 23, v5
	s_delay_alu instid0(VALU_DEP_1) | instskip(NEXT) | instid1(VALU_DEP_1)
	v_lshl_or_b32 v2, v3, 21, v2
                                        ; implicit-def: $vgpr3
	v_add_nc_u32_e32 v2, 0x38000000, v2
.LBB6_13207:                            ;   in Loop: Header=BB6_12937 Depth=3
	s_and_not1_saveexec_b32 s73, s13
; %bb.13208:                            ;   in Loop: Header=BB6_12937 Depth=3
	v_cmp_lt_i16_e64 s13, -1, v60
	v_mov_b32_e32 v2, 0x7f800000
	v_cmp_eq_u32_e32 vcc_lo, 0, v3
	s_delay_alu instid0(VALU_DEP_2) | instskip(NEXT) | instid1(VALU_DEP_1)
	v_cndmask_b32_e64 v2, 0xff800000, v2, s13
	v_cndmask_b32_e32 v2, 0x7f800001, v2, vcc_lo
; %bb.13209:                            ;   in Loop: Header=BB6_12937 Depth=3
	s_or_b32 exec_lo, exec_lo, s73
.LBB6_13210:                            ;   in Loop: Header=BB6_12937 Depth=3
	s_delay_alu instid0(SALU_CYCLE_1)
	s_or_b32 exec_lo, exec_lo, s72
.LBB6_13211:                            ;   in Loop: Header=BB6_12937 Depth=3
	s_delay_alu instid0(SALU_CYCLE_1) | instskip(NEXT) | instid1(SALU_CYCLE_1)
	s_or_b32 exec_lo, exec_lo, s43
	s_mov_b32 s43, exec_lo
	v_cmpx_ne_u16_e32 0, v114
	s_cbranch_execz .LBB6_13221
; %bb.13212:                            ;   in Loop: Header=BB6_12937 Depth=3
	v_bfrev_b32_e32 v1, 1
	s_mov_b32 s72, exec_lo
	v_cmpx_ne_u16_e32 0xff80, v114
	s_cbranch_execz .LBB6_13220
; %bb.13213:                            ;   in Loop: Header=BB6_12937 Depth=3
	v_and_b32_e32 v1, 0x7c, v114
	v_and_b32_e32 v3, 3, v114
	s_delay_alu instid0(VALU_DEP_2) | instskip(SKIP_1) | instid1(SALU_CYCLE_1)
	v_cmp_ne_u32_e32 vcc_lo, 0x7c, v1
                                        ; implicit-def: $vgpr1
	s_and_saveexec_b32 s13, vcc_lo
	s_xor_b32 s13, exec_lo, s13
	s_cbranch_execz .LBB6_13217
; %bb.13214:                            ;   in Loop: Header=BB6_12937 Depth=3
	v_and_b32_e32 v1, 0xff, v114
	s_mov_b32 s73, exec_lo
	s_delay_alu instid0(VALU_DEP_1) | instskip(NEXT) | instid1(VALU_DEP_1)
	v_bfe_u32 v1, v1, 2, 5
	v_cmpx_eq_u32_e32 0, v1
	s_cbranch_execz .LBB6_13216
; %bb.13215:                            ;   in Loop: Header=BB6_12937 Depth=3
	v_clz_i32_u32_e32 v1, v3
	s_delay_alu instid0(VALU_DEP_1) | instskip(SKIP_1) | instid1(VALU_DEP_2)
	v_min_u32_e32 v1, 32, v1
	v_mov_b32_e32 v115, v21
	v_subrev_nc_u32_e32 v3, 29, v1
	v_sub_nc_u32_e32 v1, 30, v1
	s_delay_alu instid0(VALU_DEP_2) | instskip(NEXT) | instid1(VALU_DEP_1)
	v_lshlrev_b64_e32 v[14:15], v3, v[114:115]
	v_and_b32_e32 v3, 3, v14
.LBB6_13216:                            ;   in Loop: Header=BB6_12937 Depth=3
	s_or_b32 exec_lo, exec_lo, s73
	v_bfe_i32 v5, v114, 0, 16
                                        ; implicit-def: $vgpr114
	s_delay_alu instid0(VALU_DEP_1) | instskip(NEXT) | instid1(VALU_DEP_1)
	v_and_b32_e32 v5, 0x80000000, v5
	v_lshl_add_u32 v1, v1, 23, v5
	s_delay_alu instid0(VALU_DEP_1) | instskip(NEXT) | instid1(VALU_DEP_1)
	v_lshl_or_b32 v1, v3, 21, v1
                                        ; implicit-def: $vgpr3
	v_add_nc_u32_e32 v1, 0x38000000, v1
.LBB6_13217:                            ;   in Loop: Header=BB6_12937 Depth=3
	s_and_not1_saveexec_b32 s73, s13
; %bb.13218:                            ;   in Loop: Header=BB6_12937 Depth=3
	v_cmp_lt_i16_e64 s13, -1, v114
	v_mov_b32_e32 v1, 0x7f800000
	v_cmp_eq_u32_e32 vcc_lo, 0, v3
	s_delay_alu instid0(VALU_DEP_2) | instskip(NEXT) | instid1(VALU_DEP_1)
	v_cndmask_b32_e64 v1, 0xff800000, v1, s13
	v_cndmask_b32_e32 v1, 0x7f800001, v1, vcc_lo
; %bb.13219:                            ;   in Loop: Header=BB6_12937 Depth=3
	s_or_b32 exec_lo, exec_lo, s73
.LBB6_13220:                            ;   in Loop: Header=BB6_12937 Depth=3
	s_delay_alu instid0(SALU_CYCLE_1)
	s_or_b32 exec_lo, exec_lo, s72
.LBB6_13221:                            ;   in Loop: Header=BB6_12937 Depth=3
	s_delay_alu instid0(SALU_CYCLE_1) | instskip(NEXT) | instid1(VALU_DEP_1)
	s_or_b32 exec_lo, exec_lo, s43
	v_dual_mul_f32 v5, v2, v1 :: v_dual_mov_b32 v3, v21
                                        ; implicit-def: $vgpr64
	s_delay_alu instid0(VALU_DEP_1) | instskip(NEXT) | instid1(VALU_DEP_1)
	v_and_b32_e32 v2, 0x7f800000, v5
	v_cmp_ne_u64_e32 vcc_lo, 0x7f800000, v[2:3]
	v_and_b32_e32 v2, 0x7fffff, v5
	s_and_saveexec_b32 s13, vcc_lo
	s_delay_alu instid0(SALU_CYCLE_1)
	s_xor_b32 s43, exec_lo, s13
	s_cbranch_execz .LBB6_13239
; %bb.13222:                            ;   in Loop: Header=BB6_12937 Depth=3
	v_dual_mov_b32 v15, v21 :: v_dual_lshrrev_b32 v1, 24, v5
	v_and_b32_e32 v14, 0x7fffffff, v5
                                        ; implicit-def: $vgpr64
	s_mov_b32 s13, exec_lo
	s_delay_alu instid0(VALU_DEP_2) | instskip(NEXT) | instid1(VALU_DEP_2)
	v_and_b32_e32 v1, 0x80, v1
	v_cmpx_gt_u64_e32 0x47600001, v[14:15]
	s_xor_b32 s72, exec_lo, s13
	s_cbranch_execz .LBB6_13236
; %bb.13223:                            ;   in Loop: Header=BB6_12937 Depth=3
	v_mov_b32_e32 v64, 0
	s_mov_b32 s73, exec_lo
	v_cmpx_ne_u32_e32 0, v5
	s_cbranch_execz .LBB6_13235
; %bb.13224:                            ;   in Loop: Header=BB6_12937 Depth=3
	v_bfe_u32 v5, v5, 23, 8
	v_or_b32_e32 v14, 0x800000, v2
	s_delay_alu instid0(VALU_DEP_2) | instskip(SKIP_1) | instid1(VALU_DEP_3)
	v_cmp_eq_u32_e32 vcc_lo, 0, v5
	v_cmp_gt_u32_e64 s13, 0x72, v5
	v_dual_cndmask_b32 v2, v14, v2 :: v_dual_sub_nc_u32 v7, 0x71, v5
	s_delay_alu instid0(VALU_DEP_1) | instskip(NEXT) | instid1(VALU_DEP_1)
	v_cndmask_b32_e64 v7, 0, v7, s13
	v_cndmask_b32_e64 v7, v7, 0x70, vcc_lo
	s_delay_alu instid0(VALU_DEP_1) | instskip(NEXT) | instid1(VALU_DEP_1)
	v_dual_add_nc_u32 v14, 21, v7 :: v_dual_add_nc_u32 v24, 20, v7
	v_lshlrev_b64_e64 v[14:15], v14, -1
	s_delay_alu instid0(VALU_DEP_2) | instskip(NEXT) | instid1(VALU_DEP_2)
	v_lshlrev_b64_e64 v[24:25], v24, 1
	v_bfi_b32 v14, v14, 0, v2
	v_lshrrev_b64 v[2:3], v7, v[2:3]
	s_delay_alu instid0(VALU_DEP_4) | instskip(NEXT) | instid1(VALU_DEP_1)
	v_bfi_b32 v15, v15, 0, 0
	v_cmp_eq_u64_e64 s13, v[14:15], v[24:25]
	s_delay_alu instid0(VALU_DEP_3)
	v_mov_b64_e32 v[14:15], v[2:3]
	s_and_saveexec_b32 s74, s13
; %bb.13225:                            ;   in Loop: Header=BB6_12937 Depth=3
	v_bfe_u32 v14, v2, 21, 1
	v_mov_b32_e32 v15, v21
	s_delay_alu instid0(VALU_DEP_1) | instskip(NEXT) | instid1(VALU_DEP_1)
	v_add_nc_u64_e32 v[14:15], v[2:3], v[14:15]
	v_add_nc_u64_e32 v[14:15], -1, v[14:15]
; %bb.13226:                            ;   in Loop: Header=BB6_12937 Depth=3
	s_or_b32 exec_lo, exec_lo, s74
	v_add_nc_u32_e32 v3, 0xffffff81, v5
	v_lshrrev_b32_e32 v5, 23, v2
	s_mov_b32 s13, exec_lo
	s_delay_alu instid0(VALU_DEP_2) | instskip(NEXT) | instid1(VALU_DEP_1)
	v_cndmask_b32_e64 v3, v3, 0xffffff82, vcc_lo
	v_add3_u32 v15, v7, v3, v5
	v_and_b32_e32 v3, 0x1fffff, v14
                                        ; implicit-def: $vgpr5
	s_delay_alu instid0(VALU_DEP_1) | instskip(SKIP_1) | instid1(VALU_DEP_2)
	v_dual_add_nc_u32 v7, 14, v15 :: v_dual_add_nc_u32 v2, v3, v2
	v_mov_b32_e32 v3, v21
	v_cmpx_ne_u32_e32 0, v7
	s_xor_b32 s13, exec_lo, s13
; %bb.13227:                            ;   in Loop: Header=BB6_12937 Depth=3
	s_delay_alu instid0(VALU_DEP_2) | instskip(SKIP_1) | instid1(VALU_DEP_1)
	v_cmp_lt_u64_e32 vcc_lo, 0xffffff, v[2:3]
	v_add_nc_u32_e32 v5, 15, v15
	v_cndmask_b32_e32 v5, v7, v5, vcc_lo
	v_cndmask_b32_e64 v7, 0, 1, vcc_lo
	s_delay_alu instid0(VALU_DEP_1)
	v_lshrrev_b64 v[2:3], v7, v[2:3]
; %bb.13228:                            ;   in Loop: Header=BB6_12937 Depth=3
	s_and_not1_saveexec_b32 s13, s13
; %bb.13229:                            ;   in Loop: Header=BB6_12937 Depth=3
	s_delay_alu instid0(VALU_DEP_1)
	v_bfe_u32 v5, v2, 23, 1
; %bb.13230:                            ;   in Loop: Header=BB6_12937 Depth=3
	s_or_b32 exec_lo, exec_lo, s13
	s_delay_alu instid0(VALU_DEP_2) | instskip(NEXT) | instid1(VALU_DEP_2)
	v_lshrrev_b64 v[2:3], 21, v[2:3]
	v_cmp_gt_i32_e32 vcc_lo, 32, v5
	v_cmp_ne_u32_e64 s13, 0, v5
                                        ; implicit-def: $vgpr64
	s_delay_alu instid0(VALU_DEP_3) | instskip(NEXT) | instid1(VALU_DEP_1)
	v_dual_cndmask_b32 v3, 0, v3 :: v_dual_cndmask_b32 v2, 3, v2
	v_cmp_ne_u64_e32 vcc_lo, 0, v[2:3]
	s_or_b32 s13, s13, vcc_lo
	s_delay_alu instid0(SALU_CYCLE_1) | instskip(NEXT) | instid1(SALU_CYCLE_1)
	s_and_saveexec_b32 s74, s13
	s_xor_b32 s13, exec_lo, s74
; %bb.13231:                            ;   in Loop: Header=BB6_12937 Depth=3
	v_min_i32_e32 v3, 31, v5
	s_delay_alu instid0(VALU_DEP_1) | instskip(NEXT) | instid1(VALU_DEP_1)
	v_lshl_or_b32 v1, v3, 2, v1
	v_and_or_b32 v64, v2, 3, v1
                                        ; implicit-def: $vgpr1
; %bb.13232:                            ;   in Loop: Header=BB6_12937 Depth=3
	s_and_not1_saveexec_b32 s13, s13
; %bb.13233:                            ;   in Loop: Header=BB6_12937 Depth=3
	v_mov_b32_e32 v64, v1
; %bb.13234:                            ;   in Loop: Header=BB6_12937 Depth=3
	s_or_b32 exec_lo, exec_lo, s13
.LBB6_13235:                            ;   in Loop: Header=BB6_12937 Depth=3
	s_delay_alu instid0(SALU_CYCLE_1)
	s_or_b32 exec_lo, exec_lo, s73
                                        ; implicit-def: $vgpr1
.LBB6_13236:                            ;   in Loop: Header=BB6_12937 Depth=3
	s_and_not1_saveexec_b32 s13, s72
; %bb.13237:                            ;   in Loop: Header=BB6_12937 Depth=3
	v_or_b32_e32 v64, 0x7b, v1
; %bb.13238:                            ;   in Loop: Header=BB6_12937 Depth=3
	s_or_b32 exec_lo, exec_lo, s13
                                        ; implicit-def: $vgpr5
                                        ; implicit-def: $vgpr2_vgpr3
.LBB6_13239:                            ;   in Loop: Header=BB6_12937 Depth=3
	s_and_not1_saveexec_b32 s13, s43
	s_cbranch_execz .LBB6_13245
; %bb.13240:                            ;   in Loop: Header=BB6_12937 Depth=3
	s_mov_b32 s43, exec_lo
                                        ; implicit-def: $vgpr64
	v_cmpx_ne_u64_e32 0, v[2:3]
	s_xor_b32 s43, exec_lo, s43
; %bb.13241:                            ;   in Loop: Header=BB6_12937 Depth=3
	v_lshrrev_b32_e32 v1, 24, v5
                                        ; implicit-def: $vgpr5
	s_delay_alu instid0(VALU_DEP_1)
	v_or_b32_e32 v64, 0x7f, v1
; %bb.13242:                            ;   in Loop: Header=BB6_12937 Depth=3
	s_and_not1_saveexec_b32 s43, s43
; %bb.13243:                            ;   in Loop: Header=BB6_12937 Depth=3
	v_cmp_lt_i32_e32 vcc_lo, -1, v5
	v_cndmask_b32_e64 v64, -4, 0x7c, vcc_lo
; %bb.13244:                            ;   in Loop: Header=BB6_12937 Depth=3
	s_or_b32 exec_lo, exec_lo, s43
.LBB6_13245:                            ;   in Loop: Header=BB6_12937 Depth=3
	s_delay_alu instid0(SALU_CYCLE_1)
	s_or_b32 exec_lo, exec_lo, s13
	v_dual_mov_b32 v1, 0 :: v_dual_mov_b32 v2, 0
	s_mov_b32 s43, exec_lo
	v_cmpx_ne_u16_e32 0, v86
	s_cbranch_execz .LBB6_13255
; %bb.13246:                            ;   in Loop: Header=BB6_12937 Depth=3
	v_bfrev_b32_e32 v2, 1
	s_mov_b32 s72, exec_lo
	v_cmpx_ne_u16_e32 0xff80, v86
	s_cbranch_execz .LBB6_13254
; %bb.13247:                            ;   in Loop: Header=BB6_12937 Depth=3
	v_and_b32_e32 v2, 0x7c, v86
	v_and_b32_e32 v3, 3, v86
	s_delay_alu instid0(VALU_DEP_2) | instskip(SKIP_1) | instid1(SALU_CYCLE_1)
	v_cmp_ne_u32_e32 vcc_lo, 0x7c, v2
                                        ; implicit-def: $vgpr2
	s_and_saveexec_b32 s13, vcc_lo
	s_xor_b32 s13, exec_lo, s13
	s_cbranch_execz .LBB6_13251
; %bb.13248:                            ;   in Loop: Header=BB6_12937 Depth=3
	v_and_b32_e32 v2, 0xff, v86
	s_mov_b32 s73, exec_lo
	s_delay_alu instid0(VALU_DEP_1) | instskip(NEXT) | instid1(VALU_DEP_1)
	v_bfe_u32 v2, v2, 2, 5
	v_cmpx_eq_u32_e32 0, v2
	s_cbranch_execz .LBB6_13250
; %bb.13249:                            ;   in Loop: Header=BB6_12937 Depth=3
	v_clz_i32_u32_e32 v2, v3
	s_delay_alu instid0(VALU_DEP_1) | instskip(SKIP_1) | instid1(VALU_DEP_2)
	v_min_u32_e32 v2, 32, v2
	v_mov_b32_e32 v87, v21
	v_subrev_nc_u32_e32 v3, 29, v2
	v_sub_nc_u32_e32 v2, 30, v2
	s_delay_alu instid0(VALU_DEP_2) | instskip(NEXT) | instid1(VALU_DEP_1)
	v_lshlrev_b64_e32 v[14:15], v3, v[86:87]
	v_and_b32_e32 v3, 3, v14
.LBB6_13250:                            ;   in Loop: Header=BB6_12937 Depth=3
	s_or_b32 exec_lo, exec_lo, s73
	v_bfe_i32 v5, v86, 0, 16
                                        ; implicit-def: $vgpr86
	s_delay_alu instid0(VALU_DEP_1) | instskip(NEXT) | instid1(VALU_DEP_1)
	v_and_b32_e32 v5, 0x80000000, v5
	v_lshl_add_u32 v2, v2, 23, v5
	s_delay_alu instid0(VALU_DEP_1) | instskip(NEXT) | instid1(VALU_DEP_1)
	v_lshl_or_b32 v2, v3, 21, v2
                                        ; implicit-def: $vgpr3
	v_add_nc_u32_e32 v2, 0x38000000, v2
.LBB6_13251:                            ;   in Loop: Header=BB6_12937 Depth=3
	s_and_not1_saveexec_b32 s73, s13
; %bb.13252:                            ;   in Loop: Header=BB6_12937 Depth=3
	v_cmp_lt_i16_e64 s13, -1, v86
	v_mov_b32_e32 v2, 0x7f800000
	v_cmp_eq_u32_e32 vcc_lo, 0, v3
	s_delay_alu instid0(VALU_DEP_2) | instskip(NEXT) | instid1(VALU_DEP_1)
	v_cndmask_b32_e64 v2, 0xff800000, v2, s13
	v_cndmask_b32_e32 v2, 0x7f800001, v2, vcc_lo
; %bb.13253:                            ;   in Loop: Header=BB6_12937 Depth=3
	s_or_b32 exec_lo, exec_lo, s73
.LBB6_13254:                            ;   in Loop: Header=BB6_12937 Depth=3
	s_delay_alu instid0(SALU_CYCLE_1)
	s_or_b32 exec_lo, exec_lo, s72
.LBB6_13255:                            ;   in Loop: Header=BB6_12937 Depth=3
	s_delay_alu instid0(SALU_CYCLE_1) | instskip(NEXT) | instid1(SALU_CYCLE_1)
	s_or_b32 exec_lo, exec_lo, s43
	s_mov_b32 s43, exec_lo
	v_cmpx_ne_u16_e32 0, v102
	s_cbranch_execz .LBB6_13265
; %bb.13256:                            ;   in Loop: Header=BB6_12937 Depth=3
	v_bfrev_b32_e32 v1, 1
	s_mov_b32 s72, exec_lo
	v_cmpx_ne_u16_e32 0xff80, v102
	s_cbranch_execz .LBB6_13264
; %bb.13257:                            ;   in Loop: Header=BB6_12937 Depth=3
	v_and_b32_e32 v1, 0x7c, v102
	v_and_b32_e32 v3, 3, v102
	s_delay_alu instid0(VALU_DEP_2) | instskip(SKIP_1) | instid1(SALU_CYCLE_1)
	v_cmp_ne_u32_e32 vcc_lo, 0x7c, v1
                                        ; implicit-def: $vgpr1
	s_and_saveexec_b32 s13, vcc_lo
	s_xor_b32 s13, exec_lo, s13
	s_cbranch_execz .LBB6_13261
; %bb.13258:                            ;   in Loop: Header=BB6_12937 Depth=3
	v_and_b32_e32 v1, 0xff, v102
	s_mov_b32 s73, exec_lo
	s_delay_alu instid0(VALU_DEP_1) | instskip(NEXT) | instid1(VALU_DEP_1)
	v_bfe_u32 v1, v1, 2, 5
	v_cmpx_eq_u32_e32 0, v1
	s_cbranch_execz .LBB6_13260
; %bb.13259:                            ;   in Loop: Header=BB6_12937 Depth=3
	v_clz_i32_u32_e32 v1, v3
	s_delay_alu instid0(VALU_DEP_1) | instskip(SKIP_1) | instid1(VALU_DEP_2)
	v_min_u32_e32 v1, 32, v1
	v_mov_b32_e32 v103, v21
	v_subrev_nc_u32_e32 v3, 29, v1
	v_sub_nc_u32_e32 v1, 30, v1
	s_delay_alu instid0(VALU_DEP_2) | instskip(NEXT) | instid1(VALU_DEP_1)
	v_lshlrev_b64_e32 v[14:15], v3, v[102:103]
	v_and_b32_e32 v3, 3, v14
.LBB6_13260:                            ;   in Loop: Header=BB6_12937 Depth=3
	s_or_b32 exec_lo, exec_lo, s73
	v_bfe_i32 v5, v102, 0, 16
                                        ; implicit-def: $vgpr102
	s_delay_alu instid0(VALU_DEP_1) | instskip(NEXT) | instid1(VALU_DEP_1)
	v_and_b32_e32 v5, 0x80000000, v5
	v_lshl_add_u32 v1, v1, 23, v5
	s_delay_alu instid0(VALU_DEP_1) | instskip(NEXT) | instid1(VALU_DEP_1)
	v_lshl_or_b32 v1, v3, 21, v1
                                        ; implicit-def: $vgpr3
	v_add_nc_u32_e32 v1, 0x38000000, v1
.LBB6_13261:                            ;   in Loop: Header=BB6_12937 Depth=3
	s_and_not1_saveexec_b32 s73, s13
; %bb.13262:                            ;   in Loop: Header=BB6_12937 Depth=3
	v_cmp_lt_i16_e64 s13, -1, v102
	v_mov_b32_e32 v1, 0x7f800000
	v_cmp_eq_u32_e32 vcc_lo, 0, v3
	s_delay_alu instid0(VALU_DEP_2) | instskip(NEXT) | instid1(VALU_DEP_1)
	v_cndmask_b32_e64 v1, 0xff800000, v1, s13
	v_cndmask_b32_e32 v1, 0x7f800001, v1, vcc_lo
; %bb.13263:                            ;   in Loop: Header=BB6_12937 Depth=3
	s_or_b32 exec_lo, exec_lo, s73
.LBB6_13264:                            ;   in Loop: Header=BB6_12937 Depth=3
	s_delay_alu instid0(SALU_CYCLE_1)
	s_or_b32 exec_lo, exec_lo, s72
.LBB6_13265:                            ;   in Loop: Header=BB6_12937 Depth=3
	s_delay_alu instid0(SALU_CYCLE_1) | instskip(NEXT) | instid1(VALU_DEP_1)
	s_or_b32 exec_lo, exec_lo, s43
	v_dual_mul_f32 v5, v2, v1 :: v_dual_mov_b32 v3, v21
                                        ; implicit-def: $vgpr65
	s_delay_alu instid0(VALU_DEP_1) | instskip(NEXT) | instid1(VALU_DEP_1)
	v_and_b32_e32 v2, 0x7f800000, v5
	v_cmp_ne_u64_e32 vcc_lo, 0x7f800000, v[2:3]
	v_and_b32_e32 v2, 0x7fffff, v5
	s_and_saveexec_b32 s13, vcc_lo
	s_delay_alu instid0(SALU_CYCLE_1)
	s_xor_b32 s43, exec_lo, s13
	s_cbranch_execz .LBB6_13283
; %bb.13266:                            ;   in Loop: Header=BB6_12937 Depth=3
	v_dual_mov_b32 v15, v21 :: v_dual_lshrrev_b32 v1, 24, v5
	v_and_b32_e32 v14, 0x7fffffff, v5
                                        ; implicit-def: $vgpr65
	s_mov_b32 s13, exec_lo
	s_delay_alu instid0(VALU_DEP_2) | instskip(NEXT) | instid1(VALU_DEP_2)
	v_and_b32_e32 v1, 0x80, v1
	v_cmpx_gt_u64_e32 0x47600001, v[14:15]
	s_xor_b32 s72, exec_lo, s13
	s_cbranch_execz .LBB6_13280
; %bb.13267:                            ;   in Loop: Header=BB6_12937 Depth=3
	v_mov_b32_e32 v65, 0
	s_mov_b32 s73, exec_lo
	v_cmpx_ne_u32_e32 0, v5
	s_cbranch_execz .LBB6_13279
; %bb.13268:                            ;   in Loop: Header=BB6_12937 Depth=3
	v_bfe_u32 v5, v5, 23, 8
	v_or_b32_e32 v14, 0x800000, v2
	s_delay_alu instid0(VALU_DEP_2) | instskip(SKIP_1) | instid1(VALU_DEP_3)
	v_cmp_eq_u32_e32 vcc_lo, 0, v5
	v_cmp_gt_u32_e64 s13, 0x72, v5
	v_dual_cndmask_b32 v2, v14, v2 :: v_dual_sub_nc_u32 v7, 0x71, v5
	s_delay_alu instid0(VALU_DEP_1) | instskip(NEXT) | instid1(VALU_DEP_1)
	v_cndmask_b32_e64 v7, 0, v7, s13
	v_cndmask_b32_e64 v7, v7, 0x70, vcc_lo
	s_delay_alu instid0(VALU_DEP_1) | instskip(NEXT) | instid1(VALU_DEP_1)
	v_dual_add_nc_u32 v14, 21, v7 :: v_dual_add_nc_u32 v24, 20, v7
	v_lshlrev_b64_e64 v[14:15], v14, -1
	s_delay_alu instid0(VALU_DEP_2) | instskip(NEXT) | instid1(VALU_DEP_2)
	v_lshlrev_b64_e64 v[24:25], v24, 1
	v_bfi_b32 v14, v14, 0, v2
	v_lshrrev_b64 v[2:3], v7, v[2:3]
	s_delay_alu instid0(VALU_DEP_4) | instskip(NEXT) | instid1(VALU_DEP_1)
	v_bfi_b32 v15, v15, 0, 0
	v_cmp_eq_u64_e64 s13, v[14:15], v[24:25]
	s_delay_alu instid0(VALU_DEP_3)
	v_mov_b64_e32 v[14:15], v[2:3]
	s_and_saveexec_b32 s74, s13
; %bb.13269:                            ;   in Loop: Header=BB6_12937 Depth=3
	v_bfe_u32 v14, v2, 21, 1
	v_mov_b32_e32 v15, v21
	s_delay_alu instid0(VALU_DEP_1) | instskip(NEXT) | instid1(VALU_DEP_1)
	v_add_nc_u64_e32 v[14:15], v[2:3], v[14:15]
	v_add_nc_u64_e32 v[14:15], -1, v[14:15]
; %bb.13270:                            ;   in Loop: Header=BB6_12937 Depth=3
	s_or_b32 exec_lo, exec_lo, s74
	v_add_nc_u32_e32 v3, 0xffffff81, v5
	v_lshrrev_b32_e32 v5, 23, v2
	s_mov_b32 s13, exec_lo
	s_delay_alu instid0(VALU_DEP_2) | instskip(NEXT) | instid1(VALU_DEP_1)
	v_cndmask_b32_e64 v3, v3, 0xffffff82, vcc_lo
	v_add3_u32 v15, v7, v3, v5
	v_and_b32_e32 v3, 0x1fffff, v14
                                        ; implicit-def: $vgpr5
	s_delay_alu instid0(VALU_DEP_1) | instskip(SKIP_1) | instid1(VALU_DEP_2)
	v_dual_add_nc_u32 v7, 14, v15 :: v_dual_add_nc_u32 v2, v3, v2
	v_mov_b32_e32 v3, v21
	v_cmpx_ne_u32_e32 0, v7
	s_xor_b32 s13, exec_lo, s13
; %bb.13271:                            ;   in Loop: Header=BB6_12937 Depth=3
	s_delay_alu instid0(VALU_DEP_2) | instskip(SKIP_1) | instid1(VALU_DEP_1)
	v_cmp_lt_u64_e32 vcc_lo, 0xffffff, v[2:3]
	v_add_nc_u32_e32 v5, 15, v15
	v_cndmask_b32_e32 v5, v7, v5, vcc_lo
	v_cndmask_b32_e64 v7, 0, 1, vcc_lo
	s_delay_alu instid0(VALU_DEP_1)
	v_lshrrev_b64 v[2:3], v7, v[2:3]
; %bb.13272:                            ;   in Loop: Header=BB6_12937 Depth=3
	s_and_not1_saveexec_b32 s13, s13
; %bb.13273:                            ;   in Loop: Header=BB6_12937 Depth=3
	s_delay_alu instid0(VALU_DEP_1)
	v_bfe_u32 v5, v2, 23, 1
; %bb.13274:                            ;   in Loop: Header=BB6_12937 Depth=3
	s_or_b32 exec_lo, exec_lo, s13
	s_delay_alu instid0(VALU_DEP_2) | instskip(NEXT) | instid1(VALU_DEP_2)
	v_lshrrev_b64 v[2:3], 21, v[2:3]
	v_cmp_gt_i32_e32 vcc_lo, 32, v5
	v_cmp_ne_u32_e64 s13, 0, v5
                                        ; implicit-def: $vgpr65
	s_delay_alu instid0(VALU_DEP_3) | instskip(NEXT) | instid1(VALU_DEP_1)
	v_dual_cndmask_b32 v3, 0, v3 :: v_dual_cndmask_b32 v2, 3, v2
	v_cmp_ne_u64_e32 vcc_lo, 0, v[2:3]
	s_or_b32 s13, s13, vcc_lo
	s_delay_alu instid0(SALU_CYCLE_1) | instskip(NEXT) | instid1(SALU_CYCLE_1)
	s_and_saveexec_b32 s74, s13
	s_xor_b32 s13, exec_lo, s74
; %bb.13275:                            ;   in Loop: Header=BB6_12937 Depth=3
	v_min_i32_e32 v3, 31, v5
	s_delay_alu instid0(VALU_DEP_1) | instskip(NEXT) | instid1(VALU_DEP_1)
	v_lshl_or_b32 v1, v3, 2, v1
	v_and_or_b32 v65, v2, 3, v1
                                        ; implicit-def: $vgpr1
; %bb.13276:                            ;   in Loop: Header=BB6_12937 Depth=3
	s_and_not1_saveexec_b32 s13, s13
; %bb.13277:                            ;   in Loop: Header=BB6_12937 Depth=3
	v_mov_b32_e32 v65, v1
; %bb.13278:                            ;   in Loop: Header=BB6_12937 Depth=3
	s_or_b32 exec_lo, exec_lo, s13
.LBB6_13279:                            ;   in Loop: Header=BB6_12937 Depth=3
	s_delay_alu instid0(SALU_CYCLE_1)
	s_or_b32 exec_lo, exec_lo, s73
                                        ; implicit-def: $vgpr1
.LBB6_13280:                            ;   in Loop: Header=BB6_12937 Depth=3
	s_and_not1_saveexec_b32 s13, s72
; %bb.13281:                            ;   in Loop: Header=BB6_12937 Depth=3
	v_or_b32_e32 v65, 0x7b, v1
; %bb.13282:                            ;   in Loop: Header=BB6_12937 Depth=3
	s_or_b32 exec_lo, exec_lo, s13
                                        ; implicit-def: $vgpr5
                                        ; implicit-def: $vgpr2_vgpr3
.LBB6_13283:                            ;   in Loop: Header=BB6_12937 Depth=3
	s_and_not1_saveexec_b32 s13, s43
	s_cbranch_execz .LBB6_13289
; %bb.13284:                            ;   in Loop: Header=BB6_12937 Depth=3
	s_mov_b32 s43, exec_lo
                                        ; implicit-def: $vgpr65
	v_cmpx_ne_u64_e32 0, v[2:3]
	s_xor_b32 s43, exec_lo, s43
; %bb.13285:                            ;   in Loop: Header=BB6_12937 Depth=3
	v_lshrrev_b32_e32 v1, 24, v5
                                        ; implicit-def: $vgpr5
	s_delay_alu instid0(VALU_DEP_1)
	v_or_b32_e32 v65, 0x7f, v1
; %bb.13286:                            ;   in Loop: Header=BB6_12937 Depth=3
	s_and_not1_saveexec_b32 s43, s43
; %bb.13287:                            ;   in Loop: Header=BB6_12937 Depth=3
	v_cmp_lt_i32_e32 vcc_lo, -1, v5
	v_cndmask_b32_e64 v65, -4, 0x7c, vcc_lo
; %bb.13288:                            ;   in Loop: Header=BB6_12937 Depth=3
	s_or_b32 exec_lo, exec_lo, s43
.LBB6_13289:                            ;   in Loop: Header=BB6_12937 Depth=3
	s_delay_alu instid0(SALU_CYCLE_1)
	s_or_b32 exec_lo, exec_lo, s13
	v_dual_mov_b32 v1, 0 :: v_dual_mov_b32 v2, 0
	s_mov_b32 s43, exec_lo
	v_cmpx_ne_u16_e32 0, v100
	s_cbranch_execz .LBB6_13299
; %bb.13290:                            ;   in Loop: Header=BB6_12937 Depth=3
	v_bfrev_b32_e32 v2, 1
	s_mov_b32 s72, exec_lo
	v_cmpx_ne_u16_e32 0xff80, v100
	s_cbranch_execz .LBB6_13298
; %bb.13291:                            ;   in Loop: Header=BB6_12937 Depth=3
	v_and_b32_e32 v2, 0x7c, v100
	v_and_b32_e32 v3, 3, v100
	s_delay_alu instid0(VALU_DEP_2) | instskip(SKIP_1) | instid1(SALU_CYCLE_1)
	v_cmp_ne_u32_e32 vcc_lo, 0x7c, v2
                                        ; implicit-def: $vgpr2
	s_and_saveexec_b32 s13, vcc_lo
	s_xor_b32 s13, exec_lo, s13
	s_cbranch_execz .LBB6_13295
; %bb.13292:                            ;   in Loop: Header=BB6_12937 Depth=3
	v_and_b32_e32 v2, 0xff, v100
	s_mov_b32 s73, exec_lo
	s_delay_alu instid0(VALU_DEP_1) | instskip(NEXT) | instid1(VALU_DEP_1)
	v_bfe_u32 v2, v2, 2, 5
	v_cmpx_eq_u32_e32 0, v2
	s_cbranch_execz .LBB6_13294
; %bb.13293:                            ;   in Loop: Header=BB6_12937 Depth=3
	v_clz_i32_u32_e32 v2, v3
	s_delay_alu instid0(VALU_DEP_1) | instskip(SKIP_1) | instid1(VALU_DEP_2)
	v_min_u32_e32 v2, 32, v2
	v_mov_b32_e32 v101, v21
	v_subrev_nc_u32_e32 v3, 29, v2
	v_sub_nc_u32_e32 v2, 30, v2
	s_delay_alu instid0(VALU_DEP_2) | instskip(NEXT) | instid1(VALU_DEP_1)
	v_lshlrev_b64_e32 v[14:15], v3, v[100:101]
	v_and_b32_e32 v3, 3, v14
.LBB6_13294:                            ;   in Loop: Header=BB6_12937 Depth=3
	s_or_b32 exec_lo, exec_lo, s73
	v_bfe_i32 v5, v100, 0, 16
                                        ; implicit-def: $vgpr100
	s_delay_alu instid0(VALU_DEP_1) | instskip(NEXT) | instid1(VALU_DEP_1)
	v_and_b32_e32 v5, 0x80000000, v5
	v_lshl_add_u32 v2, v2, 23, v5
	s_delay_alu instid0(VALU_DEP_1) | instskip(NEXT) | instid1(VALU_DEP_1)
	v_lshl_or_b32 v2, v3, 21, v2
                                        ; implicit-def: $vgpr3
	v_add_nc_u32_e32 v2, 0x38000000, v2
.LBB6_13295:                            ;   in Loop: Header=BB6_12937 Depth=3
	s_and_not1_saveexec_b32 s73, s13
; %bb.13296:                            ;   in Loop: Header=BB6_12937 Depth=3
	v_cmp_lt_i16_e64 s13, -1, v100
	v_mov_b32_e32 v2, 0x7f800000
	v_cmp_eq_u32_e32 vcc_lo, 0, v3
	s_delay_alu instid0(VALU_DEP_2) | instskip(NEXT) | instid1(VALU_DEP_1)
	v_cndmask_b32_e64 v2, 0xff800000, v2, s13
	v_cndmask_b32_e32 v2, 0x7f800001, v2, vcc_lo
; %bb.13297:                            ;   in Loop: Header=BB6_12937 Depth=3
	s_or_b32 exec_lo, exec_lo, s73
.LBB6_13298:                            ;   in Loop: Header=BB6_12937 Depth=3
	s_delay_alu instid0(SALU_CYCLE_1)
	s_or_b32 exec_lo, exec_lo, s72
.LBB6_13299:                            ;   in Loop: Header=BB6_12937 Depth=3
	s_delay_alu instid0(SALU_CYCLE_1) | instskip(NEXT) | instid1(SALU_CYCLE_1)
	s_or_b32 exec_lo, exec_lo, s43
	s_mov_b32 s43, exec_lo
	v_cmpx_ne_u16_e32 0, v44
	s_cbranch_execz .LBB6_13309
; %bb.13300:                            ;   in Loop: Header=BB6_12937 Depth=3
	v_bfrev_b32_e32 v1, 1
	s_mov_b32 s72, exec_lo
	v_cmpx_ne_u16_e32 0xff80, v44
	s_cbranch_execz .LBB6_13308
; %bb.13301:                            ;   in Loop: Header=BB6_12937 Depth=3
	v_and_b32_e32 v1, 0x7c, v44
	v_and_b32_e32 v3, 3, v44
	s_delay_alu instid0(VALU_DEP_2) | instskip(SKIP_1) | instid1(SALU_CYCLE_1)
	v_cmp_ne_u32_e32 vcc_lo, 0x7c, v1
                                        ; implicit-def: $vgpr1
	s_and_saveexec_b32 s13, vcc_lo
	s_xor_b32 s13, exec_lo, s13
	s_cbranch_execz .LBB6_13305
; %bb.13302:                            ;   in Loop: Header=BB6_12937 Depth=3
	v_and_b32_e32 v1, 0xff, v44
	s_mov_b32 s73, exec_lo
	s_delay_alu instid0(VALU_DEP_1) | instskip(NEXT) | instid1(VALU_DEP_1)
	v_bfe_u32 v1, v1, 2, 5
	v_cmpx_eq_u32_e32 0, v1
	s_cbranch_execz .LBB6_13304
; %bb.13303:                            ;   in Loop: Header=BB6_12937 Depth=3
	v_clz_i32_u32_e32 v1, v3
	s_delay_alu instid0(VALU_DEP_1) | instskip(SKIP_1) | instid1(VALU_DEP_2)
	v_min_u32_e32 v1, 32, v1
	v_mov_b32_e32 v45, v21
	v_subrev_nc_u32_e32 v3, 29, v1
	v_sub_nc_u32_e32 v1, 30, v1
	s_delay_alu instid0(VALU_DEP_2) | instskip(NEXT) | instid1(VALU_DEP_1)
	v_lshlrev_b64_e32 v[14:15], v3, v[44:45]
	v_and_b32_e32 v3, 3, v14
.LBB6_13304:                            ;   in Loop: Header=BB6_12937 Depth=3
	s_or_b32 exec_lo, exec_lo, s73
	v_bfe_i32 v5, v44, 0, 16
                                        ; implicit-def: $vgpr44
	s_delay_alu instid0(VALU_DEP_1) | instskip(NEXT) | instid1(VALU_DEP_1)
	v_and_b32_e32 v5, 0x80000000, v5
	v_lshl_add_u32 v1, v1, 23, v5
	s_delay_alu instid0(VALU_DEP_1) | instskip(NEXT) | instid1(VALU_DEP_1)
	v_lshl_or_b32 v1, v3, 21, v1
                                        ; implicit-def: $vgpr3
	v_add_nc_u32_e32 v1, 0x38000000, v1
.LBB6_13305:                            ;   in Loop: Header=BB6_12937 Depth=3
	s_and_not1_saveexec_b32 s73, s13
; %bb.13306:                            ;   in Loop: Header=BB6_12937 Depth=3
	v_cmp_lt_i16_e64 s13, -1, v44
	v_mov_b32_e32 v1, 0x7f800000
	v_cmp_eq_u32_e32 vcc_lo, 0, v3
	s_delay_alu instid0(VALU_DEP_2) | instskip(NEXT) | instid1(VALU_DEP_1)
	v_cndmask_b32_e64 v1, 0xff800000, v1, s13
	v_cndmask_b32_e32 v1, 0x7f800001, v1, vcc_lo
; %bb.13307:                            ;   in Loop: Header=BB6_12937 Depth=3
	s_or_b32 exec_lo, exec_lo, s73
.LBB6_13308:                            ;   in Loop: Header=BB6_12937 Depth=3
	s_delay_alu instid0(SALU_CYCLE_1)
	s_or_b32 exec_lo, exec_lo, s72
.LBB6_13309:                            ;   in Loop: Header=BB6_12937 Depth=3
	s_delay_alu instid0(SALU_CYCLE_1) | instskip(NEXT) | instid1(VALU_DEP_1)
	s_or_b32 exec_lo, exec_lo, s43
	v_dual_mul_f32 v5, v2, v1 :: v_dual_mov_b32 v3, v21
                                        ; implicit-def: $vgpr14
	s_delay_alu instid0(VALU_DEP_1) | instskip(NEXT) | instid1(VALU_DEP_1)
	v_and_b32_e32 v2, 0x7f800000, v5
	v_cmp_ne_u64_e32 vcc_lo, 0x7f800000, v[2:3]
	v_and_b32_e32 v2, 0x7fffff, v5
	s_and_saveexec_b32 s13, vcc_lo
	s_delay_alu instid0(SALU_CYCLE_1)
	s_xor_b32 s43, exec_lo, s13
	s_cbranch_execz .LBB6_13327
; %bb.13310:                            ;   in Loop: Header=BB6_12937 Depth=3
	v_and_b32_e32 v14, 0x7fffffff, v5
	v_dual_mov_b32 v15, v21 :: v_dual_lshrrev_b32 v1, 24, v5
	s_delay_alu instid0(VALU_DEP_1) | instskip(NEXT) | instid1(VALU_DEP_2)
	v_cmp_gt_u64_e32 vcc_lo, 0x47600001, v[14:15]
	v_and_b32_e32 v1, 0x80, v1
                                        ; implicit-def: $vgpr14
	s_and_saveexec_b32 s13, vcc_lo
	s_delay_alu instid0(SALU_CYCLE_1)
	s_xor_b32 s72, exec_lo, s13
	s_cbranch_execz .LBB6_13324
; %bb.13311:                            ;   in Loop: Header=BB6_12937 Depth=3
	v_mov_b32_e32 v14, 0
	s_mov_b32 s73, exec_lo
	v_cmpx_ne_u32_e32 0, v5
	s_cbranch_execz .LBB6_13323
; %bb.13312:                            ;   in Loop: Header=BB6_12937 Depth=3
	v_bfe_u32 v5, v5, 23, 8
	v_or_b32_e32 v14, 0x800000, v2
	s_delay_alu instid0(VALU_DEP_2) | instskip(SKIP_1) | instid1(VALU_DEP_3)
	v_cmp_eq_u32_e32 vcc_lo, 0, v5
	v_cmp_gt_u32_e64 s13, 0x72, v5
	v_dual_cndmask_b32 v2, v14, v2 :: v_dual_sub_nc_u32 v7, 0x71, v5
	s_delay_alu instid0(VALU_DEP_1) | instskip(NEXT) | instid1(VALU_DEP_1)
	v_cndmask_b32_e64 v7, 0, v7, s13
	v_cndmask_b32_e64 v7, v7, 0x70, vcc_lo
	s_delay_alu instid0(VALU_DEP_1) | instskip(NEXT) | instid1(VALU_DEP_1)
	v_dual_add_nc_u32 v14, 21, v7 :: v_dual_add_nc_u32 v24, 20, v7
	v_lshlrev_b64_e64 v[14:15], v14, -1
	s_delay_alu instid0(VALU_DEP_2) | instskip(NEXT) | instid1(VALU_DEP_2)
	v_lshlrev_b64_e64 v[24:25], v24, 1
	v_bfi_b32 v14, v14, 0, v2
	v_lshrrev_b64 v[2:3], v7, v[2:3]
	s_delay_alu instid0(VALU_DEP_4) | instskip(NEXT) | instid1(VALU_DEP_1)
	v_bfi_b32 v15, v15, 0, 0
	v_cmp_eq_u64_e64 s13, v[14:15], v[24:25]
	s_delay_alu instid0(VALU_DEP_3)
	v_mov_b64_e32 v[14:15], v[2:3]
	s_and_saveexec_b32 s74, s13
; %bb.13313:                            ;   in Loop: Header=BB6_12937 Depth=3
	v_bfe_u32 v14, v2, 21, 1
	v_mov_b32_e32 v15, v21
	s_delay_alu instid0(VALU_DEP_1) | instskip(NEXT) | instid1(VALU_DEP_1)
	v_add_nc_u64_e32 v[14:15], v[2:3], v[14:15]
	v_add_nc_u64_e32 v[14:15], -1, v[14:15]
; %bb.13314:                            ;   in Loop: Header=BB6_12937 Depth=3
	s_or_b32 exec_lo, exec_lo, s74
	v_add_nc_u32_e32 v3, 0xffffff81, v5
	v_lshrrev_b32_e32 v5, 23, v2
	s_mov_b32 s13, exec_lo
	s_delay_alu instid0(VALU_DEP_2) | instskip(NEXT) | instid1(VALU_DEP_1)
	v_cndmask_b32_e64 v3, v3, 0xffffff82, vcc_lo
	v_add3_u32 v15, v7, v3, v5
	v_and_b32_e32 v3, 0x1fffff, v14
                                        ; implicit-def: $vgpr5
	s_delay_alu instid0(VALU_DEP_1) | instskip(SKIP_1) | instid1(VALU_DEP_2)
	v_dual_add_nc_u32 v7, 14, v15 :: v_dual_add_nc_u32 v2, v3, v2
	v_mov_b32_e32 v3, v21
	v_cmpx_ne_u32_e32 0, v7
	s_xor_b32 s13, exec_lo, s13
; %bb.13315:                            ;   in Loop: Header=BB6_12937 Depth=3
	s_delay_alu instid0(VALU_DEP_2) | instskip(SKIP_1) | instid1(VALU_DEP_1)
	v_cmp_lt_u64_e32 vcc_lo, 0xffffff, v[2:3]
	v_add_nc_u32_e32 v5, 15, v15
	v_cndmask_b32_e32 v5, v7, v5, vcc_lo
	v_cndmask_b32_e64 v7, 0, 1, vcc_lo
	s_delay_alu instid0(VALU_DEP_1)
	v_lshrrev_b64 v[2:3], v7, v[2:3]
; %bb.13316:                            ;   in Loop: Header=BB6_12937 Depth=3
	s_and_not1_saveexec_b32 s13, s13
; %bb.13317:                            ;   in Loop: Header=BB6_12937 Depth=3
	s_delay_alu instid0(VALU_DEP_1)
	v_bfe_u32 v5, v2, 23, 1
; %bb.13318:                            ;   in Loop: Header=BB6_12937 Depth=3
	s_or_b32 exec_lo, exec_lo, s13
	s_delay_alu instid0(VALU_DEP_2) | instskip(NEXT) | instid1(VALU_DEP_2)
	v_lshrrev_b64 v[2:3], 21, v[2:3]
	v_cmp_gt_i32_e32 vcc_lo, 32, v5
	v_cmp_ne_u32_e64 s13, 0, v5
                                        ; implicit-def: $vgpr14
	s_delay_alu instid0(VALU_DEP_3) | instskip(NEXT) | instid1(VALU_DEP_1)
	v_dual_cndmask_b32 v3, 0, v3 :: v_dual_cndmask_b32 v2, 3, v2
	v_cmp_ne_u64_e32 vcc_lo, 0, v[2:3]
	s_or_b32 s13, s13, vcc_lo
	s_delay_alu instid0(SALU_CYCLE_1) | instskip(NEXT) | instid1(SALU_CYCLE_1)
	s_and_saveexec_b32 s74, s13
	s_xor_b32 s13, exec_lo, s74
; %bb.13319:                            ;   in Loop: Header=BB6_12937 Depth=3
	v_min_i32_e32 v3, 31, v5
	s_delay_alu instid0(VALU_DEP_1) | instskip(NEXT) | instid1(VALU_DEP_1)
	v_lshl_or_b32 v1, v3, 2, v1
	v_and_or_b32 v14, v2, 3, v1
                                        ; implicit-def: $vgpr1
; %bb.13320:                            ;   in Loop: Header=BB6_12937 Depth=3
	s_and_not1_saveexec_b32 s13, s13
; %bb.13321:                            ;   in Loop: Header=BB6_12937 Depth=3
	v_mov_b32_e32 v14, v1
; %bb.13322:                            ;   in Loop: Header=BB6_12937 Depth=3
	s_or_b32 exec_lo, exec_lo, s13
.LBB6_13323:                            ;   in Loop: Header=BB6_12937 Depth=3
	s_delay_alu instid0(SALU_CYCLE_1)
	s_or_b32 exec_lo, exec_lo, s73
                                        ; implicit-def: $vgpr1
.LBB6_13324:                            ;   in Loop: Header=BB6_12937 Depth=3
	s_and_not1_saveexec_b32 s13, s72
; %bb.13325:                            ;   in Loop: Header=BB6_12937 Depth=3
	v_or_b32_e32 v14, 0x7b, v1
; %bb.13326:                            ;   in Loop: Header=BB6_12937 Depth=3
	s_or_b32 exec_lo, exec_lo, s13
                                        ; implicit-def: $vgpr5
                                        ; implicit-def: $vgpr2_vgpr3
.LBB6_13327:                            ;   in Loop: Header=BB6_12937 Depth=3
	s_and_not1_saveexec_b32 s13, s43
	s_cbranch_execz .LBB6_13333
; %bb.13328:                            ;   in Loop: Header=BB6_12937 Depth=3
	s_mov_b32 s43, exec_lo
                                        ; implicit-def: $vgpr14
	v_cmpx_ne_u64_e32 0, v[2:3]
	s_xor_b32 s43, exec_lo, s43
; %bb.13329:                            ;   in Loop: Header=BB6_12937 Depth=3
	v_lshrrev_b32_e32 v1, 24, v5
                                        ; implicit-def: $vgpr5
	s_delay_alu instid0(VALU_DEP_1)
	v_or_b32_e32 v14, 0x7f, v1
; %bb.13330:                            ;   in Loop: Header=BB6_12937 Depth=3
	s_and_not1_saveexec_b32 s43, s43
; %bb.13331:                            ;   in Loop: Header=BB6_12937 Depth=3
	v_cmp_lt_i32_e32 vcc_lo, -1, v5
	v_cndmask_b32_e64 v14, -4, 0x7c, vcc_lo
; %bb.13332:                            ;   in Loop: Header=BB6_12937 Depth=3
	s_or_b32 exec_lo, exec_lo, s43
.LBB6_13333:                            ;   in Loop: Header=BB6_12937 Depth=3
	s_delay_alu instid0(SALU_CYCLE_1)
	s_or_b32 exec_lo, exec_lo, s13
	v_dual_mov_b32 v1, 0 :: v_dual_mov_b32 v2, 0
	s_mov_b32 s43, exec_lo
	v_cmpx_ne_u16_e32 0, v68
	s_cbranch_execz .LBB6_13343
; %bb.13334:                            ;   in Loop: Header=BB6_12937 Depth=3
	v_bfrev_b32_e32 v2, 1
	s_mov_b32 s72, exec_lo
	v_cmpx_ne_u16_e32 0xff80, v68
	s_cbranch_execz .LBB6_13342
; %bb.13335:                            ;   in Loop: Header=BB6_12937 Depth=3
	v_and_b32_e32 v2, 0x7c, v68
	v_and_b32_e32 v3, 3, v68
	s_delay_alu instid0(VALU_DEP_2) | instskip(SKIP_1) | instid1(SALU_CYCLE_1)
	v_cmp_ne_u32_e32 vcc_lo, 0x7c, v2
                                        ; implicit-def: $vgpr2
	s_and_saveexec_b32 s13, vcc_lo
	s_xor_b32 s13, exec_lo, s13
	s_cbranch_execz .LBB6_13339
; %bb.13336:                            ;   in Loop: Header=BB6_12937 Depth=3
	v_and_b32_e32 v2, 0xff, v68
	s_mov_b32 s73, exec_lo
	s_delay_alu instid0(VALU_DEP_1) | instskip(NEXT) | instid1(VALU_DEP_1)
	v_bfe_u32 v2, v2, 2, 5
	v_cmpx_eq_u32_e32 0, v2
	s_cbranch_execz .LBB6_13338
; %bb.13337:                            ;   in Loop: Header=BB6_12937 Depth=3
	v_clz_i32_u32_e32 v2, v3
	s_delay_alu instid0(VALU_DEP_1) | instskip(SKIP_1) | instid1(VALU_DEP_2)
	v_min_u32_e32 v2, 32, v2
	v_mov_b32_e32 v69, v21
	v_subrev_nc_u32_e32 v3, 29, v2
	v_sub_nc_u32_e32 v2, 30, v2
	s_delay_alu instid0(VALU_DEP_2) | instskip(NEXT) | instid1(VALU_DEP_1)
	v_lshlrev_b64_e32 v[24:25], v3, v[68:69]
	v_and_b32_e32 v3, 3, v24
.LBB6_13338:                            ;   in Loop: Header=BB6_12937 Depth=3
	s_or_b32 exec_lo, exec_lo, s73
	v_bfe_i32 v5, v68, 0, 16
                                        ; implicit-def: $vgpr68
	s_delay_alu instid0(VALU_DEP_1) | instskip(NEXT) | instid1(VALU_DEP_1)
	v_and_b32_e32 v5, 0x80000000, v5
	v_lshl_add_u32 v2, v2, 23, v5
	s_delay_alu instid0(VALU_DEP_1) | instskip(NEXT) | instid1(VALU_DEP_1)
	v_lshl_or_b32 v2, v3, 21, v2
                                        ; implicit-def: $vgpr3
	v_add_nc_u32_e32 v2, 0x38000000, v2
.LBB6_13339:                            ;   in Loop: Header=BB6_12937 Depth=3
	s_and_not1_saveexec_b32 s73, s13
; %bb.13340:                            ;   in Loop: Header=BB6_12937 Depth=3
	v_cmp_lt_i16_e64 s13, -1, v68
	v_mov_b32_e32 v2, 0x7f800000
	v_cmp_eq_u32_e32 vcc_lo, 0, v3
	s_delay_alu instid0(VALU_DEP_2) | instskip(NEXT) | instid1(VALU_DEP_1)
	v_cndmask_b32_e64 v2, 0xff800000, v2, s13
	v_cndmask_b32_e32 v2, 0x7f800001, v2, vcc_lo
; %bb.13341:                            ;   in Loop: Header=BB6_12937 Depth=3
	s_or_b32 exec_lo, exec_lo, s73
.LBB6_13342:                            ;   in Loop: Header=BB6_12937 Depth=3
	s_delay_alu instid0(SALU_CYCLE_1)
	s_or_b32 exec_lo, exec_lo, s72
.LBB6_13343:                            ;   in Loop: Header=BB6_12937 Depth=3
	s_delay_alu instid0(SALU_CYCLE_1) | instskip(NEXT) | instid1(SALU_CYCLE_1)
	s_or_b32 exec_lo, exec_lo, s43
	s_mov_b32 s43, exec_lo
	v_cmpx_ne_u16_e32 0, v6
	s_cbranch_execz .LBB6_13353
; %bb.13344:                            ;   in Loop: Header=BB6_12937 Depth=3
	v_bfrev_b32_e32 v1, 1
	s_mov_b32 s72, exec_lo
	v_cmpx_ne_u16_e32 0xff80, v6
	s_cbranch_execz .LBB6_13352
; %bb.13345:                            ;   in Loop: Header=BB6_12937 Depth=3
	v_and_b32_e32 v1, 0x7c, v6
	v_and_b32_e32 v3, 3, v6
	s_delay_alu instid0(VALU_DEP_2) | instskip(SKIP_1) | instid1(SALU_CYCLE_1)
	v_cmp_ne_u32_e32 vcc_lo, 0x7c, v1
                                        ; implicit-def: $vgpr1
	s_and_saveexec_b32 s13, vcc_lo
	s_xor_b32 s13, exec_lo, s13
	s_cbranch_execz .LBB6_13349
; %bb.13346:                            ;   in Loop: Header=BB6_12937 Depth=3
	v_and_b32_e32 v1, 0xff, v6
	s_mov_b32 s73, exec_lo
	s_delay_alu instid0(VALU_DEP_1) | instskip(NEXT) | instid1(VALU_DEP_1)
	v_bfe_u32 v1, v1, 2, 5
	v_cmpx_eq_u32_e32 0, v1
	s_cbranch_execz .LBB6_13348
; %bb.13347:                            ;   in Loop: Header=BB6_12937 Depth=3
	v_clz_i32_u32_e32 v1, v3
	s_delay_alu instid0(VALU_DEP_1) | instskip(SKIP_1) | instid1(VALU_DEP_2)
	v_min_u32_e32 v1, 32, v1
	v_mov_b32_e32 v7, v21
	v_subrev_nc_u32_e32 v3, 29, v1
	v_sub_nc_u32_e32 v1, 30, v1
	s_delay_alu instid0(VALU_DEP_2) | instskip(NEXT) | instid1(VALU_DEP_1)
	v_lshlrev_b64_e32 v[24:25], v3, v[6:7]
	v_and_b32_e32 v3, 3, v24
.LBB6_13348:                            ;   in Loop: Header=BB6_12937 Depth=3
	s_or_b32 exec_lo, exec_lo, s73
	v_bfe_i32 v5, v6, 0, 16
                                        ; implicit-def: $vgpr6
	s_delay_alu instid0(VALU_DEP_1) | instskip(NEXT) | instid1(VALU_DEP_1)
	v_and_b32_e32 v5, 0x80000000, v5
	v_lshl_add_u32 v1, v1, 23, v5
	s_delay_alu instid0(VALU_DEP_1) | instskip(NEXT) | instid1(VALU_DEP_1)
	v_lshl_or_b32 v1, v3, 21, v1
                                        ; implicit-def: $vgpr3
	v_add_nc_u32_e32 v1, 0x38000000, v1
.LBB6_13349:                            ;   in Loop: Header=BB6_12937 Depth=3
	s_and_not1_saveexec_b32 s73, s13
; %bb.13350:                            ;   in Loop: Header=BB6_12937 Depth=3
	v_cmp_lt_i16_e64 s13, -1, v6
	v_mov_b32_e32 v1, 0x7f800000
	v_cmp_eq_u32_e32 vcc_lo, 0, v3
	s_delay_alu instid0(VALU_DEP_2) | instskip(NEXT) | instid1(VALU_DEP_1)
	v_cndmask_b32_e64 v1, 0xff800000, v1, s13
	v_cndmask_b32_e32 v1, 0x7f800001, v1, vcc_lo
; %bb.13351:                            ;   in Loop: Header=BB6_12937 Depth=3
	s_or_b32 exec_lo, exec_lo, s73
.LBB6_13352:                            ;   in Loop: Header=BB6_12937 Depth=3
	s_delay_alu instid0(SALU_CYCLE_1)
	s_or_b32 exec_lo, exec_lo, s72
.LBB6_13353:                            ;   in Loop: Header=BB6_12937 Depth=3
	s_delay_alu instid0(SALU_CYCLE_1) | instskip(NEXT) | instid1(VALU_DEP_1)
	s_or_b32 exec_lo, exec_lo, s43
	v_dual_mul_f32 v5, v2, v1 :: v_dual_mov_b32 v3, v21
                                        ; implicit-def: $vgpr15
	s_delay_alu instid0(VALU_DEP_1) | instskip(NEXT) | instid1(VALU_DEP_1)
	v_and_b32_e32 v2, 0x7f800000, v5
	v_cmp_ne_u64_e32 vcc_lo, 0x7f800000, v[2:3]
	v_and_b32_e32 v2, 0x7fffff, v5
	s_and_saveexec_b32 s13, vcc_lo
	s_delay_alu instid0(SALU_CYCLE_1)
	s_xor_b32 s43, exec_lo, s13
	s_cbranch_execz .LBB6_13371
; %bb.13354:                            ;   in Loop: Header=BB6_12937 Depth=3
	v_dual_mov_b32 v7, v21 :: v_dual_lshrrev_b32 v1, 24, v5
	v_and_b32_e32 v6, 0x7fffffff, v5
                                        ; implicit-def: $vgpr15
	s_mov_b32 s13, exec_lo
	s_delay_alu instid0(VALU_DEP_2) | instskip(NEXT) | instid1(VALU_DEP_2)
	v_and_b32_e32 v1, 0x80, v1
	v_cmpx_gt_u64_e32 0x47600001, v[6:7]
	s_xor_b32 s72, exec_lo, s13
	s_cbranch_execz .LBB6_13368
; %bb.13355:                            ;   in Loop: Header=BB6_12937 Depth=3
	v_mov_b32_e32 v15, 0
	s_mov_b32 s73, exec_lo
	v_cmpx_ne_u32_e32 0, v5
	s_cbranch_execz .LBB6_13367
; %bb.13356:                            ;   in Loop: Header=BB6_12937 Depth=3
	v_bfe_u32 v5, v5, 23, 8
	v_or_b32_e32 v7, 0x800000, v2
	s_delay_alu instid0(VALU_DEP_2) | instskip(SKIP_2) | instid1(VALU_DEP_2)
	v_cmp_gt_u32_e64 s13, 0x72, v5
	v_sub_nc_u32_e32 v6, 0x71, v5
	v_cmp_eq_u32_e32 vcc_lo, 0, v5
	v_cndmask_b32_e64 v6, 0, v6, s13
	s_delay_alu instid0(VALU_DEP_1) | instskip(NEXT) | instid1(VALU_DEP_1)
	v_cndmask_b32_e64 v15, v6, 0x70, vcc_lo
	v_dual_cndmask_b32 v2, v7, v2, vcc_lo :: v_dual_add_nc_u32 v6, 21, v15
	v_add_nc_u32_e32 v24, 20, v15
	s_delay_alu instid0(VALU_DEP_2) | instskip(NEXT) | instid1(VALU_DEP_2)
	v_lshlrev_b64_e64 v[6:7], v6, -1
	v_lshlrev_b64_e64 v[24:25], v24, 1
	s_delay_alu instid0(VALU_DEP_2) | instskip(SKIP_1) | instid1(VALU_DEP_4)
	v_bfi_b32 v6, v6, 0, v2
	v_lshrrev_b64 v[2:3], v15, v[2:3]
	v_bfi_b32 v7, v7, 0, 0
	s_delay_alu instid0(VALU_DEP_1) | instskip(NEXT) | instid1(VALU_DEP_3)
	v_cmp_eq_u64_e64 s13, v[6:7], v[24:25]
	v_mov_b64_e32 v[6:7], v[2:3]
	s_and_saveexec_b32 s74, s13
; %bb.13357:                            ;   in Loop: Header=BB6_12937 Depth=3
	v_bfe_u32 v6, v2, 21, 1
	v_mov_b32_e32 v7, v21
	s_delay_alu instid0(VALU_DEP_1) | instskip(NEXT) | instid1(VALU_DEP_1)
	v_add_nc_u64_e32 v[6:7], v[2:3], v[6:7]
	v_add_nc_u64_e32 v[6:7], -1, v[6:7]
; %bb.13358:                            ;   in Loop: Header=BB6_12937 Depth=3
	s_or_b32 exec_lo, exec_lo, s74
	v_add_nc_u32_e32 v3, 0xffffff81, v5
	v_lshrrev_b32_e32 v5, 23, v2
	s_mov_b32 s13, exec_lo
	s_delay_alu instid0(VALU_DEP_2) | instskip(NEXT) | instid1(VALU_DEP_1)
	v_cndmask_b32_e64 v3, v3, 0xffffff82, vcc_lo
	v_add3_u32 v7, v15, v3, v5
	v_and_b32_e32 v3, 0x1fffff, v6
                                        ; implicit-def: $vgpr5
	s_delay_alu instid0(VALU_DEP_1) | instskip(SKIP_1) | instid1(VALU_DEP_2)
	v_dual_add_nc_u32 v6, 14, v7 :: v_dual_add_nc_u32 v2, v3, v2
	v_mov_b32_e32 v3, v21
	v_cmpx_ne_u32_e32 0, v6
	s_xor_b32 s13, exec_lo, s13
; %bb.13359:                            ;   in Loop: Header=BB6_12937 Depth=3
	s_delay_alu instid0(VALU_DEP_2) | instskip(SKIP_1) | instid1(VALU_DEP_1)
	v_cmp_lt_u64_e32 vcc_lo, 0xffffff, v[2:3]
	v_add_nc_u32_e32 v5, 15, v7
	v_cndmask_b32_e32 v5, v6, v5, vcc_lo
	v_cndmask_b32_e64 v6, 0, 1, vcc_lo
	s_delay_alu instid0(VALU_DEP_1)
	v_lshrrev_b64 v[2:3], v6, v[2:3]
; %bb.13360:                            ;   in Loop: Header=BB6_12937 Depth=3
	s_and_not1_saveexec_b32 s13, s13
; %bb.13361:                            ;   in Loop: Header=BB6_12937 Depth=3
	s_delay_alu instid0(VALU_DEP_1)
	v_bfe_u32 v5, v2, 23, 1
; %bb.13362:                            ;   in Loop: Header=BB6_12937 Depth=3
	s_or_b32 exec_lo, exec_lo, s13
	s_delay_alu instid0(VALU_DEP_2) | instskip(NEXT) | instid1(VALU_DEP_2)
	v_lshrrev_b64 v[2:3], 21, v[2:3]
	v_cmp_gt_i32_e32 vcc_lo, 32, v5
	v_cmp_ne_u32_e64 s13, 0, v5
                                        ; implicit-def: $vgpr15
	s_delay_alu instid0(VALU_DEP_3) | instskip(NEXT) | instid1(VALU_DEP_1)
	v_dual_cndmask_b32 v3, 0, v3 :: v_dual_cndmask_b32 v2, 3, v2
	v_cmp_ne_u64_e32 vcc_lo, 0, v[2:3]
	s_or_b32 s13, s13, vcc_lo
	s_delay_alu instid0(SALU_CYCLE_1) | instskip(NEXT) | instid1(SALU_CYCLE_1)
	s_and_saveexec_b32 s74, s13
	s_xor_b32 s13, exec_lo, s74
; %bb.13363:                            ;   in Loop: Header=BB6_12937 Depth=3
	v_min_i32_e32 v3, 31, v5
	s_delay_alu instid0(VALU_DEP_1) | instskip(NEXT) | instid1(VALU_DEP_1)
	v_lshl_or_b32 v1, v3, 2, v1
	v_and_or_b32 v15, v2, 3, v1
                                        ; implicit-def: $vgpr1
; %bb.13364:                            ;   in Loop: Header=BB6_12937 Depth=3
	s_and_not1_saveexec_b32 s13, s13
; %bb.13365:                            ;   in Loop: Header=BB6_12937 Depth=3
	v_mov_b32_e32 v15, v1
; %bb.13366:                            ;   in Loop: Header=BB6_12937 Depth=3
	s_or_b32 exec_lo, exec_lo, s13
.LBB6_13367:                            ;   in Loop: Header=BB6_12937 Depth=3
	s_delay_alu instid0(SALU_CYCLE_1)
	s_or_b32 exec_lo, exec_lo, s73
                                        ; implicit-def: $vgpr1
.LBB6_13368:                            ;   in Loop: Header=BB6_12937 Depth=3
	s_and_not1_saveexec_b32 s13, s72
; %bb.13369:                            ;   in Loop: Header=BB6_12937 Depth=3
	v_or_b32_e32 v15, 0x7b, v1
; %bb.13370:                            ;   in Loop: Header=BB6_12937 Depth=3
	s_or_b32 exec_lo, exec_lo, s13
                                        ; implicit-def: $vgpr5
                                        ; implicit-def: $vgpr2_vgpr3
.LBB6_13371:                            ;   in Loop: Header=BB6_12937 Depth=3
	s_and_not1_saveexec_b32 s13, s43
	s_cbranch_execz .LBB6_13377
; %bb.13372:                            ;   in Loop: Header=BB6_12937 Depth=3
	s_mov_b32 s43, exec_lo
                                        ; implicit-def: $vgpr15
	v_cmpx_ne_u64_e32 0, v[2:3]
	s_xor_b32 s43, exec_lo, s43
; %bb.13373:                            ;   in Loop: Header=BB6_12937 Depth=3
	v_lshrrev_b32_e32 v1, 24, v5
                                        ; implicit-def: $vgpr5
	s_delay_alu instid0(VALU_DEP_1)
	v_or_b32_e32 v15, 0x7f, v1
; %bb.13374:                            ;   in Loop: Header=BB6_12937 Depth=3
	s_and_not1_saveexec_b32 s43, s43
; %bb.13375:                            ;   in Loop: Header=BB6_12937 Depth=3
	v_cmp_lt_i32_e32 vcc_lo, -1, v5
	v_cndmask_b32_e64 v15, -4, 0x7c, vcc_lo
; %bb.13376:                            ;   in Loop: Header=BB6_12937 Depth=3
	s_or_b32 exec_lo, exec_lo, s43
.LBB6_13377:                            ;   in Loop: Header=BB6_12937 Depth=3
	s_delay_alu instid0(SALU_CYCLE_1)
	s_or_b32 exec_lo, exec_lo, s13
	v_dual_mov_b32 v1, 0 :: v_dual_mov_b32 v2, 0
	s_mov_b32 s43, exec_lo
	v_cmpx_ne_u16_e32 0, v70
	s_cbranch_execz .LBB6_13387
; %bb.13378:                            ;   in Loop: Header=BB6_12937 Depth=3
	v_bfrev_b32_e32 v2, 1
	s_mov_b32 s72, exec_lo
	v_cmpx_ne_u16_e32 0xff80, v70
	s_cbranch_execz .LBB6_13386
; %bb.13379:                            ;   in Loop: Header=BB6_12937 Depth=3
	v_and_b32_e32 v2, 0x7c, v70
	v_and_b32_e32 v3, 3, v70
	s_delay_alu instid0(VALU_DEP_2) | instskip(SKIP_1) | instid1(SALU_CYCLE_1)
	v_cmp_ne_u32_e32 vcc_lo, 0x7c, v2
                                        ; implicit-def: $vgpr2
	s_and_saveexec_b32 s13, vcc_lo
	s_xor_b32 s13, exec_lo, s13
	s_cbranch_execz .LBB6_13383
; %bb.13380:                            ;   in Loop: Header=BB6_12937 Depth=3
	v_and_b32_e32 v2, 0xff, v70
	s_mov_b32 s73, exec_lo
	s_delay_alu instid0(VALU_DEP_1) | instskip(NEXT) | instid1(VALU_DEP_1)
	v_bfe_u32 v2, v2, 2, 5
	v_cmpx_eq_u32_e32 0, v2
	s_cbranch_execz .LBB6_13382
; %bb.13381:                            ;   in Loop: Header=BB6_12937 Depth=3
	v_clz_i32_u32_e32 v2, v3
	s_delay_alu instid0(VALU_DEP_1) | instskip(SKIP_1) | instid1(VALU_DEP_2)
	v_min_u32_e32 v2, 32, v2
	v_mov_b32_e32 v71, v21
	v_subrev_nc_u32_e32 v3, 29, v2
	v_sub_nc_u32_e32 v2, 30, v2
	s_delay_alu instid0(VALU_DEP_2) | instskip(NEXT) | instid1(VALU_DEP_1)
	v_lshlrev_b64_e32 v[6:7], v3, v[70:71]
	v_and_b32_e32 v3, 3, v6
.LBB6_13382:                            ;   in Loop: Header=BB6_12937 Depth=3
	s_or_b32 exec_lo, exec_lo, s73
	v_bfe_i32 v5, v70, 0, 16
                                        ; implicit-def: $vgpr70
	s_delay_alu instid0(VALU_DEP_1) | instskip(NEXT) | instid1(VALU_DEP_1)
	v_and_b32_e32 v5, 0x80000000, v5
	v_lshl_add_u32 v2, v2, 23, v5
	s_delay_alu instid0(VALU_DEP_1) | instskip(NEXT) | instid1(VALU_DEP_1)
	v_lshl_or_b32 v2, v3, 21, v2
                                        ; implicit-def: $vgpr3
	v_add_nc_u32_e32 v2, 0x38000000, v2
.LBB6_13383:                            ;   in Loop: Header=BB6_12937 Depth=3
	s_and_not1_saveexec_b32 s73, s13
; %bb.13384:                            ;   in Loop: Header=BB6_12937 Depth=3
	v_cmp_lt_i16_e64 s13, -1, v70
	v_mov_b32_e32 v2, 0x7f800000
	v_cmp_eq_u32_e32 vcc_lo, 0, v3
	s_delay_alu instid0(VALU_DEP_2) | instskip(NEXT) | instid1(VALU_DEP_1)
	v_cndmask_b32_e64 v2, 0xff800000, v2, s13
	v_cndmask_b32_e32 v2, 0x7f800001, v2, vcc_lo
; %bb.13385:                            ;   in Loop: Header=BB6_12937 Depth=3
	s_or_b32 exec_lo, exec_lo, s73
.LBB6_13386:                            ;   in Loop: Header=BB6_12937 Depth=3
	s_delay_alu instid0(SALU_CYCLE_1)
	s_or_b32 exec_lo, exec_lo, s72
.LBB6_13387:                            ;   in Loop: Header=BB6_12937 Depth=3
	s_delay_alu instid0(SALU_CYCLE_1) | instskip(NEXT) | instid1(SALU_CYCLE_1)
	s_or_b32 exec_lo, exec_lo, s43
	s_mov_b32 s43, exec_lo
	v_cmpx_ne_u16_e32 0, v116
	s_cbranch_execz .LBB6_13397
; %bb.13388:                            ;   in Loop: Header=BB6_12937 Depth=3
	v_bfrev_b32_e32 v1, 1
	s_mov_b32 s72, exec_lo
	v_cmpx_ne_u16_e32 0xff80, v116
	s_cbranch_execz .LBB6_13396
; %bb.13389:                            ;   in Loop: Header=BB6_12937 Depth=3
	v_and_b32_e32 v1, 0x7c, v116
	v_and_b32_e32 v3, 3, v116
	s_delay_alu instid0(VALU_DEP_2) | instskip(SKIP_1) | instid1(SALU_CYCLE_1)
	v_cmp_ne_u32_e32 vcc_lo, 0x7c, v1
                                        ; implicit-def: $vgpr1
	s_and_saveexec_b32 s13, vcc_lo
	s_xor_b32 s13, exec_lo, s13
	s_cbranch_execz .LBB6_13393
; %bb.13390:                            ;   in Loop: Header=BB6_12937 Depth=3
	v_and_b32_e32 v1, 0xff, v116
	s_mov_b32 s73, exec_lo
	s_delay_alu instid0(VALU_DEP_1) | instskip(NEXT) | instid1(VALU_DEP_1)
	v_bfe_u32 v1, v1, 2, 5
	v_cmpx_eq_u32_e32 0, v1
	s_cbranch_execz .LBB6_13392
; %bb.13391:                            ;   in Loop: Header=BB6_12937 Depth=3
	v_clz_i32_u32_e32 v1, v3
	s_delay_alu instid0(VALU_DEP_1) | instskip(SKIP_1) | instid1(VALU_DEP_2)
	v_min_u32_e32 v1, 32, v1
	v_mov_b32_e32 v117, v21
	v_subrev_nc_u32_e32 v3, 29, v1
	v_sub_nc_u32_e32 v1, 30, v1
	s_delay_alu instid0(VALU_DEP_2) | instskip(NEXT) | instid1(VALU_DEP_1)
	v_lshlrev_b64_e32 v[6:7], v3, v[116:117]
	v_and_b32_e32 v3, 3, v6
.LBB6_13392:                            ;   in Loop: Header=BB6_12937 Depth=3
	s_or_b32 exec_lo, exec_lo, s73
	v_bfe_i32 v5, v116, 0, 16
                                        ; implicit-def: $vgpr116
	s_delay_alu instid0(VALU_DEP_1) | instskip(NEXT) | instid1(VALU_DEP_1)
	v_and_b32_e32 v5, 0x80000000, v5
	v_lshl_add_u32 v1, v1, 23, v5
	s_delay_alu instid0(VALU_DEP_1) | instskip(NEXT) | instid1(VALU_DEP_1)
	v_lshl_or_b32 v1, v3, 21, v1
                                        ; implicit-def: $vgpr3
	v_add_nc_u32_e32 v1, 0x38000000, v1
.LBB6_13393:                            ;   in Loop: Header=BB6_12937 Depth=3
	s_and_not1_saveexec_b32 s73, s13
; %bb.13394:                            ;   in Loop: Header=BB6_12937 Depth=3
	v_cmp_lt_i16_e64 s13, -1, v116
	v_mov_b32_e32 v1, 0x7f800000
	v_cmp_eq_u32_e32 vcc_lo, 0, v3
	s_delay_alu instid0(VALU_DEP_2) | instskip(NEXT) | instid1(VALU_DEP_1)
	v_cndmask_b32_e64 v1, 0xff800000, v1, s13
	v_cndmask_b32_e32 v1, 0x7f800001, v1, vcc_lo
; %bb.13395:                            ;   in Loop: Header=BB6_12937 Depth=3
	s_or_b32 exec_lo, exec_lo, s73
.LBB6_13396:                            ;   in Loop: Header=BB6_12937 Depth=3
	s_delay_alu instid0(SALU_CYCLE_1)
	s_or_b32 exec_lo, exec_lo, s72
.LBB6_13397:                            ;   in Loop: Header=BB6_12937 Depth=3
	s_delay_alu instid0(SALU_CYCLE_1) | instskip(NEXT) | instid1(VALU_DEP_1)
	s_or_b32 exec_lo, exec_lo, s43
	v_dual_mul_f32 v5, v2, v1 :: v_dual_mov_b32 v3, v21
                                        ; implicit-def: $vgpr68
	s_delay_alu instid0(VALU_DEP_1) | instskip(NEXT) | instid1(VALU_DEP_1)
	v_and_b32_e32 v2, 0x7f800000, v5
	v_cmp_ne_u64_e32 vcc_lo, 0x7f800000, v[2:3]
	v_and_b32_e32 v2, 0x7fffff, v5
	s_and_saveexec_b32 s13, vcc_lo
	s_delay_alu instid0(SALU_CYCLE_1)
	s_xor_b32 s43, exec_lo, s13
	s_cbranch_execz .LBB6_13415
; %bb.13398:                            ;   in Loop: Header=BB6_12937 Depth=3
	v_dual_mov_b32 v7, v21 :: v_dual_lshrrev_b32 v1, 24, v5
	v_and_b32_e32 v6, 0x7fffffff, v5
                                        ; implicit-def: $vgpr68
	s_mov_b32 s13, exec_lo
	s_delay_alu instid0(VALU_DEP_2) | instskip(NEXT) | instid1(VALU_DEP_2)
	v_and_b32_e32 v1, 0x80, v1
	v_cmpx_gt_u64_e32 0x47600001, v[6:7]
	s_xor_b32 s72, exec_lo, s13
	s_cbranch_execz .LBB6_13412
; %bb.13399:                            ;   in Loop: Header=BB6_12937 Depth=3
	v_mov_b32_e32 v68, 0
	s_mov_b32 s73, exec_lo
	v_cmpx_ne_u32_e32 0, v5
	s_cbranch_execz .LBB6_13411
; %bb.13400:                            ;   in Loop: Header=BB6_12937 Depth=3
	v_bfe_u32 v5, v5, 23, 8
	v_or_b32_e32 v7, 0x800000, v2
	s_delay_alu instid0(VALU_DEP_2) | instskip(SKIP_2) | instid1(VALU_DEP_2)
	v_cmp_gt_u32_e64 s13, 0x72, v5
	v_sub_nc_u32_e32 v6, 0x71, v5
	v_cmp_eq_u32_e32 vcc_lo, 0, v5
	v_cndmask_b32_e64 v6, 0, v6, s13
	s_delay_alu instid0(VALU_DEP_1) | instskip(NEXT) | instid1(VALU_DEP_1)
	v_cndmask_b32_e64 v25, v6, 0x70, vcc_lo
	v_dual_cndmask_b32 v2, v7, v2, vcc_lo :: v_dual_add_nc_u32 v6, 21, v25
	v_add_nc_u32_e32 v24, 20, v25
	s_delay_alu instid0(VALU_DEP_2) | instskip(NEXT) | instid1(VALU_DEP_2)
	v_lshlrev_b64_e64 v[6:7], v6, -1
	v_lshlrev_b64_e64 v[68:69], v24, 1
	s_delay_alu instid0(VALU_DEP_2) | instskip(SKIP_1) | instid1(VALU_DEP_4)
	v_bfi_b32 v6, v6, 0, v2
	v_lshrrev_b64 v[2:3], v25, v[2:3]
	v_bfi_b32 v7, v7, 0, 0
	s_delay_alu instid0(VALU_DEP_1) | instskip(NEXT) | instid1(VALU_DEP_3)
	v_cmp_eq_u64_e64 s13, v[6:7], v[68:69]
	v_mov_b64_e32 v[6:7], v[2:3]
	s_and_saveexec_b32 s74, s13
; %bb.13401:                            ;   in Loop: Header=BB6_12937 Depth=3
	v_bfe_u32 v6, v2, 21, 1
	v_mov_b32_e32 v7, v21
	s_delay_alu instid0(VALU_DEP_1) | instskip(NEXT) | instid1(VALU_DEP_1)
	v_add_nc_u64_e32 v[6:7], v[2:3], v[6:7]
	v_add_nc_u64_e32 v[6:7], -1, v[6:7]
; %bb.13402:                            ;   in Loop: Header=BB6_12937 Depth=3
	s_or_b32 exec_lo, exec_lo, s74
	v_add_nc_u32_e32 v3, 0xffffff81, v5
	v_lshrrev_b32_e32 v5, 23, v2
	s_mov_b32 s13, exec_lo
	s_delay_alu instid0(VALU_DEP_2) | instskip(NEXT) | instid1(VALU_DEP_1)
	v_cndmask_b32_e64 v3, v3, 0xffffff82, vcc_lo
	v_add3_u32 v7, v25, v3, v5
	v_and_b32_e32 v3, 0x1fffff, v6
                                        ; implicit-def: $vgpr5
	s_delay_alu instid0(VALU_DEP_1) | instskip(SKIP_1) | instid1(VALU_DEP_2)
	v_dual_add_nc_u32 v6, 14, v7 :: v_dual_add_nc_u32 v2, v3, v2
	v_mov_b32_e32 v3, v21
	v_cmpx_ne_u32_e32 0, v6
	s_xor_b32 s13, exec_lo, s13
; %bb.13403:                            ;   in Loop: Header=BB6_12937 Depth=3
	s_delay_alu instid0(VALU_DEP_2) | instskip(SKIP_1) | instid1(VALU_DEP_1)
	v_cmp_lt_u64_e32 vcc_lo, 0xffffff, v[2:3]
	v_add_nc_u32_e32 v5, 15, v7
	v_cndmask_b32_e32 v5, v6, v5, vcc_lo
	v_cndmask_b32_e64 v6, 0, 1, vcc_lo
	s_delay_alu instid0(VALU_DEP_1)
	v_lshrrev_b64 v[2:3], v6, v[2:3]
; %bb.13404:                            ;   in Loop: Header=BB6_12937 Depth=3
	s_and_not1_saveexec_b32 s13, s13
; %bb.13405:                            ;   in Loop: Header=BB6_12937 Depth=3
	s_delay_alu instid0(VALU_DEP_1)
	v_bfe_u32 v5, v2, 23, 1
; %bb.13406:                            ;   in Loop: Header=BB6_12937 Depth=3
	s_or_b32 exec_lo, exec_lo, s13
	s_delay_alu instid0(VALU_DEP_2) | instskip(NEXT) | instid1(VALU_DEP_2)
	v_lshrrev_b64 v[2:3], 21, v[2:3]
	v_cmp_gt_i32_e32 vcc_lo, 32, v5
	v_cmp_ne_u32_e64 s13, 0, v5
                                        ; implicit-def: $vgpr68
	s_delay_alu instid0(VALU_DEP_3) | instskip(NEXT) | instid1(VALU_DEP_1)
	v_dual_cndmask_b32 v3, 0, v3 :: v_dual_cndmask_b32 v2, 3, v2
	v_cmp_ne_u64_e32 vcc_lo, 0, v[2:3]
	s_or_b32 s13, s13, vcc_lo
	s_delay_alu instid0(SALU_CYCLE_1) | instskip(NEXT) | instid1(SALU_CYCLE_1)
	s_and_saveexec_b32 s74, s13
	s_xor_b32 s13, exec_lo, s74
; %bb.13407:                            ;   in Loop: Header=BB6_12937 Depth=3
	v_min_i32_e32 v3, 31, v5
	s_delay_alu instid0(VALU_DEP_1) | instskip(NEXT) | instid1(VALU_DEP_1)
	v_lshl_or_b32 v1, v3, 2, v1
	v_and_or_b32 v68, v2, 3, v1
                                        ; implicit-def: $vgpr1
; %bb.13408:                            ;   in Loop: Header=BB6_12937 Depth=3
	s_and_not1_saveexec_b32 s13, s13
; %bb.13409:                            ;   in Loop: Header=BB6_12937 Depth=3
	v_mov_b32_e32 v68, v1
; %bb.13410:                            ;   in Loop: Header=BB6_12937 Depth=3
	s_or_b32 exec_lo, exec_lo, s13
.LBB6_13411:                            ;   in Loop: Header=BB6_12937 Depth=3
	s_delay_alu instid0(SALU_CYCLE_1)
	s_or_b32 exec_lo, exec_lo, s73
                                        ; implicit-def: $vgpr1
.LBB6_13412:                            ;   in Loop: Header=BB6_12937 Depth=3
	s_and_not1_saveexec_b32 s13, s72
; %bb.13413:                            ;   in Loop: Header=BB6_12937 Depth=3
	v_or_b32_e32 v68, 0x7b, v1
; %bb.13414:                            ;   in Loop: Header=BB6_12937 Depth=3
	s_or_b32 exec_lo, exec_lo, s13
                                        ; implicit-def: $vgpr5
                                        ; implicit-def: $vgpr2_vgpr3
.LBB6_13415:                            ;   in Loop: Header=BB6_12937 Depth=3
	s_and_not1_saveexec_b32 s13, s43
	s_cbranch_execz .LBB6_13421
; %bb.13416:                            ;   in Loop: Header=BB6_12937 Depth=3
	s_mov_b32 s43, exec_lo
                                        ; implicit-def: $vgpr68
	v_cmpx_ne_u64_e32 0, v[2:3]
	s_xor_b32 s43, exec_lo, s43
; %bb.13417:                            ;   in Loop: Header=BB6_12937 Depth=3
	v_lshrrev_b32_e32 v1, 24, v5
                                        ; implicit-def: $vgpr5
	s_delay_alu instid0(VALU_DEP_1)
	v_or_b32_e32 v68, 0x7f, v1
; %bb.13418:                            ;   in Loop: Header=BB6_12937 Depth=3
	s_and_not1_saveexec_b32 s43, s43
; %bb.13419:                            ;   in Loop: Header=BB6_12937 Depth=3
	v_cmp_lt_i32_e32 vcc_lo, -1, v5
	v_cndmask_b32_e64 v68, -4, 0x7c, vcc_lo
; %bb.13420:                            ;   in Loop: Header=BB6_12937 Depth=3
	s_or_b32 exec_lo, exec_lo, s43
.LBB6_13421:                            ;   in Loop: Header=BB6_12937 Depth=3
	s_delay_alu instid0(SALU_CYCLE_1)
	s_or_b32 exec_lo, exec_lo, s13
	v_dual_mov_b32 v1, 0 :: v_dual_mov_b32 v2, 0
	s_mov_b32 s43, exec_lo
	v_cmpx_ne_u16_e32 0, v124
	s_cbranch_execz .LBB6_13431
; %bb.13422:                            ;   in Loop: Header=BB6_12937 Depth=3
	v_bfrev_b32_e32 v2, 1
	s_mov_b32 s72, exec_lo
	v_cmpx_ne_u16_e32 0xff80, v124
	s_cbranch_execz .LBB6_13430
; %bb.13423:                            ;   in Loop: Header=BB6_12937 Depth=3
	v_and_b32_e32 v2, 0x7c, v124
	v_and_b32_e32 v3, 3, v124
	s_delay_alu instid0(VALU_DEP_2) | instskip(SKIP_1) | instid1(SALU_CYCLE_1)
	v_cmp_ne_u32_e32 vcc_lo, 0x7c, v2
                                        ; implicit-def: $vgpr2
	s_and_saveexec_b32 s13, vcc_lo
	s_xor_b32 s13, exec_lo, s13
	s_cbranch_execz .LBB6_13427
; %bb.13424:                            ;   in Loop: Header=BB6_12937 Depth=3
	v_and_b32_e32 v2, 0xff, v124
	s_mov_b32 s73, exec_lo
	s_delay_alu instid0(VALU_DEP_1) | instskip(NEXT) | instid1(VALU_DEP_1)
	v_bfe_u32 v2, v2, 2, 5
	v_cmpx_eq_u32_e32 0, v2
	s_cbranch_execz .LBB6_13426
; %bb.13425:                            ;   in Loop: Header=BB6_12937 Depth=3
	v_clz_i32_u32_e32 v2, v3
	s_delay_alu instid0(VALU_DEP_1) | instskip(SKIP_1) | instid1(VALU_DEP_2)
	v_min_u32_e32 v2, 32, v2
	v_mov_b32_e32 v125, v21
	v_subrev_nc_u32_e32 v3, 29, v2
	v_sub_nc_u32_e32 v2, 30, v2
	s_delay_alu instid0(VALU_DEP_2) | instskip(NEXT) | instid1(VALU_DEP_1)
	v_lshlrev_b64_e32 v[6:7], v3, v[124:125]
	v_and_b32_e32 v3, 3, v6
.LBB6_13426:                            ;   in Loop: Header=BB6_12937 Depth=3
	s_or_b32 exec_lo, exec_lo, s73
	v_bfe_i32 v5, v124, 0, 16
                                        ; implicit-def: $vgpr124
	s_delay_alu instid0(VALU_DEP_1) | instskip(NEXT) | instid1(VALU_DEP_1)
	v_and_b32_e32 v5, 0x80000000, v5
	v_lshl_add_u32 v2, v2, 23, v5
	s_delay_alu instid0(VALU_DEP_1) | instskip(NEXT) | instid1(VALU_DEP_1)
	v_lshl_or_b32 v2, v3, 21, v2
                                        ; implicit-def: $vgpr3
	v_add_nc_u32_e32 v2, 0x38000000, v2
.LBB6_13427:                            ;   in Loop: Header=BB6_12937 Depth=3
	s_and_not1_saveexec_b32 s73, s13
; %bb.13428:                            ;   in Loop: Header=BB6_12937 Depth=3
	v_cmp_lt_i16_e64 s13, -1, v124
	v_mov_b32_e32 v2, 0x7f800000
	v_cmp_eq_u32_e32 vcc_lo, 0, v3
	s_delay_alu instid0(VALU_DEP_2) | instskip(NEXT) | instid1(VALU_DEP_1)
	v_cndmask_b32_e64 v2, 0xff800000, v2, s13
	v_cndmask_b32_e32 v2, 0x7f800001, v2, vcc_lo
; %bb.13429:                            ;   in Loop: Header=BB6_12937 Depth=3
	s_or_b32 exec_lo, exec_lo, s73
.LBB6_13430:                            ;   in Loop: Header=BB6_12937 Depth=3
	s_delay_alu instid0(SALU_CYCLE_1)
	s_or_b32 exec_lo, exec_lo, s72
.LBB6_13431:                            ;   in Loop: Header=BB6_12937 Depth=3
	s_delay_alu instid0(SALU_CYCLE_1) | instskip(NEXT) | instid1(SALU_CYCLE_1)
	s_or_b32 exec_lo, exec_lo, s43
	s_mov_b32 s43, exec_lo
	v_cmpx_ne_u16_e32 0, v40
	s_cbranch_execz .LBB6_13441
; %bb.13432:                            ;   in Loop: Header=BB6_12937 Depth=3
	v_bfrev_b32_e32 v1, 1
	s_mov_b32 s72, exec_lo
	v_cmpx_ne_u16_e32 0xff80, v40
	s_cbranch_execz .LBB6_13440
; %bb.13433:                            ;   in Loop: Header=BB6_12937 Depth=3
	v_and_b32_e32 v1, 0x7c, v40
	v_and_b32_e32 v3, 3, v40
	s_delay_alu instid0(VALU_DEP_2) | instskip(SKIP_1) | instid1(SALU_CYCLE_1)
	v_cmp_ne_u32_e32 vcc_lo, 0x7c, v1
                                        ; implicit-def: $vgpr1
	s_and_saveexec_b32 s13, vcc_lo
	s_xor_b32 s13, exec_lo, s13
	s_cbranch_execz .LBB6_13437
; %bb.13434:                            ;   in Loop: Header=BB6_12937 Depth=3
	v_and_b32_e32 v1, 0xff, v40
	s_mov_b32 s73, exec_lo
	s_delay_alu instid0(VALU_DEP_1) | instskip(NEXT) | instid1(VALU_DEP_1)
	v_bfe_u32 v1, v1, 2, 5
	v_cmpx_eq_u32_e32 0, v1
	s_cbranch_execz .LBB6_13436
; %bb.13435:                            ;   in Loop: Header=BB6_12937 Depth=3
	v_clz_i32_u32_e32 v1, v3
	s_delay_alu instid0(VALU_DEP_1) | instskip(SKIP_1) | instid1(VALU_DEP_2)
	v_min_u32_e32 v1, 32, v1
	v_mov_b32_e32 v41, v21
	v_subrev_nc_u32_e32 v3, 29, v1
	v_sub_nc_u32_e32 v1, 30, v1
	s_delay_alu instid0(VALU_DEP_2) | instskip(NEXT) | instid1(VALU_DEP_1)
	v_lshlrev_b64_e32 v[6:7], v3, v[40:41]
	v_and_b32_e32 v3, 3, v6
.LBB6_13436:                            ;   in Loop: Header=BB6_12937 Depth=3
	s_or_b32 exec_lo, exec_lo, s73
	v_bfe_i32 v5, v40, 0, 16
                                        ; implicit-def: $vgpr40
	s_delay_alu instid0(VALU_DEP_1) | instskip(NEXT) | instid1(VALU_DEP_1)
	v_and_b32_e32 v5, 0x80000000, v5
	v_lshl_add_u32 v1, v1, 23, v5
	s_delay_alu instid0(VALU_DEP_1) | instskip(NEXT) | instid1(VALU_DEP_1)
	v_lshl_or_b32 v1, v3, 21, v1
                                        ; implicit-def: $vgpr3
	v_add_nc_u32_e32 v1, 0x38000000, v1
.LBB6_13437:                            ;   in Loop: Header=BB6_12937 Depth=3
	s_and_not1_saveexec_b32 s73, s13
; %bb.13438:                            ;   in Loop: Header=BB6_12937 Depth=3
	v_cmp_lt_i16_e64 s13, -1, v40
	v_mov_b32_e32 v1, 0x7f800000
	v_cmp_eq_u32_e32 vcc_lo, 0, v3
	s_delay_alu instid0(VALU_DEP_2) | instskip(NEXT) | instid1(VALU_DEP_1)
	v_cndmask_b32_e64 v1, 0xff800000, v1, s13
	v_cndmask_b32_e32 v1, 0x7f800001, v1, vcc_lo
; %bb.13439:                            ;   in Loop: Header=BB6_12937 Depth=3
	s_or_b32 exec_lo, exec_lo, s73
.LBB6_13440:                            ;   in Loop: Header=BB6_12937 Depth=3
	s_delay_alu instid0(SALU_CYCLE_1)
	s_or_b32 exec_lo, exec_lo, s72
.LBB6_13441:                            ;   in Loop: Header=BB6_12937 Depth=3
	s_delay_alu instid0(SALU_CYCLE_1) | instskip(NEXT) | instid1(VALU_DEP_1)
	s_or_b32 exec_lo, exec_lo, s43
	v_dual_mul_f32 v5, v2, v1 :: v_dual_mov_b32 v3, v21
                                        ; implicit-def: $vgpr6
	s_delay_alu instid0(VALU_DEP_1) | instskip(NEXT) | instid1(VALU_DEP_1)
	v_and_b32_e32 v2, 0x7f800000, v5
	v_cmp_ne_u64_e32 vcc_lo, 0x7f800000, v[2:3]
	v_and_b32_e32 v2, 0x7fffff, v5
	s_and_saveexec_b32 s13, vcc_lo
	s_delay_alu instid0(SALU_CYCLE_1)
	s_xor_b32 s43, exec_lo, s13
	s_cbranch_execz .LBB6_13459
; %bb.13442:                            ;   in Loop: Header=BB6_12937 Depth=3
	v_and_b32_e32 v6, 0x7fffffff, v5
	v_dual_mov_b32 v7, v21 :: v_dual_lshrrev_b32 v1, 24, v5
	s_delay_alu instid0(VALU_DEP_1) | instskip(NEXT) | instid1(VALU_DEP_2)
	v_cmp_gt_u64_e32 vcc_lo, 0x47600001, v[6:7]
	v_and_b32_e32 v1, 0x80, v1
                                        ; implicit-def: $vgpr6
	s_and_saveexec_b32 s13, vcc_lo
	s_delay_alu instid0(SALU_CYCLE_1)
	s_xor_b32 s72, exec_lo, s13
	s_cbranch_execz .LBB6_13456
; %bb.13443:                            ;   in Loop: Header=BB6_12937 Depth=3
	v_mov_b32_e32 v6, 0
	s_mov_b32 s73, exec_lo
	v_cmpx_ne_u32_e32 0, v5
	s_cbranch_execz .LBB6_13455
; %bb.13444:                            ;   in Loop: Header=BB6_12937 Depth=3
	v_bfe_u32 v5, v5, 23, 8
	v_or_b32_e32 v7, 0x800000, v2
	s_delay_alu instid0(VALU_DEP_2) | instskip(SKIP_2) | instid1(VALU_DEP_2)
	v_cmp_gt_u32_e64 s13, 0x72, v5
	v_sub_nc_u32_e32 v6, 0x71, v5
	v_cmp_eq_u32_e32 vcc_lo, 0, v5
	v_cndmask_b32_e64 v6, 0, v6, s13
	s_delay_alu instid0(VALU_DEP_1) | instskip(NEXT) | instid1(VALU_DEP_1)
	v_cndmask_b32_e64 v25, v6, 0x70, vcc_lo
	v_dual_cndmask_b32 v2, v7, v2, vcc_lo :: v_dual_add_nc_u32 v6, 21, v25
	v_add_nc_u32_e32 v24, 20, v25
	s_delay_alu instid0(VALU_DEP_2) | instskip(NEXT) | instid1(VALU_DEP_2)
	v_lshlrev_b64_e64 v[6:7], v6, -1
	v_lshlrev_b64_e64 v[70:71], v24, 1
	s_delay_alu instid0(VALU_DEP_2) | instskip(SKIP_1) | instid1(VALU_DEP_4)
	v_bfi_b32 v6, v6, 0, v2
	v_lshrrev_b64 v[2:3], v25, v[2:3]
	v_bfi_b32 v7, v7, 0, 0
	s_delay_alu instid0(VALU_DEP_1) | instskip(NEXT) | instid1(VALU_DEP_3)
	v_cmp_eq_u64_e64 s13, v[6:7], v[70:71]
	v_mov_b64_e32 v[6:7], v[2:3]
	s_and_saveexec_b32 s74, s13
; %bb.13445:                            ;   in Loop: Header=BB6_12937 Depth=3
	v_bfe_u32 v6, v2, 21, 1
	v_mov_b32_e32 v7, v21
	s_delay_alu instid0(VALU_DEP_1) | instskip(NEXT) | instid1(VALU_DEP_1)
	v_add_nc_u64_e32 v[6:7], v[2:3], v[6:7]
	v_add_nc_u64_e32 v[6:7], -1, v[6:7]
; %bb.13446:                            ;   in Loop: Header=BB6_12937 Depth=3
	s_or_b32 exec_lo, exec_lo, s74
	v_add_nc_u32_e32 v3, 0xffffff81, v5
	v_lshrrev_b32_e32 v5, 23, v2
	s_mov_b32 s13, exec_lo
	s_delay_alu instid0(VALU_DEP_2) | instskip(NEXT) | instid1(VALU_DEP_1)
	v_cndmask_b32_e64 v3, v3, 0xffffff82, vcc_lo
	v_add3_u32 v7, v25, v3, v5
	v_and_b32_e32 v3, 0x1fffff, v6
                                        ; implicit-def: $vgpr5
	s_delay_alu instid0(VALU_DEP_1) | instskip(SKIP_1) | instid1(VALU_DEP_2)
	v_dual_add_nc_u32 v6, 14, v7 :: v_dual_add_nc_u32 v2, v3, v2
	v_mov_b32_e32 v3, v21
	v_cmpx_ne_u32_e32 0, v6
	s_xor_b32 s13, exec_lo, s13
; %bb.13447:                            ;   in Loop: Header=BB6_12937 Depth=3
	s_delay_alu instid0(VALU_DEP_2) | instskip(SKIP_1) | instid1(VALU_DEP_1)
	v_cmp_lt_u64_e32 vcc_lo, 0xffffff, v[2:3]
	v_add_nc_u32_e32 v5, 15, v7
	v_cndmask_b32_e32 v5, v6, v5, vcc_lo
	v_cndmask_b32_e64 v6, 0, 1, vcc_lo
	s_delay_alu instid0(VALU_DEP_1)
	v_lshrrev_b64 v[2:3], v6, v[2:3]
; %bb.13448:                            ;   in Loop: Header=BB6_12937 Depth=3
	s_and_not1_saveexec_b32 s13, s13
; %bb.13449:                            ;   in Loop: Header=BB6_12937 Depth=3
	s_delay_alu instid0(VALU_DEP_1)
	v_bfe_u32 v5, v2, 23, 1
; %bb.13450:                            ;   in Loop: Header=BB6_12937 Depth=3
	s_or_b32 exec_lo, exec_lo, s13
	s_delay_alu instid0(VALU_DEP_2) | instskip(NEXT) | instid1(VALU_DEP_2)
	v_lshrrev_b64 v[2:3], 21, v[2:3]
	v_cmp_gt_i32_e32 vcc_lo, 32, v5
	v_cmp_ne_u32_e64 s13, 0, v5
                                        ; implicit-def: $vgpr6
	s_delay_alu instid0(VALU_DEP_3) | instskip(NEXT) | instid1(VALU_DEP_1)
	v_dual_cndmask_b32 v3, 0, v3 :: v_dual_cndmask_b32 v2, 3, v2
	v_cmp_ne_u64_e32 vcc_lo, 0, v[2:3]
	s_or_b32 s13, s13, vcc_lo
	s_delay_alu instid0(SALU_CYCLE_1) | instskip(NEXT) | instid1(SALU_CYCLE_1)
	s_and_saveexec_b32 s74, s13
	s_xor_b32 s13, exec_lo, s74
; %bb.13451:                            ;   in Loop: Header=BB6_12937 Depth=3
	v_min_i32_e32 v3, 31, v5
	s_delay_alu instid0(VALU_DEP_1) | instskip(NEXT) | instid1(VALU_DEP_1)
	v_lshl_or_b32 v1, v3, 2, v1
	v_and_or_b32 v6, v2, 3, v1
                                        ; implicit-def: $vgpr1
; %bb.13452:                            ;   in Loop: Header=BB6_12937 Depth=3
	s_and_not1_saveexec_b32 s13, s13
; %bb.13453:                            ;   in Loop: Header=BB6_12937 Depth=3
	v_mov_b32_e32 v6, v1
; %bb.13454:                            ;   in Loop: Header=BB6_12937 Depth=3
	s_or_b32 exec_lo, exec_lo, s13
.LBB6_13455:                            ;   in Loop: Header=BB6_12937 Depth=3
	s_delay_alu instid0(SALU_CYCLE_1)
	s_or_b32 exec_lo, exec_lo, s73
                                        ; implicit-def: $vgpr1
.LBB6_13456:                            ;   in Loop: Header=BB6_12937 Depth=3
	s_and_not1_saveexec_b32 s13, s72
; %bb.13457:                            ;   in Loop: Header=BB6_12937 Depth=3
	v_or_b32_e32 v6, 0x7b, v1
; %bb.13458:                            ;   in Loop: Header=BB6_12937 Depth=3
	s_or_b32 exec_lo, exec_lo, s13
                                        ; implicit-def: $vgpr5
                                        ; implicit-def: $vgpr2_vgpr3
.LBB6_13459:                            ;   in Loop: Header=BB6_12937 Depth=3
	s_and_not1_saveexec_b32 s13, s43
	s_cbranch_execz .LBB6_13465
; %bb.13460:                            ;   in Loop: Header=BB6_12937 Depth=3
	s_mov_b32 s43, exec_lo
                                        ; implicit-def: $vgpr6
	v_cmpx_ne_u64_e32 0, v[2:3]
	s_xor_b32 s43, exec_lo, s43
; %bb.13461:                            ;   in Loop: Header=BB6_12937 Depth=3
	v_lshrrev_b32_e32 v1, 24, v5
                                        ; implicit-def: $vgpr5
	s_delay_alu instid0(VALU_DEP_1)
	v_or_b32_e32 v6, 0x7f, v1
; %bb.13462:                            ;   in Loop: Header=BB6_12937 Depth=3
	s_and_not1_saveexec_b32 s43, s43
; %bb.13463:                            ;   in Loop: Header=BB6_12937 Depth=3
	v_cmp_lt_i32_e32 vcc_lo, -1, v5
	v_cndmask_b32_e64 v6, -4, 0x7c, vcc_lo
; %bb.13464:                            ;   in Loop: Header=BB6_12937 Depth=3
	s_or_b32 exec_lo, exec_lo, s43
.LBB6_13465:                            ;   in Loop: Header=BB6_12937 Depth=3
	s_delay_alu instid0(SALU_CYCLE_1)
	s_or_b32 exec_lo, exec_lo, s13
	v_dual_mov_b32 v1, 0 :: v_dual_mov_b32 v2, 0
	s_mov_b32 s43, exec_lo
	v_cmpx_ne_u16_e32 0, v66
	s_cbranch_execz .LBB6_13475
; %bb.13466:                            ;   in Loop: Header=BB6_12937 Depth=3
	v_bfrev_b32_e32 v2, 1
	s_mov_b32 s72, exec_lo
	v_cmpx_ne_u16_e32 0xff80, v66
	s_cbranch_execz .LBB6_13474
; %bb.13467:                            ;   in Loop: Header=BB6_12937 Depth=3
	v_and_b32_e32 v2, 0x7c, v66
	v_and_b32_e32 v3, 3, v66
	s_delay_alu instid0(VALU_DEP_2) | instskip(SKIP_1) | instid1(SALU_CYCLE_1)
	v_cmp_ne_u32_e32 vcc_lo, 0x7c, v2
                                        ; implicit-def: $vgpr2
	s_and_saveexec_b32 s13, vcc_lo
	s_xor_b32 s13, exec_lo, s13
	s_cbranch_execz .LBB6_13471
; %bb.13468:                            ;   in Loop: Header=BB6_12937 Depth=3
	v_and_b32_e32 v2, 0xff, v66
	s_mov_b32 s73, exec_lo
	s_delay_alu instid0(VALU_DEP_1) | instskip(NEXT) | instid1(VALU_DEP_1)
	v_bfe_u32 v2, v2, 2, 5
	v_cmpx_eq_u32_e32 0, v2
	s_cbranch_execz .LBB6_13470
; %bb.13469:                            ;   in Loop: Header=BB6_12937 Depth=3
	v_clz_i32_u32_e32 v2, v3
	s_delay_alu instid0(VALU_DEP_1) | instskip(SKIP_1) | instid1(VALU_DEP_2)
	v_min_u32_e32 v2, 32, v2
	v_mov_b32_e32 v67, v21
	v_subrev_nc_u32_e32 v3, 29, v2
	v_sub_nc_u32_e32 v2, 30, v2
	s_delay_alu instid0(VALU_DEP_2) | instskip(NEXT) | instid1(VALU_DEP_1)
	v_lshlrev_b64_e32 v[24:25], v3, v[66:67]
	v_and_b32_e32 v3, 3, v24
.LBB6_13470:                            ;   in Loop: Header=BB6_12937 Depth=3
	s_or_b32 exec_lo, exec_lo, s73
	v_bfe_i32 v5, v66, 0, 16
                                        ; implicit-def: $vgpr66
	s_delay_alu instid0(VALU_DEP_1) | instskip(NEXT) | instid1(VALU_DEP_1)
	v_and_b32_e32 v5, 0x80000000, v5
	v_lshl_add_u32 v2, v2, 23, v5
	s_delay_alu instid0(VALU_DEP_1) | instskip(NEXT) | instid1(VALU_DEP_1)
	v_lshl_or_b32 v2, v3, 21, v2
                                        ; implicit-def: $vgpr3
	v_add_nc_u32_e32 v2, 0x38000000, v2
.LBB6_13471:                            ;   in Loop: Header=BB6_12937 Depth=3
	s_and_not1_saveexec_b32 s73, s13
; %bb.13472:                            ;   in Loop: Header=BB6_12937 Depth=3
	v_cmp_lt_i16_e64 s13, -1, v66
	v_mov_b32_e32 v2, 0x7f800000
	v_cmp_eq_u32_e32 vcc_lo, 0, v3
	s_delay_alu instid0(VALU_DEP_2) | instskip(NEXT) | instid1(VALU_DEP_1)
	v_cndmask_b32_e64 v2, 0xff800000, v2, s13
	v_cndmask_b32_e32 v2, 0x7f800001, v2, vcc_lo
; %bb.13473:                            ;   in Loop: Header=BB6_12937 Depth=3
	s_or_b32 exec_lo, exec_lo, s73
.LBB6_13474:                            ;   in Loop: Header=BB6_12937 Depth=3
	s_delay_alu instid0(SALU_CYCLE_1)
	s_or_b32 exec_lo, exec_lo, s72
.LBB6_13475:                            ;   in Loop: Header=BB6_12937 Depth=3
	s_delay_alu instid0(SALU_CYCLE_1) | instskip(NEXT) | instid1(SALU_CYCLE_1)
	s_or_b32 exec_lo, exec_lo, s43
	s_mov_b32 s43, exec_lo
	v_cmpx_ne_u16_e32 0, v0
	s_cbranch_execz .LBB6_13485
; %bb.13476:                            ;   in Loop: Header=BB6_12937 Depth=3
	v_bfrev_b32_e32 v1, 1
	s_mov_b32 s72, exec_lo
	v_cmpx_ne_u16_e32 0xff80, v0
	s_cbranch_execz .LBB6_13484
; %bb.13477:                            ;   in Loop: Header=BB6_12937 Depth=3
	v_and_b32_e32 v1, 0x7c, v0
	v_and_b32_e32 v3, 3, v0
	s_delay_alu instid0(VALU_DEP_2) | instskip(SKIP_1) | instid1(SALU_CYCLE_1)
	v_cmp_ne_u32_e32 vcc_lo, 0x7c, v1
                                        ; implicit-def: $vgpr1
	s_and_saveexec_b32 s13, vcc_lo
	s_xor_b32 s13, exec_lo, s13
	s_cbranch_execz .LBB6_13481
; %bb.13478:                            ;   in Loop: Header=BB6_12937 Depth=3
	v_and_b32_e32 v1, 0xff, v0
	s_mov_b32 s73, exec_lo
	s_delay_alu instid0(VALU_DEP_1) | instskip(NEXT) | instid1(VALU_DEP_1)
	v_bfe_u32 v1, v1, 2, 5
	v_cmpx_eq_u32_e32 0, v1
; %bb.13479:                            ;   in Loop: Header=BB6_12937 Depth=3
	v_clz_i32_u32_e32 v1, v3
	s_delay_alu instid0(VALU_DEP_1) | instskip(SKIP_1) | instid1(VALU_DEP_2)
	v_min_u32_e32 v3, 32, v1
	v_mov_b32_e32 v1, v21
	v_subrev_nc_u32_e32 v5, 29, v3
	s_delay_alu instid0(VALU_DEP_1) | instskip(NEXT) | instid1(VALU_DEP_1)
	v_lshlrev_b64_e32 v[24:25], v5, v[0:1]
	v_dual_sub_nc_u32 v1, 30, v3 :: v_dual_bitop2_b32 v3, 3, v24 bitop3:0x40
; %bb.13480:                            ;   in Loop: Header=BB6_12937 Depth=3
	s_or_b32 exec_lo, exec_lo, s73
	v_bfe_i32 v0, v0, 0, 16
	s_delay_alu instid0(VALU_DEP_1) | instskip(NEXT) | instid1(VALU_DEP_1)
	v_and_b32_e32 v0, 0x80000000, v0
	v_lshl_add_u32 v0, v1, 23, v0
	s_delay_alu instid0(VALU_DEP_1) | instskip(NEXT) | instid1(VALU_DEP_1)
	v_lshl_or_b32 v0, v3, 21, v0
                                        ; implicit-def: $vgpr3
	v_add_nc_u32_e32 v1, 0x38000000, v0
                                        ; implicit-def: $vgpr0
.LBB6_13481:                            ;   in Loop: Header=BB6_12937 Depth=3
	s_and_not1_saveexec_b32 s73, s13
; %bb.13482:                            ;   in Loop: Header=BB6_12937 Depth=3
	v_cmp_lt_i16_e64 s13, -1, v0
	v_mov_b32_e32 v0, 0x7f800000
	v_cmp_eq_u32_e32 vcc_lo, 0, v3
	s_delay_alu instid0(VALU_DEP_2) | instskip(NEXT) | instid1(VALU_DEP_1)
	v_cndmask_b32_e64 v0, 0xff800000, v0, s13
	v_cndmask_b32_e32 v1, 0x7f800001, v0, vcc_lo
; %bb.13483:                            ;   in Loop: Header=BB6_12937 Depth=3
	s_or_b32 exec_lo, exec_lo, s73
.LBB6_13484:                            ;   in Loop: Header=BB6_12937 Depth=3
	s_delay_alu instid0(SALU_CYCLE_1)
	s_or_b32 exec_lo, exec_lo, s72
.LBB6_13485:                            ;   in Loop: Header=BB6_12937 Depth=3
	s_delay_alu instid0(SALU_CYCLE_1) | instskip(NEXT) | instid1(VALU_DEP_1)
	s_or_b32 exec_lo, exec_lo, s43
	v_dual_mul_f32 v2, v2, v1 :: v_dual_mov_b32 v1, v21
                                        ; implicit-def: $vgpr7
	s_delay_alu instid0(VALU_DEP_1) | instskip(NEXT) | instid1(VALU_DEP_1)
	v_and_b32_e32 v0, 0x7f800000, v2
	v_cmp_ne_u64_e32 vcc_lo, 0x7f800000, v[0:1]
	v_and_b32_e32 v0, 0x7fffff, v2
	s_and_saveexec_b32 s13, vcc_lo
	s_delay_alu instid0(SALU_CYCLE_1)
	s_xor_b32 s43, exec_lo, s13
	s_cbranch_execz .LBB6_13503
; %bb.13486:                            ;   in Loop: Header=BB6_12937 Depth=3
	v_dual_mov_b32 v25, v21 :: v_dual_lshrrev_b32 v3, 24, v2
	v_and_b32_e32 v24, 0x7fffffff, v2
                                        ; implicit-def: $vgpr7
	s_mov_b32 s13, exec_lo
	s_delay_alu instid0(VALU_DEP_2) | instskip(NEXT) | instid1(VALU_DEP_2)
	v_and_b32_e32 v5, 0x80, v3
	v_cmpx_gt_u64_e32 0x47600001, v[24:25]
	s_xor_b32 s72, exec_lo, s13
	s_cbranch_execz .LBB6_13500
; %bb.13487:                            ;   in Loop: Header=BB6_12937 Depth=3
	v_mov_b32_e32 v7, 0
	s_mov_b32 s73, exec_lo
	v_cmpx_ne_u32_e32 0, v2
	s_cbranch_execz .LBB6_13499
; %bb.13488:                            ;   in Loop: Header=BB6_12937 Depth=3
	v_bfe_u32 v7, v2, 23, 8
	v_or_b32_e32 v3, 0x800000, v0
	s_delay_alu instid0(VALU_DEP_2) | instskip(SKIP_2) | instid1(VALU_DEP_2)
	v_cmp_gt_u32_e64 s13, 0x72, v7
	v_sub_nc_u32_e32 v2, 0x71, v7
	v_cmp_eq_u32_e32 vcc_lo, 0, v7
	v_dual_cndmask_b32 v2, 0, v2, s13 :: v_dual_cndmask_b32 v0, v3, v0, vcc_lo
	s_delay_alu instid0(VALU_DEP_1) | instskip(NEXT) | instid1(VALU_DEP_1)
	v_cndmask_b32_e64 v25, v2, 0x70, vcc_lo
	v_dual_add_nc_u32 v2, 21, v25 :: v_dual_add_nc_u32 v24, 20, v25
	s_delay_alu instid0(VALU_DEP_1) | instskip(NEXT) | instid1(VALU_DEP_2)
	v_lshlrev_b64_e64 v[2:3], v2, -1
	v_lshlrev_b64_e64 v[66:67], v24, 1
	s_delay_alu instid0(VALU_DEP_2) | instskip(SKIP_1) | instid1(VALU_DEP_4)
	v_bfi_b32 v2, v2, 0, v0
	v_lshrrev_b64 v[0:1], v25, v[0:1]
	v_bfi_b32 v3, v3, 0, 0
	s_delay_alu instid0(VALU_DEP_1) | instskip(NEXT) | instid1(VALU_DEP_3)
	v_cmp_eq_u64_e64 s13, v[2:3], v[66:67]
	v_mov_b64_e32 v[2:3], v[0:1]
	s_and_saveexec_b32 s74, s13
; %bb.13489:                            ;   in Loop: Header=BB6_12937 Depth=3
	v_bfe_u32 v2, v0, 21, 1
	v_mov_b32_e32 v3, v21
	s_delay_alu instid0(VALU_DEP_1) | instskip(NEXT) | instid1(VALU_DEP_1)
	v_add_nc_u64_e32 v[2:3], v[0:1], v[2:3]
	v_add_nc_u64_e32 v[2:3], -1, v[2:3]
; %bb.13490:                            ;   in Loop: Header=BB6_12937 Depth=3
	s_or_b32 exec_lo, exec_lo, s74
	v_add_nc_u32_e32 v1, 0xffffff81, v7
	v_lshrrev_b32_e32 v3, 23, v0
	s_mov_b32 s13, exec_lo
	s_delay_alu instid0(VALU_DEP_2) | instskip(NEXT) | instid1(VALU_DEP_1)
	v_cndmask_b32_e64 v1, v1, 0xffffff82, vcc_lo
	v_add3_u32 v7, v25, v1, v3
	v_and_b32_e32 v1, 0x1fffff, v2
                                        ; implicit-def: $vgpr2
	s_delay_alu instid0(VALU_DEP_1) | instskip(SKIP_1) | instid1(VALU_DEP_2)
	v_dual_add_nc_u32 v3, 14, v7 :: v_dual_add_nc_u32 v0, v1, v0
	v_mov_b32_e32 v1, v21
	v_cmpx_ne_u32_e32 0, v3
	s_xor_b32 s13, exec_lo, s13
; %bb.13491:                            ;   in Loop: Header=BB6_12937 Depth=3
	s_delay_alu instid0(VALU_DEP_2) | instskip(SKIP_1) | instid1(VALU_DEP_1)
	v_cmp_lt_u64_e32 vcc_lo, 0xffffff, v[0:1]
	v_add_nc_u32_e32 v2, 15, v7
	v_cndmask_b32_e32 v2, v3, v2, vcc_lo
	v_cndmask_b32_e64 v3, 0, 1, vcc_lo
	s_delay_alu instid0(VALU_DEP_1)
	v_lshrrev_b64 v[0:1], v3, v[0:1]
; %bb.13492:                            ;   in Loop: Header=BB6_12937 Depth=3
	s_and_not1_saveexec_b32 s13, s13
; %bb.13493:                            ;   in Loop: Header=BB6_12937 Depth=3
	s_delay_alu instid0(VALU_DEP_1)
	v_bfe_u32 v2, v0, 23, 1
; %bb.13494:                            ;   in Loop: Header=BB6_12937 Depth=3
	s_or_b32 exec_lo, exec_lo, s13
	s_delay_alu instid0(VALU_DEP_2) | instskip(NEXT) | instid1(VALU_DEP_2)
	v_lshrrev_b64 v[0:1], 21, v[0:1]
	v_cmp_gt_i32_e32 vcc_lo, 32, v2
	v_cmp_ne_u32_e64 s13, 0, v2
                                        ; implicit-def: $vgpr7
	s_delay_alu instid0(VALU_DEP_3) | instskip(NEXT) | instid1(VALU_DEP_1)
	v_dual_cndmask_b32 v1, 0, v1 :: v_dual_cndmask_b32 v0, 3, v0
	v_cmp_ne_u64_e32 vcc_lo, 0, v[0:1]
	s_or_b32 s13, s13, vcc_lo
	s_delay_alu instid0(SALU_CYCLE_1) | instskip(NEXT) | instid1(SALU_CYCLE_1)
	s_and_saveexec_b32 s74, s13
	s_xor_b32 s13, exec_lo, s74
; %bb.13495:                            ;   in Loop: Header=BB6_12937 Depth=3
	v_min_i32_e32 v1, 31, v2
	s_delay_alu instid0(VALU_DEP_1) | instskip(NEXT) | instid1(VALU_DEP_1)
	v_lshl_or_b32 v1, v1, 2, v5
                                        ; implicit-def: $vgpr5
	v_and_or_b32 v7, v0, 3, v1
; %bb.13496:                            ;   in Loop: Header=BB6_12937 Depth=3
	s_and_not1_saveexec_b32 s13, s13
; %bb.13497:                            ;   in Loop: Header=BB6_12937 Depth=3
	v_mov_b32_e32 v7, v5
; %bb.13498:                            ;   in Loop: Header=BB6_12937 Depth=3
	s_or_b32 exec_lo, exec_lo, s13
.LBB6_13499:                            ;   in Loop: Header=BB6_12937 Depth=3
	s_delay_alu instid0(SALU_CYCLE_1)
	s_or_b32 exec_lo, exec_lo, s73
                                        ; implicit-def: $vgpr5
.LBB6_13500:                            ;   in Loop: Header=BB6_12937 Depth=3
	s_and_not1_saveexec_b32 s13, s72
; %bb.13501:                            ;   in Loop: Header=BB6_12937 Depth=3
	v_or_b32_e32 v7, 0x7b, v5
; %bb.13502:                            ;   in Loop: Header=BB6_12937 Depth=3
	s_or_b32 exec_lo, exec_lo, s13
                                        ; implicit-def: $vgpr2
                                        ; implicit-def: $vgpr0_vgpr1
.LBB6_13503:                            ;   in Loop: Header=BB6_12937 Depth=3
	s_and_not1_saveexec_b32 s13, s43
	s_cbranch_execz .LBB6_13509
; %bb.13504:                            ;   in Loop: Header=BB6_12937 Depth=3
	s_mov_b32 s43, exec_lo
                                        ; implicit-def: $vgpr7
	v_cmpx_ne_u64_e32 0, v[0:1]
	s_xor_b32 s43, exec_lo, s43
; %bb.13505:                            ;   in Loop: Header=BB6_12937 Depth=3
	v_lshrrev_b32_e32 v0, 24, v2
                                        ; implicit-def: $vgpr2
	s_delay_alu instid0(VALU_DEP_1)
	v_or_b32_e32 v7, 0x7f, v0
; %bb.13506:                            ;   in Loop: Header=BB6_12937 Depth=3
	s_and_not1_saveexec_b32 s43, s43
; %bb.13507:                            ;   in Loop: Header=BB6_12937 Depth=3
	v_cmp_lt_i32_e32 vcc_lo, -1, v2
	v_cndmask_b32_e64 v7, -4, 0x7c, vcc_lo
; %bb.13508:                            ;   in Loop: Header=BB6_12937 Depth=3
	s_or_b32 exec_lo, exec_lo, s43
.LBB6_13509:                            ;   in Loop: Header=BB6_12937 Depth=3
	s_delay_alu instid0(SALU_CYCLE_1)
	s_or_b32 exec_lo, exec_lo, s13
	v_dual_mov_b32 v0, 0 :: v_dual_mov_b32 v1, 0
	s_mov_b32 s43, exec_lo
	v_cmpx_ne_u16_e32 0, v46
	s_cbranch_execz .LBB6_13519
; %bb.13510:                            ;   in Loop: Header=BB6_12937 Depth=3
	v_bfrev_b32_e32 v1, 1
	s_mov_b32 s72, exec_lo
	v_cmpx_ne_u16_e32 0xff80, v46
	s_cbranch_execz .LBB6_13518
; %bb.13511:                            ;   in Loop: Header=BB6_12937 Depth=3
	v_and_b32_e32 v1, 0x7c, v46
	v_and_b32_e32 v2, 3, v46
	s_delay_alu instid0(VALU_DEP_2) | instskip(SKIP_1) | instid1(SALU_CYCLE_1)
	v_cmp_ne_u32_e32 vcc_lo, 0x7c, v1
                                        ; implicit-def: $vgpr1
	s_and_saveexec_b32 s13, vcc_lo
	s_xor_b32 s13, exec_lo, s13
	s_cbranch_execz .LBB6_13515
; %bb.13512:                            ;   in Loop: Header=BB6_12937 Depth=3
	v_and_b32_e32 v1, 0xff, v46
	s_mov_b32 s73, exec_lo
	s_delay_alu instid0(VALU_DEP_1) | instskip(NEXT) | instid1(VALU_DEP_1)
	v_bfe_u32 v1, v1, 2, 5
	v_cmpx_eq_u32_e32 0, v1
	s_cbranch_execz .LBB6_13514
; %bb.13513:                            ;   in Loop: Header=BB6_12937 Depth=3
	v_clz_i32_u32_e32 v1, v2
	s_delay_alu instid0(VALU_DEP_1) | instskip(SKIP_1) | instid1(VALU_DEP_2)
	v_min_u32_e32 v1, 32, v1
	v_mov_b32_e32 v47, v21
	v_subrev_nc_u32_e32 v2, 29, v1
	v_sub_nc_u32_e32 v1, 30, v1
	s_delay_alu instid0(VALU_DEP_2) | instskip(NEXT) | instid1(VALU_DEP_1)
	v_lshlrev_b64_e32 v[2:3], v2, v[46:47]
	v_and_b32_e32 v2, 3, v2
.LBB6_13514:                            ;   in Loop: Header=BB6_12937 Depth=3
	s_or_b32 exec_lo, exec_lo, s73
	v_bfe_i32 v3, v46, 0, 16
                                        ; implicit-def: $vgpr46
	s_delay_alu instid0(VALU_DEP_1) | instskip(NEXT) | instid1(VALU_DEP_1)
	v_and_b32_e32 v3, 0x80000000, v3
	v_lshl_add_u32 v1, v1, 23, v3
	s_delay_alu instid0(VALU_DEP_1) | instskip(NEXT) | instid1(VALU_DEP_1)
	v_lshl_or_b32 v1, v2, 21, v1
                                        ; implicit-def: $vgpr2
	v_add_nc_u32_e32 v1, 0x38000000, v1
.LBB6_13515:                            ;   in Loop: Header=BB6_12937 Depth=3
	s_and_not1_saveexec_b32 s73, s13
; %bb.13516:                            ;   in Loop: Header=BB6_12937 Depth=3
	v_cmp_lt_i16_e64 s13, -1, v46
	v_mov_b32_e32 v1, 0x7f800000
	v_cmp_eq_u32_e32 vcc_lo, 0, v2
	s_delay_alu instid0(VALU_DEP_2) | instskip(NEXT) | instid1(VALU_DEP_1)
	v_cndmask_b32_e64 v1, 0xff800000, v1, s13
	v_cndmask_b32_e32 v1, 0x7f800001, v1, vcc_lo
; %bb.13517:                            ;   in Loop: Header=BB6_12937 Depth=3
	s_or_b32 exec_lo, exec_lo, s73
.LBB6_13518:                            ;   in Loop: Header=BB6_12937 Depth=3
	s_delay_alu instid0(SALU_CYCLE_1)
	s_or_b32 exec_lo, exec_lo, s72
.LBB6_13519:                            ;   in Loop: Header=BB6_12937 Depth=3
	s_delay_alu instid0(SALU_CYCLE_1) | instskip(NEXT) | instid1(SALU_CYCLE_1)
	s_or_b32 exec_lo, exec_lo, s43
	s_mov_b32 s43, exec_lo
	v_cmpx_ne_u16_e32 0, v42
	s_cbranch_execz .LBB6_13529
; %bb.13520:                            ;   in Loop: Header=BB6_12937 Depth=3
	v_bfrev_b32_e32 v0, 1
	s_mov_b32 s72, exec_lo
	v_cmpx_ne_u16_e32 0xff80, v42
	s_cbranch_execz .LBB6_13528
; %bb.13521:                            ;   in Loop: Header=BB6_12937 Depth=3
	v_and_b32_e32 v0, 0x7c, v42
	v_and_b32_e32 v2, 3, v42
	s_delay_alu instid0(VALU_DEP_2) | instskip(SKIP_1) | instid1(SALU_CYCLE_1)
	v_cmp_ne_u32_e32 vcc_lo, 0x7c, v0
                                        ; implicit-def: $vgpr0
	s_and_saveexec_b32 s13, vcc_lo
	s_xor_b32 s13, exec_lo, s13
	s_cbranch_execz .LBB6_13525
; %bb.13522:                            ;   in Loop: Header=BB6_12937 Depth=3
	v_and_b32_e32 v0, 0xff, v42
	s_mov_b32 s73, exec_lo
	s_delay_alu instid0(VALU_DEP_1) | instskip(NEXT) | instid1(VALU_DEP_1)
	v_bfe_u32 v0, v0, 2, 5
	v_cmpx_eq_u32_e32 0, v0
	s_cbranch_execz .LBB6_13524
; %bb.13523:                            ;   in Loop: Header=BB6_12937 Depth=3
	v_clz_i32_u32_e32 v0, v2
	s_delay_alu instid0(VALU_DEP_1) | instskip(SKIP_1) | instid1(VALU_DEP_2)
	v_min_u32_e32 v0, 32, v0
	v_mov_b32_e32 v43, v21
	v_subrev_nc_u32_e32 v2, 29, v0
	v_sub_nc_u32_e32 v0, 30, v0
	s_delay_alu instid0(VALU_DEP_2) | instskip(NEXT) | instid1(VALU_DEP_1)
	v_lshlrev_b64_e32 v[2:3], v2, v[42:43]
	v_and_b32_e32 v2, 3, v2
.LBB6_13524:                            ;   in Loop: Header=BB6_12937 Depth=3
	s_or_b32 exec_lo, exec_lo, s73
	v_bfe_i32 v3, v42, 0, 16
                                        ; implicit-def: $vgpr42
	s_delay_alu instid0(VALU_DEP_1) | instskip(NEXT) | instid1(VALU_DEP_1)
	v_and_b32_e32 v3, 0x80000000, v3
	v_lshl_add_u32 v0, v0, 23, v3
	s_delay_alu instid0(VALU_DEP_1) | instskip(NEXT) | instid1(VALU_DEP_1)
	v_lshl_or_b32 v0, v2, 21, v0
                                        ; implicit-def: $vgpr2
	v_add_nc_u32_e32 v0, 0x38000000, v0
.LBB6_13525:                            ;   in Loop: Header=BB6_12937 Depth=3
	s_and_not1_saveexec_b32 s73, s13
; %bb.13526:                            ;   in Loop: Header=BB6_12937 Depth=3
	v_cmp_lt_i16_e64 s13, -1, v42
	v_mov_b32_e32 v0, 0x7f800000
	v_cmp_eq_u32_e32 vcc_lo, 0, v2
	s_delay_alu instid0(VALU_DEP_2) | instskip(NEXT) | instid1(VALU_DEP_1)
	v_cndmask_b32_e64 v0, 0xff800000, v0, s13
	v_cndmask_b32_e32 v0, 0x7f800001, v0, vcc_lo
; %bb.13527:                            ;   in Loop: Header=BB6_12937 Depth=3
	s_or_b32 exec_lo, exec_lo, s73
.LBB6_13528:                            ;   in Loop: Header=BB6_12937 Depth=3
	s_delay_alu instid0(SALU_CYCLE_1)
	s_or_b32 exec_lo, exec_lo, s72
.LBB6_13529:                            ;   in Loop: Header=BB6_12937 Depth=3
	s_delay_alu instid0(SALU_CYCLE_1) | instskip(NEXT) | instid1(VALU_DEP_1)
	s_or_b32 exec_lo, exec_lo, s43
	v_mul_f32_e32 v2, v1, v0
	v_mov_b32_e32 v1, v21
                                        ; implicit-def: $vgpr66
	s_delay_alu instid0(VALU_DEP_2) | instskip(NEXT) | instid1(VALU_DEP_1)
	v_and_b32_e32 v0, 0x7f800000, v2
	v_cmp_ne_u64_e32 vcc_lo, 0x7f800000, v[0:1]
	v_and_b32_e32 v0, 0x7fffff, v2
	s_and_saveexec_b32 s13, vcc_lo
	s_delay_alu instid0(SALU_CYCLE_1)
	s_xor_b32 s43, exec_lo, s13
	s_cbranch_execz .LBB6_13547
; %bb.13530:                            ;   in Loop: Header=BB6_12937 Depth=3
	v_dual_mov_b32 v25, v21 :: v_dual_lshrrev_b32 v3, 24, v2
	v_and_b32_e32 v24, 0x7fffffff, v2
                                        ; implicit-def: $vgpr66
	s_mov_b32 s13, exec_lo
	s_delay_alu instid0(VALU_DEP_2) | instskip(NEXT) | instid1(VALU_DEP_2)
	v_and_b32_e32 v5, 0x80, v3
	v_cmpx_gt_u64_e32 0x47600001, v[24:25]
	s_xor_b32 s72, exec_lo, s13
	s_cbranch_execz .LBB6_13544
; %bb.13531:                            ;   in Loop: Header=BB6_12937 Depth=3
	v_mov_b32_e32 v66, 0
	s_mov_b32 s73, exec_lo
	v_cmpx_ne_u32_e32 0, v2
	s_cbranch_execz .LBB6_13543
; %bb.13532:                            ;   in Loop: Header=BB6_12937 Depth=3
	v_bfe_u32 v25, v2, 23, 8
	v_or_b32_e32 v3, 0x800000, v0
	s_delay_alu instid0(VALU_DEP_2) | instskip(SKIP_2) | instid1(VALU_DEP_2)
	v_cmp_gt_u32_e64 s13, 0x72, v25
	v_sub_nc_u32_e32 v2, 0x71, v25
	v_cmp_eq_u32_e32 vcc_lo, 0, v25
	v_dual_cndmask_b32 v2, 0, v2, s13 :: v_dual_cndmask_b32 v0, v3, v0, vcc_lo
	s_delay_alu instid0(VALU_DEP_1) | instskip(NEXT) | instid1(VALU_DEP_1)
	v_cndmask_b32_e64 v27, v2, 0x70, vcc_lo
	v_dual_add_nc_u32 v2, 21, v27 :: v_dual_add_nc_u32 v24, 20, v27
	s_delay_alu instid0(VALU_DEP_1) | instskip(NEXT) | instid1(VALU_DEP_2)
	v_lshlrev_b64_e64 v[2:3], v2, -1
	v_lshlrev_b64_e64 v[66:67], v24, 1
	s_delay_alu instid0(VALU_DEP_2) | instskip(SKIP_1) | instid1(VALU_DEP_4)
	v_bfi_b32 v2, v2, 0, v0
	v_lshrrev_b64 v[0:1], v27, v[0:1]
	v_bfi_b32 v3, v3, 0, 0
	s_delay_alu instid0(VALU_DEP_1) | instskip(NEXT) | instid1(VALU_DEP_3)
	v_cmp_eq_u64_e64 s13, v[2:3], v[66:67]
	v_mov_b64_e32 v[2:3], v[0:1]
	s_and_saveexec_b32 s74, s13
; %bb.13533:                            ;   in Loop: Header=BB6_12937 Depth=3
	v_bfe_u32 v2, v0, 21, 1
	v_mov_b32_e32 v3, v21
	s_delay_alu instid0(VALU_DEP_1) | instskip(NEXT) | instid1(VALU_DEP_1)
	v_add_nc_u64_e32 v[2:3], v[0:1], v[2:3]
	v_add_nc_u64_e32 v[2:3], -1, v[2:3]
; %bb.13534:                            ;   in Loop: Header=BB6_12937 Depth=3
	s_or_b32 exec_lo, exec_lo, s74
	v_add_nc_u32_e32 v1, 0xffffff81, v25
	v_lshrrev_b32_e32 v3, 23, v0
	s_mov_b32 s13, exec_lo
	s_delay_alu instid0(VALU_DEP_2) | instskip(NEXT) | instid1(VALU_DEP_1)
	v_cndmask_b32_e64 v1, v1, 0xffffff82, vcc_lo
	v_add3_u32 v25, v27, v1, v3
	v_and_b32_e32 v1, 0x1fffff, v2
                                        ; implicit-def: $vgpr2
	s_delay_alu instid0(VALU_DEP_1) | instskip(SKIP_1) | instid1(VALU_DEP_2)
	v_dual_add_nc_u32 v3, 14, v25 :: v_dual_add_nc_u32 v0, v1, v0
	v_mov_b32_e32 v1, v21
	v_cmpx_ne_u32_e32 0, v3
	s_xor_b32 s13, exec_lo, s13
; %bb.13535:                            ;   in Loop: Header=BB6_12937 Depth=3
	s_delay_alu instid0(VALU_DEP_2) | instskip(SKIP_1) | instid1(VALU_DEP_1)
	v_cmp_lt_u64_e32 vcc_lo, 0xffffff, v[0:1]
	v_add_nc_u32_e32 v2, 15, v25
	v_cndmask_b32_e32 v2, v3, v2, vcc_lo
	v_cndmask_b32_e64 v3, 0, 1, vcc_lo
	s_delay_alu instid0(VALU_DEP_1)
	v_lshrrev_b64 v[0:1], v3, v[0:1]
; %bb.13536:                            ;   in Loop: Header=BB6_12937 Depth=3
	s_and_not1_saveexec_b32 s13, s13
; %bb.13537:                            ;   in Loop: Header=BB6_12937 Depth=3
	s_delay_alu instid0(VALU_DEP_1)
	v_bfe_u32 v2, v0, 23, 1
; %bb.13538:                            ;   in Loop: Header=BB6_12937 Depth=3
	s_or_b32 exec_lo, exec_lo, s13
	s_delay_alu instid0(VALU_DEP_2) | instskip(NEXT) | instid1(VALU_DEP_2)
	v_lshrrev_b64 v[0:1], 21, v[0:1]
	v_cmp_gt_i32_e32 vcc_lo, 32, v2
	v_cmp_ne_u32_e64 s13, 0, v2
                                        ; implicit-def: $vgpr66
	s_delay_alu instid0(VALU_DEP_3) | instskip(NEXT) | instid1(VALU_DEP_1)
	v_dual_cndmask_b32 v1, 0, v1 :: v_dual_cndmask_b32 v0, 3, v0
	v_cmp_ne_u64_e32 vcc_lo, 0, v[0:1]
	s_or_b32 s13, s13, vcc_lo
	s_delay_alu instid0(SALU_CYCLE_1) | instskip(NEXT) | instid1(SALU_CYCLE_1)
	s_and_saveexec_b32 s74, s13
	s_xor_b32 s13, exec_lo, s74
; %bb.13539:                            ;   in Loop: Header=BB6_12937 Depth=3
	v_min_i32_e32 v1, 31, v2
	s_delay_alu instid0(VALU_DEP_1) | instskip(NEXT) | instid1(VALU_DEP_1)
	v_lshl_or_b32 v1, v1, 2, v5
                                        ; implicit-def: $vgpr5
	v_and_or_b32 v66, v0, 3, v1
; %bb.13540:                            ;   in Loop: Header=BB6_12937 Depth=3
	s_and_not1_saveexec_b32 s13, s13
; %bb.13541:                            ;   in Loop: Header=BB6_12937 Depth=3
	v_mov_b32_e32 v66, v5
; %bb.13542:                            ;   in Loop: Header=BB6_12937 Depth=3
	s_or_b32 exec_lo, exec_lo, s13
.LBB6_13543:                            ;   in Loop: Header=BB6_12937 Depth=3
	s_delay_alu instid0(SALU_CYCLE_1)
	s_or_b32 exec_lo, exec_lo, s73
                                        ; implicit-def: $vgpr5
.LBB6_13544:                            ;   in Loop: Header=BB6_12937 Depth=3
	s_and_not1_saveexec_b32 s13, s72
; %bb.13545:                            ;   in Loop: Header=BB6_12937 Depth=3
	v_or_b32_e32 v66, 0x7b, v5
; %bb.13546:                            ;   in Loop: Header=BB6_12937 Depth=3
	s_or_b32 exec_lo, exec_lo, s13
                                        ; implicit-def: $vgpr2
                                        ; implicit-def: $vgpr0_vgpr1
.LBB6_13547:                            ;   in Loop: Header=BB6_12937 Depth=3
	s_and_not1_saveexec_b32 s13, s43
	s_cbranch_execz .LBB6_13553
; %bb.13548:                            ;   in Loop: Header=BB6_12937 Depth=3
	s_mov_b32 s43, exec_lo
                                        ; implicit-def: $vgpr66
	v_cmpx_ne_u64_e32 0, v[0:1]
	s_xor_b32 s43, exec_lo, s43
; %bb.13549:                            ;   in Loop: Header=BB6_12937 Depth=3
	v_lshrrev_b32_e32 v0, 24, v2
                                        ; implicit-def: $vgpr2
	s_delay_alu instid0(VALU_DEP_1)
	v_or_b32_e32 v66, 0x7f, v0
; %bb.13550:                            ;   in Loop: Header=BB6_12937 Depth=3
	s_and_not1_saveexec_b32 s43, s43
; %bb.13551:                            ;   in Loop: Header=BB6_12937 Depth=3
	v_cmp_lt_i32_e32 vcc_lo, -1, v2
	v_cndmask_b32_e64 v66, -4, 0x7c, vcc_lo
; %bb.13552:                            ;   in Loop: Header=BB6_12937 Depth=3
	s_or_b32 exec_lo, exec_lo, s43
.LBB6_13553:                            ;   in Loop: Header=BB6_12937 Depth=3
	s_delay_alu instid0(SALU_CYCLE_1)
	s_or_b32 exec_lo, exec_lo, s13
	v_dual_mov_b32 v0, 0 :: v_dual_mov_b32 v1, 0
	s_mov_b32 s43, exec_lo
	v_cmpx_ne_u16_e32 0, v72
	s_cbranch_execz .LBB6_13563
; %bb.13554:                            ;   in Loop: Header=BB6_12937 Depth=3
	v_bfrev_b32_e32 v1, 1
	s_mov_b32 s72, exec_lo
	v_cmpx_ne_u16_e32 0xff80, v72
	s_cbranch_execz .LBB6_13562
; %bb.13555:                            ;   in Loop: Header=BB6_12937 Depth=3
	v_and_b32_e32 v1, 0x7c, v72
	v_and_b32_e32 v2, 3, v72
	s_delay_alu instid0(VALU_DEP_2) | instskip(SKIP_1) | instid1(SALU_CYCLE_1)
	v_cmp_ne_u32_e32 vcc_lo, 0x7c, v1
                                        ; implicit-def: $vgpr1
	s_and_saveexec_b32 s13, vcc_lo
	s_xor_b32 s13, exec_lo, s13
	s_cbranch_execz .LBB6_13559
; %bb.13556:                            ;   in Loop: Header=BB6_12937 Depth=3
	v_and_b32_e32 v1, 0xff, v72
	s_mov_b32 s73, exec_lo
	s_delay_alu instid0(VALU_DEP_1) | instskip(NEXT) | instid1(VALU_DEP_1)
	v_bfe_u32 v1, v1, 2, 5
	v_cmpx_eq_u32_e32 0, v1
	s_cbranch_execz .LBB6_13558
; %bb.13557:                            ;   in Loop: Header=BB6_12937 Depth=3
	v_clz_i32_u32_e32 v1, v2
	s_delay_alu instid0(VALU_DEP_1) | instskip(SKIP_1) | instid1(VALU_DEP_2)
	v_min_u32_e32 v1, 32, v1
	v_mov_b32_e32 v73, v21
	v_subrev_nc_u32_e32 v2, 29, v1
	v_sub_nc_u32_e32 v1, 30, v1
	s_delay_alu instid0(VALU_DEP_2) | instskip(NEXT) | instid1(VALU_DEP_1)
	v_lshlrev_b64_e32 v[2:3], v2, v[72:73]
	v_and_b32_e32 v2, 3, v2
.LBB6_13558:                            ;   in Loop: Header=BB6_12937 Depth=3
	s_or_b32 exec_lo, exec_lo, s73
	v_bfe_i32 v3, v72, 0, 16
                                        ; implicit-def: $vgpr72
	s_delay_alu instid0(VALU_DEP_1) | instskip(NEXT) | instid1(VALU_DEP_1)
	v_and_b32_e32 v3, 0x80000000, v3
	v_lshl_add_u32 v1, v1, 23, v3
	s_delay_alu instid0(VALU_DEP_1) | instskip(NEXT) | instid1(VALU_DEP_1)
	v_lshl_or_b32 v1, v2, 21, v1
                                        ; implicit-def: $vgpr2
	v_add_nc_u32_e32 v1, 0x38000000, v1
.LBB6_13559:                            ;   in Loop: Header=BB6_12937 Depth=3
	s_and_not1_saveexec_b32 s73, s13
; %bb.13560:                            ;   in Loop: Header=BB6_12937 Depth=3
	v_cmp_lt_i16_e64 s13, -1, v72
	v_mov_b32_e32 v1, 0x7f800000
	v_cmp_eq_u32_e32 vcc_lo, 0, v2
	s_delay_alu instid0(VALU_DEP_2) | instskip(NEXT) | instid1(VALU_DEP_1)
	v_cndmask_b32_e64 v1, 0xff800000, v1, s13
	v_cndmask_b32_e32 v1, 0x7f800001, v1, vcc_lo
; %bb.13561:                            ;   in Loop: Header=BB6_12937 Depth=3
	s_or_b32 exec_lo, exec_lo, s73
.LBB6_13562:                            ;   in Loop: Header=BB6_12937 Depth=3
	s_delay_alu instid0(SALU_CYCLE_1)
	s_or_b32 exec_lo, exec_lo, s72
.LBB6_13563:                            ;   in Loop: Header=BB6_12937 Depth=3
	s_delay_alu instid0(SALU_CYCLE_1) | instskip(NEXT) | instid1(SALU_CYCLE_1)
	s_or_b32 exec_lo, exec_lo, s43
	s_mov_b32 s43, exec_lo
	v_cmpx_ne_u16_e32 0, v56
	s_cbranch_execz .LBB6_13573
; %bb.13564:                            ;   in Loop: Header=BB6_12937 Depth=3
	v_bfrev_b32_e32 v0, 1
	s_mov_b32 s72, exec_lo
	v_cmpx_ne_u16_e32 0xff80, v56
	s_cbranch_execz .LBB6_13572
; %bb.13565:                            ;   in Loop: Header=BB6_12937 Depth=3
	v_and_b32_e32 v0, 0x7c, v56
	v_and_b32_e32 v2, 3, v56
	s_delay_alu instid0(VALU_DEP_2) | instskip(SKIP_1) | instid1(SALU_CYCLE_1)
	v_cmp_ne_u32_e32 vcc_lo, 0x7c, v0
                                        ; implicit-def: $vgpr0
	s_and_saveexec_b32 s13, vcc_lo
	s_xor_b32 s13, exec_lo, s13
	s_cbranch_execz .LBB6_13569
; %bb.13566:                            ;   in Loop: Header=BB6_12937 Depth=3
	v_and_b32_e32 v0, 0xff, v56
	s_mov_b32 s73, exec_lo
	s_delay_alu instid0(VALU_DEP_1) | instskip(NEXT) | instid1(VALU_DEP_1)
	v_bfe_u32 v0, v0, 2, 5
	v_cmpx_eq_u32_e32 0, v0
	s_cbranch_execz .LBB6_13568
; %bb.13567:                            ;   in Loop: Header=BB6_12937 Depth=3
	v_clz_i32_u32_e32 v0, v2
	s_delay_alu instid0(VALU_DEP_1) | instskip(SKIP_1) | instid1(VALU_DEP_2)
	v_min_u32_e32 v0, 32, v0
	v_mov_b32_e32 v57, v21
	v_subrev_nc_u32_e32 v2, 29, v0
	v_sub_nc_u32_e32 v0, 30, v0
	s_delay_alu instid0(VALU_DEP_2) | instskip(NEXT) | instid1(VALU_DEP_1)
	v_lshlrev_b64_e32 v[2:3], v2, v[56:57]
	v_and_b32_e32 v2, 3, v2
.LBB6_13568:                            ;   in Loop: Header=BB6_12937 Depth=3
	s_or_b32 exec_lo, exec_lo, s73
	v_bfe_i32 v3, v56, 0, 16
                                        ; implicit-def: $vgpr56
	s_delay_alu instid0(VALU_DEP_1) | instskip(NEXT) | instid1(VALU_DEP_1)
	v_and_b32_e32 v3, 0x80000000, v3
	v_lshl_add_u32 v0, v0, 23, v3
	s_delay_alu instid0(VALU_DEP_1) | instskip(NEXT) | instid1(VALU_DEP_1)
	v_lshl_or_b32 v0, v2, 21, v0
                                        ; implicit-def: $vgpr2
	v_add_nc_u32_e32 v0, 0x38000000, v0
.LBB6_13569:                            ;   in Loop: Header=BB6_12937 Depth=3
	s_and_not1_saveexec_b32 s73, s13
; %bb.13570:                            ;   in Loop: Header=BB6_12937 Depth=3
	v_cmp_lt_i16_e64 s13, -1, v56
	v_mov_b32_e32 v0, 0x7f800000
	v_cmp_eq_u32_e32 vcc_lo, 0, v2
	s_delay_alu instid0(VALU_DEP_2) | instskip(NEXT) | instid1(VALU_DEP_1)
	v_cndmask_b32_e64 v0, 0xff800000, v0, s13
	v_cndmask_b32_e32 v0, 0x7f800001, v0, vcc_lo
; %bb.13571:                            ;   in Loop: Header=BB6_12937 Depth=3
	s_or_b32 exec_lo, exec_lo, s73
.LBB6_13572:                            ;   in Loop: Header=BB6_12937 Depth=3
	s_delay_alu instid0(SALU_CYCLE_1)
	s_or_b32 exec_lo, exec_lo, s72
.LBB6_13573:                            ;   in Loop: Header=BB6_12937 Depth=3
	s_delay_alu instid0(SALU_CYCLE_1) | instskip(NEXT) | instid1(VALU_DEP_1)
	s_or_b32 exec_lo, exec_lo, s43
	v_mul_f32_e32 v2, v1, v0
	v_mov_b32_e32 v1, v21
                                        ; implicit-def: $vgpr67
	s_delay_alu instid0(VALU_DEP_2) | instskip(NEXT) | instid1(VALU_DEP_1)
	v_and_b32_e32 v0, 0x7f800000, v2
	v_cmp_ne_u64_e32 vcc_lo, 0x7f800000, v[0:1]
	v_and_b32_e32 v0, 0x7fffff, v2
	s_and_saveexec_b32 s13, vcc_lo
	s_delay_alu instid0(SALU_CYCLE_1)
	s_xor_b32 s43, exec_lo, s13
	s_cbranch_execz .LBB6_13591
; %bb.13574:                            ;   in Loop: Header=BB6_12937 Depth=3
	v_dual_mov_b32 v25, v21 :: v_dual_lshrrev_b32 v3, 24, v2
	v_and_b32_e32 v24, 0x7fffffff, v2
                                        ; implicit-def: $vgpr67
	s_mov_b32 s13, exec_lo
	s_delay_alu instid0(VALU_DEP_2) | instskip(NEXT) | instid1(VALU_DEP_2)
	v_and_b32_e32 v5, 0x80, v3
	v_cmpx_gt_u64_e32 0x47600001, v[24:25]
	s_xor_b32 s72, exec_lo, s13
	s_cbranch_execz .LBB6_13588
; %bb.13575:                            ;   in Loop: Header=BB6_12937 Depth=3
	v_mov_b32_e32 v67, 0
	s_mov_b32 s73, exec_lo
	v_cmpx_ne_u32_e32 0, v2
	s_cbranch_execz .LBB6_13587
; %bb.13576:                            ;   in Loop: Header=BB6_12937 Depth=3
	v_bfe_u32 v25, v2, 23, 8
	v_or_b32_e32 v3, 0x800000, v0
	s_delay_alu instid0(VALU_DEP_2) | instskip(SKIP_2) | instid1(VALU_DEP_2)
	v_cmp_gt_u32_e64 s13, 0x72, v25
	v_sub_nc_u32_e32 v2, 0x71, v25
	v_cmp_eq_u32_e32 vcc_lo, 0, v25
	v_dual_cndmask_b32 v2, 0, v2, s13 :: v_dual_cndmask_b32 v0, v3, v0, vcc_lo
	s_delay_alu instid0(VALU_DEP_1) | instskip(NEXT) | instid1(VALU_DEP_1)
	v_cndmask_b32_e64 v27, v2, 0x70, vcc_lo
	v_dual_add_nc_u32 v2, 21, v27 :: v_dual_add_nc_u32 v24, 20, v27
	s_delay_alu instid0(VALU_DEP_1) | instskip(NEXT) | instid1(VALU_DEP_2)
	v_lshlrev_b64_e64 v[2:3], v2, -1
	v_lshlrev_b64_e64 v[70:71], v24, 1
	s_delay_alu instid0(VALU_DEP_2) | instskip(SKIP_1) | instid1(VALU_DEP_4)
	v_bfi_b32 v2, v2, 0, v0
	v_lshrrev_b64 v[0:1], v27, v[0:1]
	v_bfi_b32 v3, v3, 0, 0
	s_delay_alu instid0(VALU_DEP_1) | instskip(NEXT) | instid1(VALU_DEP_3)
	v_cmp_eq_u64_e64 s13, v[2:3], v[70:71]
	v_mov_b64_e32 v[2:3], v[0:1]
	s_and_saveexec_b32 s74, s13
; %bb.13577:                            ;   in Loop: Header=BB6_12937 Depth=3
	v_bfe_u32 v2, v0, 21, 1
	v_mov_b32_e32 v3, v21
	s_delay_alu instid0(VALU_DEP_1) | instskip(NEXT) | instid1(VALU_DEP_1)
	v_add_nc_u64_e32 v[2:3], v[0:1], v[2:3]
	v_add_nc_u64_e32 v[2:3], -1, v[2:3]
; %bb.13578:                            ;   in Loop: Header=BB6_12937 Depth=3
	s_or_b32 exec_lo, exec_lo, s74
	v_add_nc_u32_e32 v1, 0xffffff81, v25
	v_lshrrev_b32_e32 v3, 23, v0
	s_mov_b32 s13, exec_lo
	s_delay_alu instid0(VALU_DEP_2) | instskip(NEXT) | instid1(VALU_DEP_1)
	v_cndmask_b32_e64 v1, v1, 0xffffff82, vcc_lo
	v_add3_u32 v25, v27, v1, v3
	v_and_b32_e32 v1, 0x1fffff, v2
                                        ; implicit-def: $vgpr2
	s_delay_alu instid0(VALU_DEP_1) | instskip(SKIP_1) | instid1(VALU_DEP_2)
	v_dual_add_nc_u32 v3, 14, v25 :: v_dual_add_nc_u32 v0, v1, v0
	v_mov_b32_e32 v1, v21
	v_cmpx_ne_u32_e32 0, v3
	s_xor_b32 s13, exec_lo, s13
; %bb.13579:                            ;   in Loop: Header=BB6_12937 Depth=3
	s_delay_alu instid0(VALU_DEP_2) | instskip(SKIP_1) | instid1(VALU_DEP_1)
	v_cmp_lt_u64_e32 vcc_lo, 0xffffff, v[0:1]
	v_add_nc_u32_e32 v2, 15, v25
	v_cndmask_b32_e32 v2, v3, v2, vcc_lo
	v_cndmask_b32_e64 v3, 0, 1, vcc_lo
	s_delay_alu instid0(VALU_DEP_1)
	v_lshrrev_b64 v[0:1], v3, v[0:1]
; %bb.13580:                            ;   in Loop: Header=BB6_12937 Depth=3
	s_and_not1_saveexec_b32 s13, s13
; %bb.13581:                            ;   in Loop: Header=BB6_12937 Depth=3
	s_delay_alu instid0(VALU_DEP_1)
	v_bfe_u32 v2, v0, 23, 1
; %bb.13582:                            ;   in Loop: Header=BB6_12937 Depth=3
	s_or_b32 exec_lo, exec_lo, s13
	s_delay_alu instid0(VALU_DEP_2) | instskip(NEXT) | instid1(VALU_DEP_2)
	v_lshrrev_b64 v[0:1], 21, v[0:1]
	v_cmp_gt_i32_e32 vcc_lo, 32, v2
	v_cmp_ne_u32_e64 s13, 0, v2
                                        ; implicit-def: $vgpr67
	s_delay_alu instid0(VALU_DEP_3) | instskip(NEXT) | instid1(VALU_DEP_1)
	v_dual_cndmask_b32 v1, 0, v1 :: v_dual_cndmask_b32 v0, 3, v0
	v_cmp_ne_u64_e32 vcc_lo, 0, v[0:1]
	s_or_b32 s13, s13, vcc_lo
	s_delay_alu instid0(SALU_CYCLE_1) | instskip(NEXT) | instid1(SALU_CYCLE_1)
	s_and_saveexec_b32 s74, s13
	s_xor_b32 s13, exec_lo, s74
; %bb.13583:                            ;   in Loop: Header=BB6_12937 Depth=3
	v_min_i32_e32 v1, 31, v2
	s_delay_alu instid0(VALU_DEP_1) | instskip(NEXT) | instid1(VALU_DEP_1)
	v_lshl_or_b32 v1, v1, 2, v5
                                        ; implicit-def: $vgpr5
	v_and_or_b32 v67, v0, 3, v1
; %bb.13584:                            ;   in Loop: Header=BB6_12937 Depth=3
	s_and_not1_saveexec_b32 s13, s13
; %bb.13585:                            ;   in Loop: Header=BB6_12937 Depth=3
	v_mov_b32_e32 v67, v5
; %bb.13586:                            ;   in Loop: Header=BB6_12937 Depth=3
	s_or_b32 exec_lo, exec_lo, s13
.LBB6_13587:                            ;   in Loop: Header=BB6_12937 Depth=3
	s_delay_alu instid0(SALU_CYCLE_1)
	s_or_b32 exec_lo, exec_lo, s73
                                        ; implicit-def: $vgpr5
.LBB6_13588:                            ;   in Loop: Header=BB6_12937 Depth=3
	s_and_not1_saveexec_b32 s13, s72
; %bb.13589:                            ;   in Loop: Header=BB6_12937 Depth=3
	v_or_b32_e32 v67, 0x7b, v5
; %bb.13590:                            ;   in Loop: Header=BB6_12937 Depth=3
	s_or_b32 exec_lo, exec_lo, s13
                                        ; implicit-def: $vgpr2
                                        ; implicit-def: $vgpr0_vgpr1
.LBB6_13591:                            ;   in Loop: Header=BB6_12937 Depth=3
	s_and_not1_saveexec_b32 s13, s43
	s_cbranch_execz .LBB6_13597
; %bb.13592:                            ;   in Loop: Header=BB6_12937 Depth=3
	s_mov_b32 s43, exec_lo
                                        ; implicit-def: $vgpr67
	v_cmpx_ne_u64_e32 0, v[0:1]
	s_xor_b32 s43, exec_lo, s43
; %bb.13593:                            ;   in Loop: Header=BB6_12937 Depth=3
	v_lshrrev_b32_e32 v0, 24, v2
                                        ; implicit-def: $vgpr2
	s_delay_alu instid0(VALU_DEP_1)
	v_or_b32_e32 v67, 0x7f, v0
; %bb.13594:                            ;   in Loop: Header=BB6_12937 Depth=3
	s_and_not1_saveexec_b32 s43, s43
; %bb.13595:                            ;   in Loop: Header=BB6_12937 Depth=3
	v_cmp_lt_i32_e32 vcc_lo, -1, v2
	v_cndmask_b32_e64 v67, -4, 0x7c, vcc_lo
; %bb.13596:                            ;   in Loop: Header=BB6_12937 Depth=3
	s_or_b32 exec_lo, exec_lo, s43
.LBB6_13597:                            ;   in Loop: Header=BB6_12937 Depth=3
	s_delay_alu instid0(SALU_CYCLE_1)
	s_or_b32 exec_lo, exec_lo, s13
	v_dual_mov_b32 v0, 0 :: v_dual_mov_b32 v1, 0
	s_mov_b32 s43, exec_lo
	v_cmpx_ne_u16_e32 0, v58
	s_cbranch_execz .LBB6_13607
; %bb.13598:                            ;   in Loop: Header=BB6_12937 Depth=3
	v_bfrev_b32_e32 v1, 1
	s_mov_b32 s72, exec_lo
	v_cmpx_ne_u16_e32 0xff80, v58
	s_cbranch_execz .LBB6_13606
; %bb.13599:                            ;   in Loop: Header=BB6_12937 Depth=3
	v_and_b32_e32 v1, 0x7c, v58
	v_and_b32_e32 v2, 3, v58
	s_delay_alu instid0(VALU_DEP_2) | instskip(SKIP_1) | instid1(SALU_CYCLE_1)
	v_cmp_ne_u32_e32 vcc_lo, 0x7c, v1
                                        ; implicit-def: $vgpr1
	s_and_saveexec_b32 s13, vcc_lo
	s_xor_b32 s13, exec_lo, s13
	s_cbranch_execz .LBB6_13603
; %bb.13600:                            ;   in Loop: Header=BB6_12937 Depth=3
	v_and_b32_e32 v1, 0xff, v58
	s_mov_b32 s73, exec_lo
	s_delay_alu instid0(VALU_DEP_1) | instskip(NEXT) | instid1(VALU_DEP_1)
	v_bfe_u32 v1, v1, 2, 5
	v_cmpx_eq_u32_e32 0, v1
	s_cbranch_execz .LBB6_13602
; %bb.13601:                            ;   in Loop: Header=BB6_12937 Depth=3
	v_clz_i32_u32_e32 v1, v2
	s_delay_alu instid0(VALU_DEP_1) | instskip(SKIP_1) | instid1(VALU_DEP_2)
	v_min_u32_e32 v1, 32, v1
	v_mov_b32_e32 v59, v21
	v_subrev_nc_u32_e32 v2, 29, v1
	v_sub_nc_u32_e32 v1, 30, v1
	s_delay_alu instid0(VALU_DEP_2) | instskip(NEXT) | instid1(VALU_DEP_1)
	v_lshlrev_b64_e32 v[2:3], v2, v[58:59]
	v_and_b32_e32 v2, 3, v2
.LBB6_13602:                            ;   in Loop: Header=BB6_12937 Depth=3
	s_or_b32 exec_lo, exec_lo, s73
	v_bfe_i32 v3, v58, 0, 16
                                        ; implicit-def: $vgpr58
	s_delay_alu instid0(VALU_DEP_1) | instskip(NEXT) | instid1(VALU_DEP_1)
	v_and_b32_e32 v3, 0x80000000, v3
	v_lshl_add_u32 v1, v1, 23, v3
	s_delay_alu instid0(VALU_DEP_1) | instskip(NEXT) | instid1(VALU_DEP_1)
	v_lshl_or_b32 v1, v2, 21, v1
                                        ; implicit-def: $vgpr2
	v_add_nc_u32_e32 v1, 0x38000000, v1
.LBB6_13603:                            ;   in Loop: Header=BB6_12937 Depth=3
	s_and_not1_saveexec_b32 s73, s13
; %bb.13604:                            ;   in Loop: Header=BB6_12937 Depth=3
	v_cmp_lt_i16_e64 s13, -1, v58
	v_mov_b32_e32 v1, 0x7f800000
	v_cmp_eq_u32_e32 vcc_lo, 0, v2
	s_delay_alu instid0(VALU_DEP_2) | instskip(NEXT) | instid1(VALU_DEP_1)
	v_cndmask_b32_e64 v1, 0xff800000, v1, s13
	v_cndmask_b32_e32 v1, 0x7f800001, v1, vcc_lo
; %bb.13605:                            ;   in Loop: Header=BB6_12937 Depth=3
	s_or_b32 exec_lo, exec_lo, s73
.LBB6_13606:                            ;   in Loop: Header=BB6_12937 Depth=3
	s_delay_alu instid0(SALU_CYCLE_1)
	s_or_b32 exec_lo, exec_lo, s72
.LBB6_13607:                            ;   in Loop: Header=BB6_12937 Depth=3
	s_delay_alu instid0(SALU_CYCLE_1) | instskip(NEXT) | instid1(SALU_CYCLE_1)
	s_or_b32 exec_lo, exec_lo, s43
	s_mov_b32 s43, exec_lo
	v_cmpx_ne_u16_e32 0, v96
	s_cbranch_execz .LBB6_13617
; %bb.13608:                            ;   in Loop: Header=BB6_12937 Depth=3
	v_bfrev_b32_e32 v0, 1
	s_mov_b32 s72, exec_lo
	v_cmpx_ne_u16_e32 0xff80, v96
	s_cbranch_execz .LBB6_13616
; %bb.13609:                            ;   in Loop: Header=BB6_12937 Depth=3
	v_and_b32_e32 v0, 0x7c, v96
	v_and_b32_e32 v2, 3, v96
	s_delay_alu instid0(VALU_DEP_2) | instskip(SKIP_1) | instid1(SALU_CYCLE_1)
	v_cmp_ne_u32_e32 vcc_lo, 0x7c, v0
                                        ; implicit-def: $vgpr0
	s_and_saveexec_b32 s13, vcc_lo
	s_xor_b32 s13, exec_lo, s13
	s_cbranch_execz .LBB6_13613
; %bb.13610:                            ;   in Loop: Header=BB6_12937 Depth=3
	v_and_b32_e32 v0, 0xff, v96
	s_mov_b32 s73, exec_lo
	s_delay_alu instid0(VALU_DEP_1) | instskip(NEXT) | instid1(VALU_DEP_1)
	v_bfe_u32 v0, v0, 2, 5
	v_cmpx_eq_u32_e32 0, v0
	s_cbranch_execz .LBB6_13612
; %bb.13611:                            ;   in Loop: Header=BB6_12937 Depth=3
	v_clz_i32_u32_e32 v0, v2
	s_delay_alu instid0(VALU_DEP_1) | instskip(SKIP_1) | instid1(VALU_DEP_2)
	v_min_u32_e32 v0, 32, v0
	v_mov_b32_e32 v97, v21
	v_subrev_nc_u32_e32 v2, 29, v0
	v_sub_nc_u32_e32 v0, 30, v0
	s_delay_alu instid0(VALU_DEP_2) | instskip(NEXT) | instid1(VALU_DEP_1)
	v_lshlrev_b64_e32 v[2:3], v2, v[96:97]
	v_and_b32_e32 v2, 3, v2
.LBB6_13612:                            ;   in Loop: Header=BB6_12937 Depth=3
	s_or_b32 exec_lo, exec_lo, s73
	v_bfe_i32 v3, v96, 0, 16
                                        ; implicit-def: $vgpr96
	s_delay_alu instid0(VALU_DEP_1) | instskip(NEXT) | instid1(VALU_DEP_1)
	v_and_b32_e32 v3, 0x80000000, v3
	v_lshl_add_u32 v0, v0, 23, v3
	s_delay_alu instid0(VALU_DEP_1) | instskip(NEXT) | instid1(VALU_DEP_1)
	v_lshl_or_b32 v0, v2, 21, v0
                                        ; implicit-def: $vgpr2
	v_add_nc_u32_e32 v0, 0x38000000, v0
.LBB6_13613:                            ;   in Loop: Header=BB6_12937 Depth=3
	s_and_not1_saveexec_b32 s73, s13
; %bb.13614:                            ;   in Loop: Header=BB6_12937 Depth=3
	v_cmp_lt_i16_e64 s13, -1, v96
	v_mov_b32_e32 v0, 0x7f800000
	v_cmp_eq_u32_e32 vcc_lo, 0, v2
	s_delay_alu instid0(VALU_DEP_2) | instskip(NEXT) | instid1(VALU_DEP_1)
	v_cndmask_b32_e64 v0, 0xff800000, v0, s13
	v_cndmask_b32_e32 v0, 0x7f800001, v0, vcc_lo
; %bb.13615:                            ;   in Loop: Header=BB6_12937 Depth=3
	s_or_b32 exec_lo, exec_lo, s73
.LBB6_13616:                            ;   in Loop: Header=BB6_12937 Depth=3
	s_delay_alu instid0(SALU_CYCLE_1)
	s_or_b32 exec_lo, exec_lo, s72
.LBB6_13617:                            ;   in Loop: Header=BB6_12937 Depth=3
	s_delay_alu instid0(SALU_CYCLE_1) | instskip(NEXT) | instid1(VALU_DEP_1)
	s_or_b32 exec_lo, exec_lo, s43
	v_mul_f32_e32 v2, v1, v0
	v_mov_b32_e32 v1, v21
                                        ; implicit-def: $vgpr69
	s_delay_alu instid0(VALU_DEP_2) | instskip(NEXT) | instid1(VALU_DEP_1)
	v_and_b32_e32 v0, 0x7f800000, v2
	v_cmp_ne_u64_e32 vcc_lo, 0x7f800000, v[0:1]
	v_and_b32_e32 v0, 0x7fffff, v2
	s_and_saveexec_b32 s13, vcc_lo
	s_delay_alu instid0(SALU_CYCLE_1)
	s_xor_b32 s43, exec_lo, s13
	s_cbranch_execz .LBB6_13635
; %bb.13618:                            ;   in Loop: Header=BB6_12937 Depth=3
	v_dual_mov_b32 v25, v21 :: v_dual_lshrrev_b32 v3, 24, v2
	v_and_b32_e32 v24, 0x7fffffff, v2
                                        ; implicit-def: $vgpr69
	s_mov_b32 s13, exec_lo
	s_delay_alu instid0(VALU_DEP_2) | instskip(NEXT) | instid1(VALU_DEP_2)
	v_and_b32_e32 v5, 0x80, v3
	v_cmpx_gt_u64_e32 0x47600001, v[24:25]
	s_xor_b32 s72, exec_lo, s13
	s_cbranch_execz .LBB6_13632
; %bb.13619:                            ;   in Loop: Header=BB6_12937 Depth=3
	v_mov_b32_e32 v69, 0
	s_mov_b32 s73, exec_lo
	v_cmpx_ne_u32_e32 0, v2
	s_cbranch_execz .LBB6_13631
; %bb.13620:                            ;   in Loop: Header=BB6_12937 Depth=3
	v_bfe_u32 v25, v2, 23, 8
	v_or_b32_e32 v3, 0x800000, v0
	s_delay_alu instid0(VALU_DEP_2) | instskip(SKIP_2) | instid1(VALU_DEP_2)
	v_cmp_gt_u32_e64 s13, 0x72, v25
	v_sub_nc_u32_e32 v2, 0x71, v25
	v_cmp_eq_u32_e32 vcc_lo, 0, v25
	v_dual_cndmask_b32 v2, 0, v2, s13 :: v_dual_cndmask_b32 v0, v3, v0, vcc_lo
	s_delay_alu instid0(VALU_DEP_1) | instskip(NEXT) | instid1(VALU_DEP_1)
	v_cndmask_b32_e64 v27, v2, 0x70, vcc_lo
	v_dual_add_nc_u32 v2, 21, v27 :: v_dual_add_nc_u32 v24, 20, v27
	s_delay_alu instid0(VALU_DEP_1) | instskip(NEXT) | instid1(VALU_DEP_2)
	v_lshlrev_b64_e64 v[2:3], v2, -1
	v_lshlrev_b64_e64 v[70:71], v24, 1
	s_delay_alu instid0(VALU_DEP_2) | instskip(SKIP_1) | instid1(VALU_DEP_4)
	v_bfi_b32 v2, v2, 0, v0
	v_lshrrev_b64 v[0:1], v27, v[0:1]
	v_bfi_b32 v3, v3, 0, 0
	s_delay_alu instid0(VALU_DEP_1) | instskip(NEXT) | instid1(VALU_DEP_3)
	v_cmp_eq_u64_e64 s13, v[2:3], v[70:71]
	v_mov_b64_e32 v[2:3], v[0:1]
	s_and_saveexec_b32 s74, s13
; %bb.13621:                            ;   in Loop: Header=BB6_12937 Depth=3
	v_bfe_u32 v2, v0, 21, 1
	v_mov_b32_e32 v3, v21
	s_delay_alu instid0(VALU_DEP_1) | instskip(NEXT) | instid1(VALU_DEP_1)
	v_add_nc_u64_e32 v[2:3], v[0:1], v[2:3]
	v_add_nc_u64_e32 v[2:3], -1, v[2:3]
; %bb.13622:                            ;   in Loop: Header=BB6_12937 Depth=3
	s_or_b32 exec_lo, exec_lo, s74
	v_add_nc_u32_e32 v1, 0xffffff81, v25
	v_lshrrev_b32_e32 v3, 23, v0
	s_mov_b32 s13, exec_lo
	s_delay_alu instid0(VALU_DEP_2) | instskip(NEXT) | instid1(VALU_DEP_1)
	v_cndmask_b32_e64 v1, v1, 0xffffff82, vcc_lo
	v_add3_u32 v25, v27, v1, v3
	v_and_b32_e32 v1, 0x1fffff, v2
                                        ; implicit-def: $vgpr2
	s_delay_alu instid0(VALU_DEP_1) | instskip(SKIP_1) | instid1(VALU_DEP_2)
	v_dual_add_nc_u32 v3, 14, v25 :: v_dual_add_nc_u32 v0, v1, v0
	v_mov_b32_e32 v1, v21
	v_cmpx_ne_u32_e32 0, v3
	s_xor_b32 s13, exec_lo, s13
; %bb.13623:                            ;   in Loop: Header=BB6_12937 Depth=3
	s_delay_alu instid0(VALU_DEP_2) | instskip(SKIP_1) | instid1(VALU_DEP_1)
	v_cmp_lt_u64_e32 vcc_lo, 0xffffff, v[0:1]
	v_add_nc_u32_e32 v2, 15, v25
	v_cndmask_b32_e32 v2, v3, v2, vcc_lo
	v_cndmask_b32_e64 v3, 0, 1, vcc_lo
	s_delay_alu instid0(VALU_DEP_1)
	v_lshrrev_b64 v[0:1], v3, v[0:1]
; %bb.13624:                            ;   in Loop: Header=BB6_12937 Depth=3
	s_and_not1_saveexec_b32 s13, s13
; %bb.13625:                            ;   in Loop: Header=BB6_12937 Depth=3
	s_delay_alu instid0(VALU_DEP_1)
	v_bfe_u32 v2, v0, 23, 1
; %bb.13626:                            ;   in Loop: Header=BB6_12937 Depth=3
	s_or_b32 exec_lo, exec_lo, s13
	s_delay_alu instid0(VALU_DEP_2) | instskip(NEXT) | instid1(VALU_DEP_2)
	v_lshrrev_b64 v[0:1], 21, v[0:1]
	v_cmp_gt_i32_e32 vcc_lo, 32, v2
	v_cmp_ne_u32_e64 s13, 0, v2
                                        ; implicit-def: $vgpr69
	s_delay_alu instid0(VALU_DEP_3) | instskip(NEXT) | instid1(VALU_DEP_1)
	v_dual_cndmask_b32 v1, 0, v1 :: v_dual_cndmask_b32 v0, 3, v0
	v_cmp_ne_u64_e32 vcc_lo, 0, v[0:1]
	s_or_b32 s13, s13, vcc_lo
	s_delay_alu instid0(SALU_CYCLE_1) | instskip(NEXT) | instid1(SALU_CYCLE_1)
	s_and_saveexec_b32 s74, s13
	s_xor_b32 s13, exec_lo, s74
; %bb.13627:                            ;   in Loop: Header=BB6_12937 Depth=3
	v_min_i32_e32 v1, 31, v2
	s_delay_alu instid0(VALU_DEP_1) | instskip(NEXT) | instid1(VALU_DEP_1)
	v_lshl_or_b32 v1, v1, 2, v5
                                        ; implicit-def: $vgpr5
	v_and_or_b32 v69, v0, 3, v1
; %bb.13628:                            ;   in Loop: Header=BB6_12937 Depth=3
	s_and_not1_saveexec_b32 s13, s13
; %bb.13629:                            ;   in Loop: Header=BB6_12937 Depth=3
	v_mov_b32_e32 v69, v5
; %bb.13630:                            ;   in Loop: Header=BB6_12937 Depth=3
	s_or_b32 exec_lo, exec_lo, s13
.LBB6_13631:                            ;   in Loop: Header=BB6_12937 Depth=3
	s_delay_alu instid0(SALU_CYCLE_1)
	s_or_b32 exec_lo, exec_lo, s73
                                        ; implicit-def: $vgpr5
.LBB6_13632:                            ;   in Loop: Header=BB6_12937 Depth=3
	s_and_not1_saveexec_b32 s13, s72
; %bb.13633:                            ;   in Loop: Header=BB6_12937 Depth=3
	v_or_b32_e32 v69, 0x7b, v5
; %bb.13634:                            ;   in Loop: Header=BB6_12937 Depth=3
	s_or_b32 exec_lo, exec_lo, s13
                                        ; implicit-def: $vgpr2
                                        ; implicit-def: $vgpr0_vgpr1
.LBB6_13635:                            ;   in Loop: Header=BB6_12937 Depth=3
	s_and_not1_saveexec_b32 s13, s43
	s_cbranch_execz .LBB6_13641
; %bb.13636:                            ;   in Loop: Header=BB6_12937 Depth=3
	s_mov_b32 s43, exec_lo
                                        ; implicit-def: $vgpr69
	v_cmpx_ne_u64_e32 0, v[0:1]
	s_xor_b32 s43, exec_lo, s43
; %bb.13637:                            ;   in Loop: Header=BB6_12937 Depth=3
	v_lshrrev_b32_e32 v0, 24, v2
                                        ; implicit-def: $vgpr2
	s_delay_alu instid0(VALU_DEP_1)
	v_or_b32_e32 v69, 0x7f, v0
; %bb.13638:                            ;   in Loop: Header=BB6_12937 Depth=3
	s_and_not1_saveexec_b32 s43, s43
; %bb.13639:                            ;   in Loop: Header=BB6_12937 Depth=3
	v_cmp_lt_i32_e32 vcc_lo, -1, v2
	v_cndmask_b32_e64 v69, -4, 0x7c, vcc_lo
; %bb.13640:                            ;   in Loop: Header=BB6_12937 Depth=3
	s_or_b32 exec_lo, exec_lo, s43
.LBB6_13641:                            ;   in Loop: Header=BB6_12937 Depth=3
	s_delay_alu instid0(SALU_CYCLE_1)
	s_or_b32 exec_lo, exec_lo, s13
	v_dual_mov_b32 v0, 0 :: v_dual_mov_b32 v1, 0
	s_mov_b32 s43, exec_lo
	v_cmpx_ne_u16_e32 0, v122
	s_cbranch_execz .LBB6_13651
; %bb.13642:                            ;   in Loop: Header=BB6_12937 Depth=3
	v_bfrev_b32_e32 v1, 1
	s_mov_b32 s72, exec_lo
	v_cmpx_ne_u16_e32 0xff80, v122
	s_cbranch_execz .LBB6_13650
; %bb.13643:                            ;   in Loop: Header=BB6_12937 Depth=3
	v_and_b32_e32 v1, 0x7c, v122
	v_and_b32_e32 v2, 3, v122
	s_delay_alu instid0(VALU_DEP_2) | instskip(SKIP_1) | instid1(SALU_CYCLE_1)
	v_cmp_ne_u32_e32 vcc_lo, 0x7c, v1
                                        ; implicit-def: $vgpr1
	s_and_saveexec_b32 s13, vcc_lo
	s_xor_b32 s13, exec_lo, s13
	s_cbranch_execz .LBB6_13647
; %bb.13644:                            ;   in Loop: Header=BB6_12937 Depth=3
	v_and_b32_e32 v1, 0xff, v122
	s_mov_b32 s73, exec_lo
	s_delay_alu instid0(VALU_DEP_1) | instskip(NEXT) | instid1(VALU_DEP_1)
	v_bfe_u32 v1, v1, 2, 5
	v_cmpx_eq_u32_e32 0, v1
	s_cbranch_execz .LBB6_13646
; %bb.13645:                            ;   in Loop: Header=BB6_12937 Depth=3
	v_clz_i32_u32_e32 v1, v2
	s_delay_alu instid0(VALU_DEP_1) | instskip(SKIP_1) | instid1(VALU_DEP_2)
	v_min_u32_e32 v1, 32, v1
	v_mov_b32_e32 v123, v21
	v_subrev_nc_u32_e32 v2, 29, v1
	v_sub_nc_u32_e32 v1, 30, v1
	s_delay_alu instid0(VALU_DEP_2) | instskip(NEXT) | instid1(VALU_DEP_1)
	v_lshlrev_b64_e32 v[2:3], v2, v[122:123]
	v_and_b32_e32 v2, 3, v2
.LBB6_13646:                            ;   in Loop: Header=BB6_12937 Depth=3
	s_or_b32 exec_lo, exec_lo, s73
	v_bfe_i32 v3, v122, 0, 16
                                        ; implicit-def: $vgpr122
	s_delay_alu instid0(VALU_DEP_1) | instskip(NEXT) | instid1(VALU_DEP_1)
	v_and_b32_e32 v3, 0x80000000, v3
	v_lshl_add_u32 v1, v1, 23, v3
	s_delay_alu instid0(VALU_DEP_1) | instskip(NEXT) | instid1(VALU_DEP_1)
	v_lshl_or_b32 v1, v2, 21, v1
                                        ; implicit-def: $vgpr2
	v_add_nc_u32_e32 v1, 0x38000000, v1
.LBB6_13647:                            ;   in Loop: Header=BB6_12937 Depth=3
	s_and_not1_saveexec_b32 s73, s13
; %bb.13648:                            ;   in Loop: Header=BB6_12937 Depth=3
	v_cmp_lt_i16_e64 s13, -1, v122
	v_mov_b32_e32 v1, 0x7f800000
	v_cmp_eq_u32_e32 vcc_lo, 0, v2
	s_delay_alu instid0(VALU_DEP_2) | instskip(NEXT) | instid1(VALU_DEP_1)
	v_cndmask_b32_e64 v1, 0xff800000, v1, s13
	v_cndmask_b32_e32 v1, 0x7f800001, v1, vcc_lo
; %bb.13649:                            ;   in Loop: Header=BB6_12937 Depth=3
	s_or_b32 exec_lo, exec_lo, s73
.LBB6_13650:                            ;   in Loop: Header=BB6_12937 Depth=3
	s_delay_alu instid0(SALU_CYCLE_1)
	s_or_b32 exec_lo, exec_lo, s72
.LBB6_13651:                            ;   in Loop: Header=BB6_12937 Depth=3
	s_delay_alu instid0(SALU_CYCLE_1) | instskip(NEXT) | instid1(SALU_CYCLE_1)
	s_or_b32 exec_lo, exec_lo, s43
	s_mov_b32 s43, exec_lo
	v_cmpx_ne_u16_e32 0, v78
	s_cbranch_execz .LBB6_13661
; %bb.13652:                            ;   in Loop: Header=BB6_12937 Depth=3
	v_bfrev_b32_e32 v0, 1
	s_mov_b32 s72, exec_lo
	v_cmpx_ne_u16_e32 0xff80, v78
	s_cbranch_execz .LBB6_13660
; %bb.13653:                            ;   in Loop: Header=BB6_12937 Depth=3
	v_and_b32_e32 v0, 0x7c, v78
	v_and_b32_e32 v2, 3, v78
	s_delay_alu instid0(VALU_DEP_2) | instskip(SKIP_1) | instid1(SALU_CYCLE_1)
	v_cmp_ne_u32_e32 vcc_lo, 0x7c, v0
                                        ; implicit-def: $vgpr0
	s_and_saveexec_b32 s13, vcc_lo
	s_xor_b32 s13, exec_lo, s13
	s_cbranch_execz .LBB6_13657
; %bb.13654:                            ;   in Loop: Header=BB6_12937 Depth=3
	v_and_b32_e32 v0, 0xff, v78
	s_mov_b32 s73, exec_lo
	s_delay_alu instid0(VALU_DEP_1) | instskip(NEXT) | instid1(VALU_DEP_1)
	v_bfe_u32 v0, v0, 2, 5
	v_cmpx_eq_u32_e32 0, v0
	s_cbranch_execz .LBB6_13656
; %bb.13655:                            ;   in Loop: Header=BB6_12937 Depth=3
	v_clz_i32_u32_e32 v0, v2
	s_delay_alu instid0(VALU_DEP_1) | instskip(SKIP_1) | instid1(VALU_DEP_2)
	v_min_u32_e32 v0, 32, v0
	v_mov_b32_e32 v79, v21
	v_subrev_nc_u32_e32 v2, 29, v0
	v_sub_nc_u32_e32 v0, 30, v0
	s_delay_alu instid0(VALU_DEP_2) | instskip(NEXT) | instid1(VALU_DEP_1)
	v_lshlrev_b64_e32 v[2:3], v2, v[78:79]
	v_and_b32_e32 v2, 3, v2
.LBB6_13656:                            ;   in Loop: Header=BB6_12937 Depth=3
	s_or_b32 exec_lo, exec_lo, s73
	v_bfe_i32 v3, v78, 0, 16
                                        ; implicit-def: $vgpr78
	s_delay_alu instid0(VALU_DEP_1) | instskip(NEXT) | instid1(VALU_DEP_1)
	v_and_b32_e32 v3, 0x80000000, v3
	v_lshl_add_u32 v0, v0, 23, v3
	s_delay_alu instid0(VALU_DEP_1) | instskip(NEXT) | instid1(VALU_DEP_1)
	v_lshl_or_b32 v0, v2, 21, v0
                                        ; implicit-def: $vgpr2
	v_add_nc_u32_e32 v0, 0x38000000, v0
.LBB6_13657:                            ;   in Loop: Header=BB6_12937 Depth=3
	s_and_not1_saveexec_b32 s73, s13
; %bb.13658:                            ;   in Loop: Header=BB6_12937 Depth=3
	v_cmp_lt_i16_e64 s13, -1, v78
	v_mov_b32_e32 v0, 0x7f800000
	v_cmp_eq_u32_e32 vcc_lo, 0, v2
	s_delay_alu instid0(VALU_DEP_2) | instskip(NEXT) | instid1(VALU_DEP_1)
	v_cndmask_b32_e64 v0, 0xff800000, v0, s13
	v_cndmask_b32_e32 v0, 0x7f800001, v0, vcc_lo
; %bb.13659:                            ;   in Loop: Header=BB6_12937 Depth=3
	s_or_b32 exec_lo, exec_lo, s73
.LBB6_13660:                            ;   in Loop: Header=BB6_12937 Depth=3
	s_delay_alu instid0(SALU_CYCLE_1)
	s_or_b32 exec_lo, exec_lo, s72
.LBB6_13661:                            ;   in Loop: Header=BB6_12937 Depth=3
	s_delay_alu instid0(SALU_CYCLE_1) | instskip(NEXT) | instid1(VALU_DEP_1)
	s_or_b32 exec_lo, exec_lo, s43
	v_mul_f32_e32 v2, v1, v0
	v_mov_b32_e32 v1, v21
                                        ; implicit-def: $vgpr70
	s_delay_alu instid0(VALU_DEP_2) | instskip(NEXT) | instid1(VALU_DEP_1)
	v_and_b32_e32 v0, 0x7f800000, v2
	v_cmp_ne_u64_e32 vcc_lo, 0x7f800000, v[0:1]
	v_and_b32_e32 v0, 0x7fffff, v2
	s_and_saveexec_b32 s13, vcc_lo
	s_delay_alu instid0(SALU_CYCLE_1)
	s_xor_b32 s43, exec_lo, s13
	s_cbranch_execz .LBB6_13679
; %bb.13662:                            ;   in Loop: Header=BB6_12937 Depth=3
	v_dual_mov_b32 v25, v21 :: v_dual_lshrrev_b32 v3, 24, v2
	v_and_b32_e32 v24, 0x7fffffff, v2
                                        ; implicit-def: $vgpr70
	s_mov_b32 s13, exec_lo
	s_delay_alu instid0(VALU_DEP_2) | instskip(NEXT) | instid1(VALU_DEP_2)
	v_and_b32_e32 v5, 0x80, v3
	v_cmpx_gt_u64_e32 0x47600001, v[24:25]
	s_xor_b32 s72, exec_lo, s13
	s_cbranch_execz .LBB6_13676
; %bb.13663:                            ;   in Loop: Header=BB6_12937 Depth=3
	v_mov_b32_e32 v70, 0
	s_mov_b32 s73, exec_lo
	v_cmpx_ne_u32_e32 0, v2
	s_cbranch_execz .LBB6_13675
; %bb.13664:                            ;   in Loop: Header=BB6_12937 Depth=3
	v_bfe_u32 v25, v2, 23, 8
	v_or_b32_e32 v3, 0x800000, v0
	s_delay_alu instid0(VALU_DEP_2) | instskip(SKIP_2) | instid1(VALU_DEP_2)
	v_cmp_gt_u32_e64 s13, 0x72, v25
	v_sub_nc_u32_e32 v2, 0x71, v25
	v_cmp_eq_u32_e32 vcc_lo, 0, v25
	v_dual_cndmask_b32 v2, 0, v2, s13 :: v_dual_cndmask_b32 v0, v3, v0, vcc_lo
	s_delay_alu instid0(VALU_DEP_1) | instskip(NEXT) | instid1(VALU_DEP_1)
	v_cndmask_b32_e64 v27, v2, 0x70, vcc_lo
	v_dual_add_nc_u32 v2, 21, v27 :: v_dual_add_nc_u32 v24, 20, v27
	s_delay_alu instid0(VALU_DEP_1) | instskip(NEXT) | instid1(VALU_DEP_2)
	v_lshlrev_b64_e64 v[2:3], v2, -1
	v_lshlrev_b64_e64 v[70:71], v24, 1
	s_delay_alu instid0(VALU_DEP_2) | instskip(SKIP_1) | instid1(VALU_DEP_4)
	v_bfi_b32 v2, v2, 0, v0
	v_lshrrev_b64 v[0:1], v27, v[0:1]
	v_bfi_b32 v3, v3, 0, 0
	s_delay_alu instid0(VALU_DEP_1) | instskip(NEXT) | instid1(VALU_DEP_3)
	v_cmp_eq_u64_e64 s13, v[2:3], v[70:71]
	v_mov_b64_e32 v[2:3], v[0:1]
	s_and_saveexec_b32 s74, s13
; %bb.13665:                            ;   in Loop: Header=BB6_12937 Depth=3
	v_bfe_u32 v2, v0, 21, 1
	v_mov_b32_e32 v3, v21
	s_delay_alu instid0(VALU_DEP_1) | instskip(NEXT) | instid1(VALU_DEP_1)
	v_add_nc_u64_e32 v[2:3], v[0:1], v[2:3]
	v_add_nc_u64_e32 v[2:3], -1, v[2:3]
; %bb.13666:                            ;   in Loop: Header=BB6_12937 Depth=3
	s_or_b32 exec_lo, exec_lo, s74
	v_add_nc_u32_e32 v1, 0xffffff81, v25
	v_lshrrev_b32_e32 v3, 23, v0
	s_mov_b32 s13, exec_lo
	s_delay_alu instid0(VALU_DEP_2) | instskip(NEXT) | instid1(VALU_DEP_1)
	v_cndmask_b32_e64 v1, v1, 0xffffff82, vcc_lo
	v_add3_u32 v25, v27, v1, v3
	v_and_b32_e32 v1, 0x1fffff, v2
                                        ; implicit-def: $vgpr2
	s_delay_alu instid0(VALU_DEP_1) | instskip(SKIP_1) | instid1(VALU_DEP_2)
	v_dual_add_nc_u32 v3, 14, v25 :: v_dual_add_nc_u32 v0, v1, v0
	v_mov_b32_e32 v1, v21
	v_cmpx_ne_u32_e32 0, v3
	s_xor_b32 s13, exec_lo, s13
; %bb.13667:                            ;   in Loop: Header=BB6_12937 Depth=3
	s_delay_alu instid0(VALU_DEP_2) | instskip(SKIP_1) | instid1(VALU_DEP_1)
	v_cmp_lt_u64_e32 vcc_lo, 0xffffff, v[0:1]
	v_add_nc_u32_e32 v2, 15, v25
	v_cndmask_b32_e32 v2, v3, v2, vcc_lo
	v_cndmask_b32_e64 v3, 0, 1, vcc_lo
	s_delay_alu instid0(VALU_DEP_1)
	v_lshrrev_b64 v[0:1], v3, v[0:1]
; %bb.13668:                            ;   in Loop: Header=BB6_12937 Depth=3
	s_and_not1_saveexec_b32 s13, s13
; %bb.13669:                            ;   in Loop: Header=BB6_12937 Depth=3
	s_delay_alu instid0(VALU_DEP_1)
	v_bfe_u32 v2, v0, 23, 1
; %bb.13670:                            ;   in Loop: Header=BB6_12937 Depth=3
	s_or_b32 exec_lo, exec_lo, s13
	s_delay_alu instid0(VALU_DEP_2) | instskip(NEXT) | instid1(VALU_DEP_2)
	v_lshrrev_b64 v[0:1], 21, v[0:1]
	v_cmp_gt_i32_e32 vcc_lo, 32, v2
	v_cmp_ne_u32_e64 s13, 0, v2
                                        ; implicit-def: $vgpr70
	s_delay_alu instid0(VALU_DEP_3) | instskip(NEXT) | instid1(VALU_DEP_1)
	v_dual_cndmask_b32 v1, 0, v1 :: v_dual_cndmask_b32 v0, 3, v0
	v_cmp_ne_u64_e32 vcc_lo, 0, v[0:1]
	s_or_b32 s13, s13, vcc_lo
	s_delay_alu instid0(SALU_CYCLE_1) | instskip(NEXT) | instid1(SALU_CYCLE_1)
	s_and_saveexec_b32 s74, s13
	s_xor_b32 s13, exec_lo, s74
; %bb.13671:                            ;   in Loop: Header=BB6_12937 Depth=3
	v_min_i32_e32 v1, 31, v2
	s_delay_alu instid0(VALU_DEP_1) | instskip(NEXT) | instid1(VALU_DEP_1)
	v_lshl_or_b32 v1, v1, 2, v5
                                        ; implicit-def: $vgpr5
	v_and_or_b32 v70, v0, 3, v1
; %bb.13672:                            ;   in Loop: Header=BB6_12937 Depth=3
	s_and_not1_saveexec_b32 s13, s13
; %bb.13673:                            ;   in Loop: Header=BB6_12937 Depth=3
	v_mov_b32_e32 v70, v5
; %bb.13674:                            ;   in Loop: Header=BB6_12937 Depth=3
	s_or_b32 exec_lo, exec_lo, s13
.LBB6_13675:                            ;   in Loop: Header=BB6_12937 Depth=3
	s_delay_alu instid0(SALU_CYCLE_1)
	s_or_b32 exec_lo, exec_lo, s73
                                        ; implicit-def: $vgpr5
.LBB6_13676:                            ;   in Loop: Header=BB6_12937 Depth=3
	s_and_not1_saveexec_b32 s13, s72
; %bb.13677:                            ;   in Loop: Header=BB6_12937 Depth=3
	v_or_b32_e32 v70, 0x7b, v5
; %bb.13678:                            ;   in Loop: Header=BB6_12937 Depth=3
	s_or_b32 exec_lo, exec_lo, s13
                                        ; implicit-def: $vgpr2
                                        ; implicit-def: $vgpr0_vgpr1
.LBB6_13679:                            ;   in Loop: Header=BB6_12937 Depth=3
	s_and_not1_saveexec_b32 s13, s43
	s_cbranch_execz .LBB6_13685
; %bb.13680:                            ;   in Loop: Header=BB6_12937 Depth=3
	s_mov_b32 s43, exec_lo
                                        ; implicit-def: $vgpr70
	v_cmpx_ne_u64_e32 0, v[0:1]
	s_xor_b32 s43, exec_lo, s43
; %bb.13681:                            ;   in Loop: Header=BB6_12937 Depth=3
	v_lshrrev_b32_e32 v0, 24, v2
                                        ; implicit-def: $vgpr2
	s_delay_alu instid0(VALU_DEP_1)
	v_or_b32_e32 v70, 0x7f, v0
; %bb.13682:                            ;   in Loop: Header=BB6_12937 Depth=3
	s_and_not1_saveexec_b32 s43, s43
; %bb.13683:                            ;   in Loop: Header=BB6_12937 Depth=3
	v_cmp_lt_i32_e32 vcc_lo, -1, v2
	v_cndmask_b32_e64 v70, -4, 0x7c, vcc_lo
; %bb.13684:                            ;   in Loop: Header=BB6_12937 Depth=3
	s_or_b32 exec_lo, exec_lo, s43
.LBB6_13685:                            ;   in Loop: Header=BB6_12937 Depth=3
	s_delay_alu instid0(SALU_CYCLE_1)
	s_or_b32 exec_lo, exec_lo, s13
	v_dual_mov_b32 v0, 0 :: v_dual_mov_b32 v1, 0
	s_mov_b32 s43, exec_lo
	v_cmpx_ne_u16_e32 0, v62
	s_cbranch_execz .LBB6_13695
; %bb.13686:                            ;   in Loop: Header=BB6_12937 Depth=3
	v_bfrev_b32_e32 v1, 1
	s_mov_b32 s72, exec_lo
	v_cmpx_ne_u16_e32 0xff80, v62
	s_cbranch_execz .LBB6_13694
; %bb.13687:                            ;   in Loop: Header=BB6_12937 Depth=3
	v_and_b32_e32 v1, 0x7c, v62
	v_and_b32_e32 v2, 3, v62
	s_delay_alu instid0(VALU_DEP_2) | instskip(SKIP_1) | instid1(SALU_CYCLE_1)
	v_cmp_ne_u32_e32 vcc_lo, 0x7c, v1
                                        ; implicit-def: $vgpr1
	s_and_saveexec_b32 s13, vcc_lo
	s_xor_b32 s13, exec_lo, s13
	s_cbranch_execz .LBB6_13691
; %bb.13688:                            ;   in Loop: Header=BB6_12937 Depth=3
	v_and_b32_e32 v1, 0xff, v62
	s_mov_b32 s73, exec_lo
	s_delay_alu instid0(VALU_DEP_1) | instskip(NEXT) | instid1(VALU_DEP_1)
	v_bfe_u32 v1, v1, 2, 5
	v_cmpx_eq_u32_e32 0, v1
	s_cbranch_execz .LBB6_13690
; %bb.13689:                            ;   in Loop: Header=BB6_12937 Depth=3
	v_clz_i32_u32_e32 v1, v2
	s_delay_alu instid0(VALU_DEP_1) | instskip(SKIP_1) | instid1(VALU_DEP_2)
	v_min_u32_e32 v1, 32, v1
	v_mov_b32_e32 v63, v21
	v_subrev_nc_u32_e32 v2, 29, v1
	v_sub_nc_u32_e32 v1, 30, v1
	s_delay_alu instid0(VALU_DEP_2) | instskip(NEXT) | instid1(VALU_DEP_1)
	v_lshlrev_b64_e32 v[2:3], v2, v[62:63]
	v_and_b32_e32 v2, 3, v2
.LBB6_13690:                            ;   in Loop: Header=BB6_12937 Depth=3
	s_or_b32 exec_lo, exec_lo, s73
	v_bfe_i32 v3, v62, 0, 16
                                        ; implicit-def: $vgpr62
	s_delay_alu instid0(VALU_DEP_1) | instskip(NEXT) | instid1(VALU_DEP_1)
	v_and_b32_e32 v3, 0x80000000, v3
	v_lshl_add_u32 v1, v1, 23, v3
	s_delay_alu instid0(VALU_DEP_1) | instskip(NEXT) | instid1(VALU_DEP_1)
	v_lshl_or_b32 v1, v2, 21, v1
                                        ; implicit-def: $vgpr2
	v_add_nc_u32_e32 v1, 0x38000000, v1
.LBB6_13691:                            ;   in Loop: Header=BB6_12937 Depth=3
	s_and_not1_saveexec_b32 s73, s13
; %bb.13692:                            ;   in Loop: Header=BB6_12937 Depth=3
	v_cmp_lt_i16_e64 s13, -1, v62
	v_mov_b32_e32 v1, 0x7f800000
	v_cmp_eq_u32_e32 vcc_lo, 0, v2
	s_delay_alu instid0(VALU_DEP_2) | instskip(NEXT) | instid1(VALU_DEP_1)
	v_cndmask_b32_e64 v1, 0xff800000, v1, s13
	v_cndmask_b32_e32 v1, 0x7f800001, v1, vcc_lo
; %bb.13693:                            ;   in Loop: Header=BB6_12937 Depth=3
	s_or_b32 exec_lo, exec_lo, s73
.LBB6_13694:                            ;   in Loop: Header=BB6_12937 Depth=3
	s_delay_alu instid0(SALU_CYCLE_1)
	s_or_b32 exec_lo, exec_lo, s72
.LBB6_13695:                            ;   in Loop: Header=BB6_12937 Depth=3
	s_delay_alu instid0(SALU_CYCLE_1) | instskip(NEXT) | instid1(SALU_CYCLE_1)
	s_or_b32 exec_lo, exec_lo, s43
	s_mov_b32 s43, exec_lo
	v_cmpx_ne_u16_e32 0, v98
	s_cbranch_execz .LBB6_13705
; %bb.13696:                            ;   in Loop: Header=BB6_12937 Depth=3
	v_bfrev_b32_e32 v0, 1
	s_mov_b32 s72, exec_lo
	v_cmpx_ne_u16_e32 0xff80, v98
	s_cbranch_execz .LBB6_13704
; %bb.13697:                            ;   in Loop: Header=BB6_12937 Depth=3
	v_and_b32_e32 v0, 0x7c, v98
	v_and_b32_e32 v2, 3, v98
	s_delay_alu instid0(VALU_DEP_2) | instskip(SKIP_1) | instid1(SALU_CYCLE_1)
	v_cmp_ne_u32_e32 vcc_lo, 0x7c, v0
                                        ; implicit-def: $vgpr0
	s_and_saveexec_b32 s13, vcc_lo
	s_xor_b32 s13, exec_lo, s13
	s_cbranch_execz .LBB6_13701
; %bb.13698:                            ;   in Loop: Header=BB6_12937 Depth=3
	v_and_b32_e32 v0, 0xff, v98
	s_mov_b32 s73, exec_lo
	s_delay_alu instid0(VALU_DEP_1) | instskip(NEXT) | instid1(VALU_DEP_1)
	v_bfe_u32 v0, v0, 2, 5
	v_cmpx_eq_u32_e32 0, v0
	s_cbranch_execz .LBB6_13700
; %bb.13699:                            ;   in Loop: Header=BB6_12937 Depth=3
	v_clz_i32_u32_e32 v0, v2
	s_delay_alu instid0(VALU_DEP_1) | instskip(SKIP_1) | instid1(VALU_DEP_2)
	v_min_u32_e32 v0, 32, v0
	v_mov_b32_e32 v99, v21
	v_subrev_nc_u32_e32 v2, 29, v0
	v_sub_nc_u32_e32 v0, 30, v0
	s_delay_alu instid0(VALU_DEP_2) | instskip(NEXT) | instid1(VALU_DEP_1)
	v_lshlrev_b64_e32 v[2:3], v2, v[98:99]
	v_and_b32_e32 v2, 3, v2
.LBB6_13700:                            ;   in Loop: Header=BB6_12937 Depth=3
	s_or_b32 exec_lo, exec_lo, s73
	v_bfe_i32 v3, v98, 0, 16
                                        ; implicit-def: $vgpr98
	s_delay_alu instid0(VALU_DEP_1) | instskip(NEXT) | instid1(VALU_DEP_1)
	v_and_b32_e32 v3, 0x80000000, v3
	v_lshl_add_u32 v0, v0, 23, v3
	s_delay_alu instid0(VALU_DEP_1) | instskip(NEXT) | instid1(VALU_DEP_1)
	v_lshl_or_b32 v0, v2, 21, v0
                                        ; implicit-def: $vgpr2
	v_add_nc_u32_e32 v0, 0x38000000, v0
.LBB6_13701:                            ;   in Loop: Header=BB6_12937 Depth=3
	s_and_not1_saveexec_b32 s73, s13
; %bb.13702:                            ;   in Loop: Header=BB6_12937 Depth=3
	v_cmp_lt_i16_e64 s13, -1, v98
	v_mov_b32_e32 v0, 0x7f800000
	v_cmp_eq_u32_e32 vcc_lo, 0, v2
	s_delay_alu instid0(VALU_DEP_2) | instskip(NEXT) | instid1(VALU_DEP_1)
	v_cndmask_b32_e64 v0, 0xff800000, v0, s13
	v_cndmask_b32_e32 v0, 0x7f800001, v0, vcc_lo
; %bb.13703:                            ;   in Loop: Header=BB6_12937 Depth=3
	s_or_b32 exec_lo, exec_lo, s73
.LBB6_13704:                            ;   in Loop: Header=BB6_12937 Depth=3
	s_delay_alu instid0(SALU_CYCLE_1)
	s_or_b32 exec_lo, exec_lo, s72
.LBB6_13705:                            ;   in Loop: Header=BB6_12937 Depth=3
	s_delay_alu instid0(SALU_CYCLE_1) | instskip(NEXT) | instid1(VALU_DEP_1)
	s_or_b32 exec_lo, exec_lo, s43
	v_mul_f32_e32 v2, v1, v0
	v_mov_b32_e32 v1, v21
                                        ; implicit-def: $vgpr71
	s_delay_alu instid0(VALU_DEP_2) | instskip(NEXT) | instid1(VALU_DEP_1)
	v_and_b32_e32 v0, 0x7f800000, v2
	v_cmp_ne_u64_e32 vcc_lo, 0x7f800000, v[0:1]
	v_and_b32_e32 v0, 0x7fffff, v2
	s_and_saveexec_b32 s13, vcc_lo
	s_delay_alu instid0(SALU_CYCLE_1)
	s_xor_b32 s43, exec_lo, s13
	s_cbranch_execz .LBB6_13723
; %bb.13706:                            ;   in Loop: Header=BB6_12937 Depth=3
	v_dual_mov_b32 v25, v21 :: v_dual_lshrrev_b32 v3, 24, v2
	v_and_b32_e32 v24, 0x7fffffff, v2
                                        ; implicit-def: $vgpr71
	s_mov_b32 s13, exec_lo
	s_delay_alu instid0(VALU_DEP_2) | instskip(NEXT) | instid1(VALU_DEP_2)
	v_and_b32_e32 v5, 0x80, v3
	v_cmpx_gt_u64_e32 0x47600001, v[24:25]
	s_xor_b32 s72, exec_lo, s13
	s_cbranch_execz .LBB6_13720
; %bb.13707:                            ;   in Loop: Header=BB6_12937 Depth=3
	v_mov_b32_e32 v71, 0
	s_mov_b32 s73, exec_lo
	v_cmpx_ne_u32_e32 0, v2
	s_cbranch_execz .LBB6_13719
; %bb.13708:                            ;   in Loop: Header=BB6_12937 Depth=3
	v_bfe_u32 v25, v2, 23, 8
	v_or_b32_e32 v3, 0x800000, v0
	s_delay_alu instid0(VALU_DEP_2) | instskip(SKIP_2) | instid1(VALU_DEP_2)
	v_cmp_gt_u32_e64 s13, 0x72, v25
	v_sub_nc_u32_e32 v2, 0x71, v25
	v_cmp_eq_u32_e32 vcc_lo, 0, v25
	v_dual_cndmask_b32 v2, 0, v2, s13 :: v_dual_cndmask_b32 v0, v3, v0, vcc_lo
	s_delay_alu instid0(VALU_DEP_1) | instskip(NEXT) | instid1(VALU_DEP_1)
	v_cndmask_b32_e64 v27, v2, 0x70, vcc_lo
	v_dual_add_nc_u32 v2, 21, v27 :: v_dual_add_nc_u32 v24, 20, v27
	s_delay_alu instid0(VALU_DEP_1) | instskip(NEXT) | instid1(VALU_DEP_2)
	v_lshlrev_b64_e64 v[2:3], v2, -1
	v_lshlrev_b64_e64 v[80:81], v24, 1
	s_delay_alu instid0(VALU_DEP_2) | instskip(SKIP_1) | instid1(VALU_DEP_4)
	v_bfi_b32 v2, v2, 0, v0
	v_lshrrev_b64 v[0:1], v27, v[0:1]
	v_bfi_b32 v3, v3, 0, 0
	s_delay_alu instid0(VALU_DEP_1) | instskip(NEXT) | instid1(VALU_DEP_3)
	v_cmp_eq_u64_e64 s13, v[2:3], v[80:81]
	v_mov_b64_e32 v[2:3], v[0:1]
	s_and_saveexec_b32 s74, s13
; %bb.13709:                            ;   in Loop: Header=BB6_12937 Depth=3
	v_bfe_u32 v2, v0, 21, 1
	v_mov_b32_e32 v3, v21
	s_delay_alu instid0(VALU_DEP_1) | instskip(NEXT) | instid1(VALU_DEP_1)
	v_add_nc_u64_e32 v[2:3], v[0:1], v[2:3]
	v_add_nc_u64_e32 v[2:3], -1, v[2:3]
; %bb.13710:                            ;   in Loop: Header=BB6_12937 Depth=3
	s_or_b32 exec_lo, exec_lo, s74
	v_add_nc_u32_e32 v1, 0xffffff81, v25
	v_lshrrev_b32_e32 v3, 23, v0
	s_mov_b32 s13, exec_lo
	s_delay_alu instid0(VALU_DEP_2) | instskip(NEXT) | instid1(VALU_DEP_1)
	v_cndmask_b32_e64 v1, v1, 0xffffff82, vcc_lo
	v_add3_u32 v25, v27, v1, v3
	v_and_b32_e32 v1, 0x1fffff, v2
                                        ; implicit-def: $vgpr2
	s_delay_alu instid0(VALU_DEP_1) | instskip(SKIP_1) | instid1(VALU_DEP_2)
	v_dual_add_nc_u32 v3, 14, v25 :: v_dual_add_nc_u32 v0, v1, v0
	v_mov_b32_e32 v1, v21
	v_cmpx_ne_u32_e32 0, v3
	s_xor_b32 s13, exec_lo, s13
; %bb.13711:                            ;   in Loop: Header=BB6_12937 Depth=3
	s_delay_alu instid0(VALU_DEP_2) | instskip(SKIP_1) | instid1(VALU_DEP_1)
	v_cmp_lt_u64_e32 vcc_lo, 0xffffff, v[0:1]
	v_add_nc_u32_e32 v2, 15, v25
	v_cndmask_b32_e32 v2, v3, v2, vcc_lo
	v_cndmask_b32_e64 v3, 0, 1, vcc_lo
	s_delay_alu instid0(VALU_DEP_1)
	v_lshrrev_b64 v[0:1], v3, v[0:1]
; %bb.13712:                            ;   in Loop: Header=BB6_12937 Depth=3
	s_and_not1_saveexec_b32 s13, s13
; %bb.13713:                            ;   in Loop: Header=BB6_12937 Depth=3
	s_delay_alu instid0(VALU_DEP_1)
	v_bfe_u32 v2, v0, 23, 1
; %bb.13714:                            ;   in Loop: Header=BB6_12937 Depth=3
	s_or_b32 exec_lo, exec_lo, s13
	s_delay_alu instid0(VALU_DEP_2) | instskip(NEXT) | instid1(VALU_DEP_2)
	v_lshrrev_b64 v[0:1], 21, v[0:1]
	v_cmp_gt_i32_e32 vcc_lo, 32, v2
	v_cmp_ne_u32_e64 s13, 0, v2
                                        ; implicit-def: $vgpr71
	s_delay_alu instid0(VALU_DEP_3) | instskip(NEXT) | instid1(VALU_DEP_1)
	v_dual_cndmask_b32 v1, 0, v1 :: v_dual_cndmask_b32 v0, 3, v0
	v_cmp_ne_u64_e32 vcc_lo, 0, v[0:1]
	s_or_b32 s13, s13, vcc_lo
	s_delay_alu instid0(SALU_CYCLE_1) | instskip(NEXT) | instid1(SALU_CYCLE_1)
	s_and_saveexec_b32 s74, s13
	s_xor_b32 s13, exec_lo, s74
; %bb.13715:                            ;   in Loop: Header=BB6_12937 Depth=3
	v_min_i32_e32 v1, 31, v2
	s_delay_alu instid0(VALU_DEP_1) | instskip(NEXT) | instid1(VALU_DEP_1)
	v_lshl_or_b32 v1, v1, 2, v5
                                        ; implicit-def: $vgpr5
	v_and_or_b32 v71, v0, 3, v1
; %bb.13716:                            ;   in Loop: Header=BB6_12937 Depth=3
	s_and_not1_saveexec_b32 s13, s13
; %bb.13717:                            ;   in Loop: Header=BB6_12937 Depth=3
	v_mov_b32_e32 v71, v5
; %bb.13718:                            ;   in Loop: Header=BB6_12937 Depth=3
	s_or_b32 exec_lo, exec_lo, s13
.LBB6_13719:                            ;   in Loop: Header=BB6_12937 Depth=3
	s_delay_alu instid0(SALU_CYCLE_1)
	s_or_b32 exec_lo, exec_lo, s73
                                        ; implicit-def: $vgpr5
.LBB6_13720:                            ;   in Loop: Header=BB6_12937 Depth=3
	s_and_not1_saveexec_b32 s13, s72
; %bb.13721:                            ;   in Loop: Header=BB6_12937 Depth=3
	v_or_b32_e32 v71, 0x7b, v5
; %bb.13722:                            ;   in Loop: Header=BB6_12937 Depth=3
	s_or_b32 exec_lo, exec_lo, s13
                                        ; implicit-def: $vgpr2
                                        ; implicit-def: $vgpr0_vgpr1
.LBB6_13723:                            ;   in Loop: Header=BB6_12937 Depth=3
	s_and_not1_saveexec_b32 s13, s43
	s_cbranch_execz .LBB6_13729
; %bb.13724:                            ;   in Loop: Header=BB6_12937 Depth=3
	s_mov_b32 s43, exec_lo
                                        ; implicit-def: $vgpr71
	v_cmpx_ne_u64_e32 0, v[0:1]
	s_xor_b32 s43, exec_lo, s43
; %bb.13725:                            ;   in Loop: Header=BB6_12937 Depth=3
	v_lshrrev_b32_e32 v0, 24, v2
                                        ; implicit-def: $vgpr2
	s_delay_alu instid0(VALU_DEP_1)
	v_or_b32_e32 v71, 0x7f, v0
; %bb.13726:                            ;   in Loop: Header=BB6_12937 Depth=3
	s_and_not1_saveexec_b32 s43, s43
; %bb.13727:                            ;   in Loop: Header=BB6_12937 Depth=3
	v_cmp_lt_i32_e32 vcc_lo, -1, v2
	v_cndmask_b32_e64 v71, -4, 0x7c, vcc_lo
; %bb.13728:                            ;   in Loop: Header=BB6_12937 Depth=3
	s_or_b32 exec_lo, exec_lo, s43
.LBB6_13729:                            ;   in Loop: Header=BB6_12937 Depth=3
	s_delay_alu instid0(SALU_CYCLE_1)
	s_or_b32 exec_lo, exec_lo, s13
	v_dual_mov_b32 v0, 0 :: v_dual_mov_b32 v1, 0
	s_mov_b32 s43, exec_lo
	v_cmpx_ne_u16_e32 0, v118
	s_cbranch_execz .LBB6_13739
; %bb.13730:                            ;   in Loop: Header=BB6_12937 Depth=3
	v_bfrev_b32_e32 v1, 1
	s_mov_b32 s72, exec_lo
	v_cmpx_ne_u16_e32 0xff80, v118
	s_cbranch_execz .LBB6_13738
; %bb.13731:                            ;   in Loop: Header=BB6_12937 Depth=3
	v_and_b32_e32 v1, 0x7c, v118
	v_and_b32_e32 v2, 3, v118
	s_delay_alu instid0(VALU_DEP_2) | instskip(SKIP_1) | instid1(SALU_CYCLE_1)
	v_cmp_ne_u32_e32 vcc_lo, 0x7c, v1
                                        ; implicit-def: $vgpr1
	s_and_saveexec_b32 s13, vcc_lo
	s_xor_b32 s13, exec_lo, s13
	s_cbranch_execz .LBB6_13735
; %bb.13732:                            ;   in Loop: Header=BB6_12937 Depth=3
	v_and_b32_e32 v1, 0xff, v118
	s_mov_b32 s73, exec_lo
	s_delay_alu instid0(VALU_DEP_1) | instskip(NEXT) | instid1(VALU_DEP_1)
	v_bfe_u32 v1, v1, 2, 5
	v_cmpx_eq_u32_e32 0, v1
	s_cbranch_execz .LBB6_13734
; %bb.13733:                            ;   in Loop: Header=BB6_12937 Depth=3
	v_clz_i32_u32_e32 v1, v2
	s_delay_alu instid0(VALU_DEP_1) | instskip(SKIP_1) | instid1(VALU_DEP_2)
	v_min_u32_e32 v1, 32, v1
	v_mov_b32_e32 v119, v21
	v_subrev_nc_u32_e32 v2, 29, v1
	v_sub_nc_u32_e32 v1, 30, v1
	s_delay_alu instid0(VALU_DEP_2) | instskip(NEXT) | instid1(VALU_DEP_1)
	v_lshlrev_b64_e32 v[2:3], v2, v[118:119]
	v_and_b32_e32 v2, 3, v2
.LBB6_13734:                            ;   in Loop: Header=BB6_12937 Depth=3
	s_or_b32 exec_lo, exec_lo, s73
	v_bfe_i32 v3, v118, 0, 16
                                        ; implicit-def: $vgpr118
	s_delay_alu instid0(VALU_DEP_1) | instskip(NEXT) | instid1(VALU_DEP_1)
	v_and_b32_e32 v3, 0x80000000, v3
	v_lshl_add_u32 v1, v1, 23, v3
	s_delay_alu instid0(VALU_DEP_1) | instskip(NEXT) | instid1(VALU_DEP_1)
	v_lshl_or_b32 v1, v2, 21, v1
                                        ; implicit-def: $vgpr2
	v_add_nc_u32_e32 v1, 0x38000000, v1
.LBB6_13735:                            ;   in Loop: Header=BB6_12937 Depth=3
	s_and_not1_saveexec_b32 s73, s13
; %bb.13736:                            ;   in Loop: Header=BB6_12937 Depth=3
	v_cmp_lt_i16_e64 s13, -1, v118
	v_mov_b32_e32 v1, 0x7f800000
	v_cmp_eq_u32_e32 vcc_lo, 0, v2
	s_delay_alu instid0(VALU_DEP_2) | instskip(NEXT) | instid1(VALU_DEP_1)
	v_cndmask_b32_e64 v1, 0xff800000, v1, s13
	v_cndmask_b32_e32 v1, 0x7f800001, v1, vcc_lo
; %bb.13737:                            ;   in Loop: Header=BB6_12937 Depth=3
	s_or_b32 exec_lo, exec_lo, s73
.LBB6_13738:                            ;   in Loop: Header=BB6_12937 Depth=3
	s_delay_alu instid0(SALU_CYCLE_1)
	s_or_b32 exec_lo, exec_lo, s72
.LBB6_13739:                            ;   in Loop: Header=BB6_12937 Depth=3
	s_delay_alu instid0(SALU_CYCLE_1) | instskip(NEXT) | instid1(SALU_CYCLE_1)
	s_or_b32 exec_lo, exec_lo, s43
	s_mov_b32 s43, exec_lo
	v_cmpx_ne_u16_e32 0, v4
	s_cbranch_execz .LBB6_13749
; %bb.13740:                            ;   in Loop: Header=BB6_12937 Depth=3
	v_bfrev_b32_e32 v0, 1
	s_mov_b32 s72, exec_lo
	v_cmpx_ne_u16_e32 0xff80, v4
	s_cbranch_execz .LBB6_13748
; %bb.13741:                            ;   in Loop: Header=BB6_12937 Depth=3
	v_and_b32_e32 v0, 0x7c, v4
	v_and_b32_e32 v2, 3, v4
	s_delay_alu instid0(VALU_DEP_2) | instskip(SKIP_1) | instid1(SALU_CYCLE_1)
	v_cmp_ne_u32_e32 vcc_lo, 0x7c, v0
                                        ; implicit-def: $vgpr0
	s_and_saveexec_b32 s13, vcc_lo
	s_xor_b32 s13, exec_lo, s13
	s_cbranch_execz .LBB6_13745
; %bb.13742:                            ;   in Loop: Header=BB6_12937 Depth=3
	v_and_b32_e32 v0, 0xff, v4
	s_mov_b32 s73, exec_lo
	s_delay_alu instid0(VALU_DEP_1) | instskip(NEXT) | instid1(VALU_DEP_1)
	v_bfe_u32 v0, v0, 2, 5
	v_cmpx_eq_u32_e32 0, v0
	s_cbranch_execz .LBB6_13744
; %bb.13743:                            ;   in Loop: Header=BB6_12937 Depth=3
	v_clz_i32_u32_e32 v0, v2
	s_delay_alu instid0(VALU_DEP_1) | instskip(SKIP_1) | instid1(VALU_DEP_2)
	v_min_u32_e32 v0, 32, v0
	v_mov_b32_e32 v5, v21
	v_subrev_nc_u32_e32 v2, 29, v0
	v_sub_nc_u32_e32 v0, 30, v0
	s_delay_alu instid0(VALU_DEP_2) | instskip(NEXT) | instid1(VALU_DEP_1)
	v_lshlrev_b64_e32 v[2:3], v2, v[4:5]
	v_and_b32_e32 v2, 3, v2
.LBB6_13744:                            ;   in Loop: Header=BB6_12937 Depth=3
	s_or_b32 exec_lo, exec_lo, s73
	v_bfe_i32 v3, v4, 0, 16
                                        ; implicit-def: $vgpr4
	s_delay_alu instid0(VALU_DEP_1) | instskip(NEXT) | instid1(VALU_DEP_1)
	v_and_b32_e32 v3, 0x80000000, v3
	v_lshl_add_u32 v0, v0, 23, v3
	s_delay_alu instid0(VALU_DEP_1) | instskip(NEXT) | instid1(VALU_DEP_1)
	v_lshl_or_b32 v0, v2, 21, v0
                                        ; implicit-def: $vgpr2
	v_add_nc_u32_e32 v0, 0x38000000, v0
.LBB6_13745:                            ;   in Loop: Header=BB6_12937 Depth=3
	s_and_not1_saveexec_b32 s73, s13
; %bb.13746:                            ;   in Loop: Header=BB6_12937 Depth=3
	v_cmp_lt_i16_e64 s13, -1, v4
	v_mov_b32_e32 v0, 0x7f800000
	v_cmp_eq_u32_e32 vcc_lo, 0, v2
	s_delay_alu instid0(VALU_DEP_2) | instskip(NEXT) | instid1(VALU_DEP_1)
	v_cndmask_b32_e64 v0, 0xff800000, v0, s13
	v_cndmask_b32_e32 v0, 0x7f800001, v0, vcc_lo
; %bb.13747:                            ;   in Loop: Header=BB6_12937 Depth=3
	s_or_b32 exec_lo, exec_lo, s73
.LBB6_13748:                            ;   in Loop: Header=BB6_12937 Depth=3
	s_delay_alu instid0(SALU_CYCLE_1)
	s_or_b32 exec_lo, exec_lo, s72
.LBB6_13749:                            ;   in Loop: Header=BB6_12937 Depth=3
	s_delay_alu instid0(SALU_CYCLE_1) | instskip(NEXT) | instid1(VALU_DEP_1)
	s_or_b32 exec_lo, exec_lo, s43
	v_mul_f32_e32 v2, v1, v0
	v_mov_b32_e32 v1, v21
                                        ; implicit-def: $vgpr4
	s_delay_alu instid0(VALU_DEP_2) | instskip(NEXT) | instid1(VALU_DEP_1)
	v_and_b32_e32 v0, 0x7f800000, v2
	v_cmp_ne_u64_e32 vcc_lo, 0x7f800000, v[0:1]
	v_and_b32_e32 v0, 0x7fffff, v2
	s_and_saveexec_b32 s13, vcc_lo
	s_delay_alu instid0(SALU_CYCLE_1)
	s_xor_b32 s43, exec_lo, s13
	s_cbranch_execz .LBB6_13767
; %bb.13750:                            ;   in Loop: Header=BB6_12937 Depth=3
	v_and_b32_e32 v4, 0x7fffffff, v2
	v_dual_mov_b32 v5, v21 :: v_dual_lshrrev_b32 v3, 24, v2
	s_delay_alu instid0(VALU_DEP_1) | instskip(NEXT) | instid1(VALU_DEP_2)
	v_cmp_gt_u64_e32 vcc_lo, 0x47600001, v[4:5]
	v_and_b32_e32 v5, 0x80, v3
                                        ; implicit-def: $vgpr4
	s_and_saveexec_b32 s13, vcc_lo
	s_delay_alu instid0(SALU_CYCLE_1)
	s_xor_b32 s72, exec_lo, s13
	s_cbranch_execz .LBB6_13764
; %bb.13751:                            ;   in Loop: Header=BB6_12937 Depth=3
	v_mov_b32_e32 v4, 0
	s_mov_b32 s73, exec_lo
	v_cmpx_ne_u32_e32 0, v2
	s_cbranch_execz .LBB6_13763
; %bb.13752:                            ;   in Loop: Header=BB6_12937 Depth=3
	v_bfe_u32 v4, v2, 23, 8
	v_or_b32_e32 v3, 0x800000, v0
	s_delay_alu instid0(VALU_DEP_2) | instskip(SKIP_2) | instid1(VALU_DEP_2)
	v_cmp_gt_u32_e64 s13, 0x72, v4
	v_sub_nc_u32_e32 v2, 0x71, v4
	v_cmp_eq_u32_e32 vcc_lo, 0, v4
	v_dual_cndmask_b32 v2, 0, v2, s13 :: v_dual_cndmask_b32 v0, v3, v0, vcc_lo
	s_delay_alu instid0(VALU_DEP_1) | instskip(NEXT) | instid1(VALU_DEP_1)
	v_cndmask_b32_e64 v25, v2, 0x70, vcc_lo
	v_dual_add_nc_u32 v2, 21, v25 :: v_dual_add_nc_u32 v24, 20, v25
	s_delay_alu instid0(VALU_DEP_1) | instskip(NEXT) | instid1(VALU_DEP_2)
	v_lshlrev_b64_e64 v[2:3], v2, -1
	v_lshlrev_b64_e64 v[80:81], v24, 1
	s_delay_alu instid0(VALU_DEP_2) | instskip(SKIP_1) | instid1(VALU_DEP_4)
	v_bfi_b32 v2, v2, 0, v0
	v_lshrrev_b64 v[0:1], v25, v[0:1]
	v_bfi_b32 v3, v3, 0, 0
	s_delay_alu instid0(VALU_DEP_1) | instskip(NEXT) | instid1(VALU_DEP_3)
	v_cmp_eq_u64_e64 s13, v[2:3], v[80:81]
	v_mov_b64_e32 v[2:3], v[0:1]
	s_and_saveexec_b32 s74, s13
; %bb.13753:                            ;   in Loop: Header=BB6_12937 Depth=3
	v_bfe_u32 v2, v0, 21, 1
	v_mov_b32_e32 v3, v21
	s_delay_alu instid0(VALU_DEP_1) | instskip(NEXT) | instid1(VALU_DEP_1)
	v_add_nc_u64_e32 v[2:3], v[0:1], v[2:3]
	v_add_nc_u64_e32 v[2:3], -1, v[2:3]
; %bb.13754:                            ;   in Loop: Header=BB6_12937 Depth=3
	s_or_b32 exec_lo, exec_lo, s74
	v_add_nc_u32_e32 v1, 0xffffff81, v4
	v_lshrrev_b32_e32 v3, 23, v0
	s_mov_b32 s13, exec_lo
	s_delay_alu instid0(VALU_DEP_2) | instskip(NEXT) | instid1(VALU_DEP_1)
	v_cndmask_b32_e64 v1, v1, 0xffffff82, vcc_lo
	v_add3_u32 v4, v25, v1, v3
	v_and_b32_e32 v1, 0x1fffff, v2
                                        ; implicit-def: $vgpr2
	s_delay_alu instid0(VALU_DEP_2) | instskip(NEXT) | instid1(VALU_DEP_2)
	v_add_nc_u32_e32 v3, 14, v4
	v_add_nc_u32_e32 v0, v1, v0
	v_mov_b32_e32 v1, v21
	s_delay_alu instid0(VALU_DEP_3)
	v_cmpx_ne_u32_e32 0, v3
	s_xor_b32 s13, exec_lo, s13
; %bb.13755:                            ;   in Loop: Header=BB6_12937 Depth=3
	s_delay_alu instid0(VALU_DEP_2) | instskip(SKIP_1) | instid1(VALU_DEP_1)
	v_cmp_lt_u64_e32 vcc_lo, 0xffffff, v[0:1]
	v_add_nc_u32_e32 v2, 15, v4
	v_cndmask_b32_e32 v2, v3, v2, vcc_lo
	v_cndmask_b32_e64 v3, 0, 1, vcc_lo
	s_delay_alu instid0(VALU_DEP_1)
	v_lshrrev_b64 v[0:1], v3, v[0:1]
; %bb.13756:                            ;   in Loop: Header=BB6_12937 Depth=3
	s_and_not1_saveexec_b32 s13, s13
; %bb.13757:                            ;   in Loop: Header=BB6_12937 Depth=3
	s_delay_alu instid0(VALU_DEP_1)
	v_bfe_u32 v2, v0, 23, 1
; %bb.13758:                            ;   in Loop: Header=BB6_12937 Depth=3
	s_or_b32 exec_lo, exec_lo, s13
	s_delay_alu instid0(VALU_DEP_2) | instskip(NEXT) | instid1(VALU_DEP_2)
	v_lshrrev_b64 v[0:1], 21, v[0:1]
	v_cmp_gt_i32_e32 vcc_lo, 32, v2
	v_cmp_ne_u32_e64 s13, 0, v2
                                        ; implicit-def: $vgpr4
	s_delay_alu instid0(VALU_DEP_3) | instskip(NEXT) | instid1(VALU_DEP_1)
	v_dual_cndmask_b32 v1, 0, v1 :: v_dual_cndmask_b32 v0, 3, v0
	v_cmp_ne_u64_e32 vcc_lo, 0, v[0:1]
	s_or_b32 s13, s13, vcc_lo
	s_delay_alu instid0(SALU_CYCLE_1) | instskip(NEXT) | instid1(SALU_CYCLE_1)
	s_and_saveexec_b32 s74, s13
	s_xor_b32 s13, exec_lo, s74
; %bb.13759:                            ;   in Loop: Header=BB6_12937 Depth=3
	v_min_i32_e32 v1, 31, v2
	s_delay_alu instid0(VALU_DEP_1) | instskip(NEXT) | instid1(VALU_DEP_1)
	v_lshl_or_b32 v1, v1, 2, v5
                                        ; implicit-def: $vgpr5
	v_and_or_b32 v4, v0, 3, v1
; %bb.13760:                            ;   in Loop: Header=BB6_12937 Depth=3
	s_and_not1_saveexec_b32 s13, s13
; %bb.13761:                            ;   in Loop: Header=BB6_12937 Depth=3
	v_mov_b32_e32 v4, v5
; %bb.13762:                            ;   in Loop: Header=BB6_12937 Depth=3
	s_or_b32 exec_lo, exec_lo, s13
.LBB6_13763:                            ;   in Loop: Header=BB6_12937 Depth=3
	s_delay_alu instid0(SALU_CYCLE_1)
	s_or_b32 exec_lo, exec_lo, s73
                                        ; implicit-def: $vgpr5
.LBB6_13764:                            ;   in Loop: Header=BB6_12937 Depth=3
	s_and_not1_saveexec_b32 s13, s72
; %bb.13765:                            ;   in Loop: Header=BB6_12937 Depth=3
	v_or_b32_e32 v4, 0x7b, v5
; %bb.13766:                            ;   in Loop: Header=BB6_12937 Depth=3
	s_or_b32 exec_lo, exec_lo, s13
                                        ; implicit-def: $vgpr2
                                        ; implicit-def: $vgpr0_vgpr1
.LBB6_13767:                            ;   in Loop: Header=BB6_12937 Depth=3
	s_and_not1_saveexec_b32 s13, s43
	s_cbranch_execz .LBB6_13773
; %bb.13768:                            ;   in Loop: Header=BB6_12937 Depth=3
	s_mov_b32 s43, exec_lo
                                        ; implicit-def: $vgpr4
	v_cmpx_ne_u64_e32 0, v[0:1]
	s_xor_b32 s43, exec_lo, s43
; %bb.13769:                            ;   in Loop: Header=BB6_12937 Depth=3
	v_lshrrev_b32_e32 v0, 24, v2
                                        ; implicit-def: $vgpr2
	s_delay_alu instid0(VALU_DEP_1)
	v_or_b32_e32 v4, 0x7f, v0
; %bb.13770:                            ;   in Loop: Header=BB6_12937 Depth=3
	s_and_not1_saveexec_b32 s43, s43
; %bb.13771:                            ;   in Loop: Header=BB6_12937 Depth=3
	v_cmp_lt_i32_e32 vcc_lo, -1, v2
	v_cndmask_b32_e64 v4, -4, 0x7c, vcc_lo
; %bb.13772:                            ;   in Loop: Header=BB6_12937 Depth=3
	s_or_b32 exec_lo, exec_lo, s43
.LBB6_13773:                            ;   in Loop: Header=BB6_12937 Depth=3
	s_delay_alu instid0(SALU_CYCLE_1)
	s_or_b32 exec_lo, exec_lo, s13
	v_dual_mov_b32 v0, 0 :: v_dual_mov_b32 v1, 0
	s_mov_b32 s43, exec_lo
	v_cmpx_ne_u16_e32 0, v30
	s_cbranch_execz .LBB6_13783
; %bb.13774:                            ;   in Loop: Header=BB6_12937 Depth=3
	v_bfrev_b32_e32 v1, 1
	s_mov_b32 s72, exec_lo
	v_cmpx_ne_u16_e32 0xff80, v30
	s_cbranch_execz .LBB6_13782
; %bb.13775:                            ;   in Loop: Header=BB6_12937 Depth=3
	v_and_b32_e32 v1, 0x7c, v30
	v_and_b32_e32 v2, 3, v30
	s_delay_alu instid0(VALU_DEP_2) | instskip(SKIP_1) | instid1(SALU_CYCLE_1)
	v_cmp_ne_u32_e32 vcc_lo, 0x7c, v1
                                        ; implicit-def: $vgpr1
	s_and_saveexec_b32 s13, vcc_lo
	s_xor_b32 s13, exec_lo, s13
	s_cbranch_execz .LBB6_13779
; %bb.13776:                            ;   in Loop: Header=BB6_12937 Depth=3
	v_and_b32_e32 v1, 0xff, v30
	s_mov_b32 s73, exec_lo
	s_delay_alu instid0(VALU_DEP_1) | instskip(NEXT) | instid1(VALU_DEP_1)
	v_bfe_u32 v1, v1, 2, 5
	v_cmpx_eq_u32_e32 0, v1
	s_cbranch_execz .LBB6_13778
; %bb.13777:                            ;   in Loop: Header=BB6_12937 Depth=3
	v_clz_i32_u32_e32 v1, v2
	s_delay_alu instid0(VALU_DEP_1) | instskip(SKIP_1) | instid1(VALU_DEP_2)
	v_min_u32_e32 v1, 32, v1
	v_mov_b32_e32 v31, v21
	v_subrev_nc_u32_e32 v2, 29, v1
	v_sub_nc_u32_e32 v1, 30, v1
	s_delay_alu instid0(VALU_DEP_2) | instskip(NEXT) | instid1(VALU_DEP_1)
	v_lshlrev_b64_e32 v[2:3], v2, v[30:31]
	v_and_b32_e32 v2, 3, v2
.LBB6_13778:                            ;   in Loop: Header=BB6_12937 Depth=3
	s_or_b32 exec_lo, exec_lo, s73
	v_bfe_i32 v3, v30, 0, 16
                                        ; implicit-def: $vgpr30
	s_delay_alu instid0(VALU_DEP_1) | instskip(NEXT) | instid1(VALU_DEP_1)
	v_and_b32_e32 v3, 0x80000000, v3
	v_lshl_add_u32 v1, v1, 23, v3
	s_delay_alu instid0(VALU_DEP_1) | instskip(NEXT) | instid1(VALU_DEP_1)
	v_lshl_or_b32 v1, v2, 21, v1
                                        ; implicit-def: $vgpr2
	v_add_nc_u32_e32 v1, 0x38000000, v1
.LBB6_13779:                            ;   in Loop: Header=BB6_12937 Depth=3
	s_and_not1_saveexec_b32 s73, s13
; %bb.13780:                            ;   in Loop: Header=BB6_12937 Depth=3
	v_cmp_lt_i16_e64 s13, -1, v30
	v_mov_b32_e32 v1, 0x7f800000
	v_cmp_eq_u32_e32 vcc_lo, 0, v2
	s_delay_alu instid0(VALU_DEP_2) | instskip(NEXT) | instid1(VALU_DEP_1)
	v_cndmask_b32_e64 v1, 0xff800000, v1, s13
	v_cndmask_b32_e32 v1, 0x7f800001, v1, vcc_lo
; %bb.13781:                            ;   in Loop: Header=BB6_12937 Depth=3
	s_or_b32 exec_lo, exec_lo, s73
.LBB6_13782:                            ;   in Loop: Header=BB6_12937 Depth=3
	s_delay_alu instid0(SALU_CYCLE_1)
	s_or_b32 exec_lo, exec_lo, s72
.LBB6_13783:                            ;   in Loop: Header=BB6_12937 Depth=3
	s_delay_alu instid0(SALU_CYCLE_1) | instskip(NEXT) | instid1(SALU_CYCLE_1)
	s_or_b32 exec_lo, exec_lo, s43
	s_mov_b32 s43, exec_lo
	v_cmpx_ne_u16_e32 0, v28
	s_cbranch_execz .LBB6_13793
; %bb.13784:                            ;   in Loop: Header=BB6_12937 Depth=3
	v_bfrev_b32_e32 v0, 1
	s_mov_b32 s72, exec_lo
	v_cmpx_ne_u16_e32 0xff80, v28
	s_cbranch_execz .LBB6_13792
; %bb.13785:                            ;   in Loop: Header=BB6_12937 Depth=3
	v_and_b32_e32 v0, 0x7c, v28
	v_and_b32_e32 v2, 3, v28
	s_delay_alu instid0(VALU_DEP_2) | instskip(SKIP_1) | instid1(SALU_CYCLE_1)
	v_cmp_ne_u32_e32 vcc_lo, 0x7c, v0
                                        ; implicit-def: $vgpr0
	s_and_saveexec_b32 s13, vcc_lo
	s_xor_b32 s13, exec_lo, s13
	s_cbranch_execz .LBB6_13789
; %bb.13786:                            ;   in Loop: Header=BB6_12937 Depth=3
	v_and_b32_e32 v0, 0xff, v28
	s_mov_b32 s73, exec_lo
	s_delay_alu instid0(VALU_DEP_1) | instskip(NEXT) | instid1(VALU_DEP_1)
	v_bfe_u32 v0, v0, 2, 5
	v_cmpx_eq_u32_e32 0, v0
	s_cbranch_execz .LBB6_13788
; %bb.13787:                            ;   in Loop: Header=BB6_12937 Depth=3
	v_clz_i32_u32_e32 v0, v2
	s_delay_alu instid0(VALU_DEP_1) | instskip(SKIP_1) | instid1(VALU_DEP_2)
	v_min_u32_e32 v0, 32, v0
	v_mov_b32_e32 v29, v21
	v_subrev_nc_u32_e32 v2, 29, v0
	v_sub_nc_u32_e32 v0, 30, v0
	s_delay_alu instid0(VALU_DEP_2) | instskip(NEXT) | instid1(VALU_DEP_1)
	v_lshlrev_b64_e32 v[2:3], v2, v[28:29]
	v_and_b32_e32 v2, 3, v2
.LBB6_13788:                            ;   in Loop: Header=BB6_12937 Depth=3
	s_or_b32 exec_lo, exec_lo, s73
	v_bfe_i32 v3, v28, 0, 16
                                        ; implicit-def: $vgpr28
	s_delay_alu instid0(VALU_DEP_1) | instskip(NEXT) | instid1(VALU_DEP_1)
	v_and_b32_e32 v3, 0x80000000, v3
	v_lshl_add_u32 v0, v0, 23, v3
	s_delay_alu instid0(VALU_DEP_1) | instskip(NEXT) | instid1(VALU_DEP_1)
	v_lshl_or_b32 v0, v2, 21, v0
                                        ; implicit-def: $vgpr2
	v_add_nc_u32_e32 v0, 0x38000000, v0
.LBB6_13789:                            ;   in Loop: Header=BB6_12937 Depth=3
	s_and_not1_saveexec_b32 s73, s13
; %bb.13790:                            ;   in Loop: Header=BB6_12937 Depth=3
	v_cmp_lt_i16_e64 s13, -1, v28
	v_mov_b32_e32 v0, 0x7f800000
	v_cmp_eq_u32_e32 vcc_lo, 0, v2
	s_delay_alu instid0(VALU_DEP_2) | instskip(NEXT) | instid1(VALU_DEP_1)
	v_cndmask_b32_e64 v0, 0xff800000, v0, s13
	v_cndmask_b32_e32 v0, 0x7f800001, v0, vcc_lo
; %bb.13791:                            ;   in Loop: Header=BB6_12937 Depth=3
	s_or_b32 exec_lo, exec_lo, s73
.LBB6_13792:                            ;   in Loop: Header=BB6_12937 Depth=3
	s_delay_alu instid0(SALU_CYCLE_1)
	s_or_b32 exec_lo, exec_lo, s72
.LBB6_13793:                            ;   in Loop: Header=BB6_12937 Depth=3
	s_delay_alu instid0(SALU_CYCLE_1) | instskip(NEXT) | instid1(VALU_DEP_1)
	s_or_b32 exec_lo, exec_lo, s43
	v_mul_f32_e32 v2, v1, v0
	v_mov_b32_e32 v1, v21
                                        ; implicit-def: $vgpr5
	s_delay_alu instid0(VALU_DEP_2) | instskip(NEXT) | instid1(VALU_DEP_1)
	v_and_b32_e32 v0, 0x7f800000, v2
	v_cmp_ne_u64_e32 vcc_lo, 0x7f800000, v[0:1]
	v_and_b32_e32 v0, 0x7fffff, v2
	s_and_saveexec_b32 s13, vcc_lo
	s_delay_alu instid0(SALU_CYCLE_1)
	s_xor_b32 s43, exec_lo, s13
	s_cbranch_execz .LBB6_13811
; %bb.13794:                            ;   in Loop: Header=BB6_12937 Depth=3
	v_and_b32_e32 v24, 0x7fffffff, v2
	v_dual_mov_b32 v25, v21 :: v_dual_lshrrev_b32 v3, 24, v2
                                        ; implicit-def: $vgpr5
	s_delay_alu instid0(VALU_DEP_1) | instskip(NEXT) | instid1(VALU_DEP_2)
	v_cmp_gt_u64_e32 vcc_lo, 0x47600001, v[24:25]
	v_and_b32_e32 v25, 0x80, v3
	s_and_saveexec_b32 s13, vcc_lo
	s_delay_alu instid0(SALU_CYCLE_1)
	s_xor_b32 s72, exec_lo, s13
	s_cbranch_execz .LBB6_13808
; %bb.13795:                            ;   in Loop: Header=BB6_12937 Depth=3
	v_mov_b32_e32 v5, 0
	s_mov_b32 s73, exec_lo
	v_cmpx_ne_u32_e32 0, v2
	s_cbranch_execz .LBB6_13807
; %bb.13796:                            ;   in Loop: Header=BB6_12937 Depth=3
	v_bfe_u32 v5, v2, 23, 8
	v_or_b32_e32 v3, 0x800000, v0
	s_delay_alu instid0(VALU_DEP_2) | instskip(SKIP_2) | instid1(VALU_DEP_2)
	v_cmp_gt_u32_e64 s13, 0x72, v5
	v_sub_nc_u32_e32 v2, 0x71, v5
	v_cmp_eq_u32_e32 vcc_lo, 0, v5
	v_dual_cndmask_b32 v2, 0, v2, s13 :: v_dual_cndmask_b32 v0, v3, v0, vcc_lo
	s_delay_alu instid0(VALU_DEP_1) | instskip(NEXT) | instid1(VALU_DEP_1)
	v_cndmask_b32_e64 v27, v2, 0x70, vcc_lo
	v_dual_add_nc_u32 v2, 21, v27 :: v_dual_add_nc_u32 v24, 20, v27
	s_delay_alu instid0(VALU_DEP_1) | instskip(NEXT) | instid1(VALU_DEP_2)
	v_lshlrev_b64_e64 v[2:3], v2, -1
	v_lshlrev_b64_e64 v[28:29], v24, 1
	s_delay_alu instid0(VALU_DEP_2) | instskip(SKIP_1) | instid1(VALU_DEP_4)
	v_bfi_b32 v2, v2, 0, v0
	v_lshrrev_b64 v[0:1], v27, v[0:1]
	v_bfi_b32 v3, v3, 0, 0
	s_delay_alu instid0(VALU_DEP_1) | instskip(NEXT) | instid1(VALU_DEP_3)
	v_cmp_eq_u64_e64 s13, v[2:3], v[28:29]
	v_mov_b64_e32 v[2:3], v[0:1]
	s_and_saveexec_b32 s74, s13
; %bb.13797:                            ;   in Loop: Header=BB6_12937 Depth=3
	v_bfe_u32 v2, v0, 21, 1
	v_mov_b32_e32 v3, v21
	s_delay_alu instid0(VALU_DEP_1) | instskip(NEXT) | instid1(VALU_DEP_1)
	v_add_nc_u64_e32 v[2:3], v[0:1], v[2:3]
	v_add_nc_u64_e32 v[2:3], -1, v[2:3]
; %bb.13798:                            ;   in Loop: Header=BB6_12937 Depth=3
	s_or_b32 exec_lo, exec_lo, s74
	v_add_nc_u32_e32 v1, 0xffffff81, v5
	v_lshrrev_b32_e32 v3, 23, v0
	s_mov_b32 s13, exec_lo
	s_delay_alu instid0(VALU_DEP_2) | instskip(NEXT) | instid1(VALU_DEP_1)
	v_cndmask_b32_e64 v1, v1, 0xffffff82, vcc_lo
	v_add3_u32 v5, v27, v1, v3
	v_and_b32_e32 v1, 0x1fffff, v2
                                        ; implicit-def: $vgpr2
	s_delay_alu instid0(VALU_DEP_1) | instskip(SKIP_1) | instid1(VALU_DEP_2)
	v_dual_add_nc_u32 v3, 14, v5 :: v_dual_add_nc_u32 v0, v1, v0
	v_mov_b32_e32 v1, v21
	v_cmpx_ne_u32_e32 0, v3
	s_xor_b32 s13, exec_lo, s13
; %bb.13799:                            ;   in Loop: Header=BB6_12937 Depth=3
	s_delay_alu instid0(VALU_DEP_2) | instskip(SKIP_1) | instid1(VALU_DEP_1)
	v_cmp_lt_u64_e32 vcc_lo, 0xffffff, v[0:1]
	v_add_nc_u32_e32 v2, 15, v5
	v_cndmask_b32_e32 v2, v3, v2, vcc_lo
	v_cndmask_b32_e64 v3, 0, 1, vcc_lo
	s_delay_alu instid0(VALU_DEP_1)
	v_lshrrev_b64 v[0:1], v3, v[0:1]
; %bb.13800:                            ;   in Loop: Header=BB6_12937 Depth=3
	s_and_not1_saveexec_b32 s13, s13
; %bb.13801:                            ;   in Loop: Header=BB6_12937 Depth=3
	s_delay_alu instid0(VALU_DEP_1)
	v_bfe_u32 v2, v0, 23, 1
; %bb.13802:                            ;   in Loop: Header=BB6_12937 Depth=3
	s_or_b32 exec_lo, exec_lo, s13
	s_delay_alu instid0(VALU_DEP_2) | instskip(NEXT) | instid1(VALU_DEP_2)
	v_lshrrev_b64 v[0:1], 21, v[0:1]
	v_cmp_gt_i32_e32 vcc_lo, 32, v2
	v_cmp_ne_u32_e64 s13, 0, v2
                                        ; implicit-def: $vgpr5
	s_delay_alu instid0(VALU_DEP_3) | instskip(NEXT) | instid1(VALU_DEP_1)
	v_dual_cndmask_b32 v1, 0, v1 :: v_dual_cndmask_b32 v0, 3, v0
	v_cmp_ne_u64_e32 vcc_lo, 0, v[0:1]
	s_or_b32 s13, s13, vcc_lo
	s_delay_alu instid0(SALU_CYCLE_1) | instskip(NEXT) | instid1(SALU_CYCLE_1)
	s_and_saveexec_b32 s74, s13
	s_xor_b32 s13, exec_lo, s74
; %bb.13803:                            ;   in Loop: Header=BB6_12937 Depth=3
	v_min_i32_e32 v1, 31, v2
	s_delay_alu instid0(VALU_DEP_1) | instskip(NEXT) | instid1(VALU_DEP_1)
	v_lshl_or_b32 v1, v1, 2, v25
                                        ; implicit-def: $vgpr25
	v_and_or_b32 v5, v0, 3, v1
; %bb.13804:                            ;   in Loop: Header=BB6_12937 Depth=3
	s_and_not1_saveexec_b32 s13, s13
; %bb.13805:                            ;   in Loop: Header=BB6_12937 Depth=3
	v_mov_b32_e32 v5, v25
; %bb.13806:                            ;   in Loop: Header=BB6_12937 Depth=3
	s_or_b32 exec_lo, exec_lo, s13
.LBB6_13807:                            ;   in Loop: Header=BB6_12937 Depth=3
	s_delay_alu instid0(SALU_CYCLE_1)
	s_or_b32 exec_lo, exec_lo, s73
                                        ; implicit-def: $vgpr25
.LBB6_13808:                            ;   in Loop: Header=BB6_12937 Depth=3
	s_and_not1_saveexec_b32 s13, s72
; %bb.13809:                            ;   in Loop: Header=BB6_12937 Depth=3
	v_or_b32_e32 v5, 0x7b, v25
; %bb.13810:                            ;   in Loop: Header=BB6_12937 Depth=3
	s_or_b32 exec_lo, exec_lo, s13
                                        ; implicit-def: $vgpr2
                                        ; implicit-def: $vgpr0_vgpr1
.LBB6_13811:                            ;   in Loop: Header=BB6_12937 Depth=3
	s_and_not1_saveexec_b32 s13, s43
	s_cbranch_execz .LBB6_13817
; %bb.13812:                            ;   in Loop: Header=BB6_12937 Depth=3
	s_mov_b32 s43, exec_lo
                                        ; implicit-def: $vgpr5
	v_cmpx_ne_u64_e32 0, v[0:1]
	s_xor_b32 s43, exec_lo, s43
; %bb.13813:                            ;   in Loop: Header=BB6_12937 Depth=3
	v_lshrrev_b32_e32 v0, 24, v2
                                        ; implicit-def: $vgpr2
	s_delay_alu instid0(VALU_DEP_1)
	v_or_b32_e32 v5, 0x7f, v0
; %bb.13814:                            ;   in Loop: Header=BB6_12937 Depth=3
	s_and_not1_saveexec_b32 s43, s43
; %bb.13815:                            ;   in Loop: Header=BB6_12937 Depth=3
	v_cmp_lt_i32_e32 vcc_lo, -1, v2
	v_cndmask_b32_e64 v5, -4, 0x7c, vcc_lo
; %bb.13816:                            ;   in Loop: Header=BB6_12937 Depth=3
	s_or_b32 exec_lo, exec_lo, s43
.LBB6_13817:                            ;   in Loop: Header=BB6_12937 Depth=3
	s_delay_alu instid0(SALU_CYCLE_1)
	s_or_b32 exec_lo, exec_lo, s13
	v_dual_mov_b32 v0, 0 :: v_dual_mov_b32 v1, 0
	s_mov_b32 s43, exec_lo
	v_cmpx_ne_u16_e32 0, v54
	s_cbranch_execz .LBB6_13827
; %bb.13818:                            ;   in Loop: Header=BB6_12937 Depth=3
	v_bfrev_b32_e32 v1, 1
	s_mov_b32 s72, exec_lo
	v_cmpx_ne_u16_e32 0xff80, v54
	s_cbranch_execz .LBB6_13826
; %bb.13819:                            ;   in Loop: Header=BB6_12937 Depth=3
	v_and_b32_e32 v1, 0x7c, v54
	v_and_b32_e32 v2, 3, v54
	s_delay_alu instid0(VALU_DEP_2) | instskip(SKIP_1) | instid1(SALU_CYCLE_1)
	v_cmp_ne_u32_e32 vcc_lo, 0x7c, v1
                                        ; implicit-def: $vgpr1
	s_and_saveexec_b32 s13, vcc_lo
	s_xor_b32 s13, exec_lo, s13
	s_cbranch_execz .LBB6_13823
; %bb.13820:                            ;   in Loop: Header=BB6_12937 Depth=3
	v_and_b32_e32 v1, 0xff, v54
	s_mov_b32 s73, exec_lo
	s_delay_alu instid0(VALU_DEP_1) | instskip(NEXT) | instid1(VALU_DEP_1)
	v_bfe_u32 v1, v1, 2, 5
	v_cmpx_eq_u32_e32 0, v1
	s_cbranch_execz .LBB6_13822
; %bb.13821:                            ;   in Loop: Header=BB6_12937 Depth=3
	v_clz_i32_u32_e32 v1, v2
	s_delay_alu instid0(VALU_DEP_1) | instskip(SKIP_1) | instid1(VALU_DEP_2)
	v_min_u32_e32 v1, 32, v1
	v_mov_b32_e32 v55, v21
	v_subrev_nc_u32_e32 v2, 29, v1
	v_sub_nc_u32_e32 v1, 30, v1
	s_delay_alu instid0(VALU_DEP_2) | instskip(NEXT) | instid1(VALU_DEP_1)
	v_lshlrev_b64_e32 v[2:3], v2, v[54:55]
	v_and_b32_e32 v2, 3, v2
.LBB6_13822:                            ;   in Loop: Header=BB6_12937 Depth=3
	s_or_b32 exec_lo, exec_lo, s73
	v_bfe_i32 v3, v54, 0, 16
                                        ; implicit-def: $vgpr54
	s_delay_alu instid0(VALU_DEP_1) | instskip(NEXT) | instid1(VALU_DEP_1)
	v_and_b32_e32 v3, 0x80000000, v3
	v_lshl_add_u32 v1, v1, 23, v3
	s_delay_alu instid0(VALU_DEP_1) | instskip(NEXT) | instid1(VALU_DEP_1)
	v_lshl_or_b32 v1, v2, 21, v1
                                        ; implicit-def: $vgpr2
	v_add_nc_u32_e32 v1, 0x38000000, v1
.LBB6_13823:                            ;   in Loop: Header=BB6_12937 Depth=3
	s_and_not1_saveexec_b32 s73, s13
; %bb.13824:                            ;   in Loop: Header=BB6_12937 Depth=3
	v_cmp_lt_i16_e64 s13, -1, v54
	v_mov_b32_e32 v1, 0x7f800000
	v_cmp_eq_u32_e32 vcc_lo, 0, v2
	s_delay_alu instid0(VALU_DEP_2) | instskip(NEXT) | instid1(VALU_DEP_1)
	v_cndmask_b32_e64 v1, 0xff800000, v1, s13
	v_cndmask_b32_e32 v1, 0x7f800001, v1, vcc_lo
; %bb.13825:                            ;   in Loop: Header=BB6_12937 Depth=3
	s_or_b32 exec_lo, exec_lo, s73
.LBB6_13826:                            ;   in Loop: Header=BB6_12937 Depth=3
	s_delay_alu instid0(SALU_CYCLE_1)
	s_or_b32 exec_lo, exec_lo, s72
.LBB6_13827:                            ;   in Loop: Header=BB6_12937 Depth=3
	s_delay_alu instid0(SALU_CYCLE_1) | instskip(NEXT) | instid1(SALU_CYCLE_1)
	s_or_b32 exec_lo, exec_lo, s43
	s_mov_b32 s43, exec_lo
	v_cmpx_ne_u16_e32 0, v52
	s_cbranch_execz .LBB6_13837
; %bb.13828:                            ;   in Loop: Header=BB6_12937 Depth=3
	v_bfrev_b32_e32 v0, 1
	s_mov_b32 s72, exec_lo
	v_cmpx_ne_u16_e32 0xff80, v52
	s_cbranch_execz .LBB6_13836
; %bb.13829:                            ;   in Loop: Header=BB6_12937 Depth=3
	v_and_b32_e32 v0, 0x7c, v52
	v_and_b32_e32 v2, 3, v52
	s_delay_alu instid0(VALU_DEP_2) | instskip(SKIP_1) | instid1(SALU_CYCLE_1)
	v_cmp_ne_u32_e32 vcc_lo, 0x7c, v0
                                        ; implicit-def: $vgpr0
	s_and_saveexec_b32 s13, vcc_lo
	s_xor_b32 s13, exec_lo, s13
	s_cbranch_execz .LBB6_13833
; %bb.13830:                            ;   in Loop: Header=BB6_12937 Depth=3
	v_and_b32_e32 v0, 0xff, v52
	s_mov_b32 s73, exec_lo
	s_delay_alu instid0(VALU_DEP_1) | instskip(NEXT) | instid1(VALU_DEP_1)
	v_bfe_u32 v0, v0, 2, 5
	v_cmpx_eq_u32_e32 0, v0
	s_cbranch_execz .LBB6_13832
; %bb.13831:                            ;   in Loop: Header=BB6_12937 Depth=3
	v_clz_i32_u32_e32 v0, v2
	s_delay_alu instid0(VALU_DEP_1) | instskip(SKIP_1) | instid1(VALU_DEP_2)
	v_min_u32_e32 v0, 32, v0
	v_mov_b32_e32 v53, v21
	v_subrev_nc_u32_e32 v2, 29, v0
	v_sub_nc_u32_e32 v0, 30, v0
	s_delay_alu instid0(VALU_DEP_2) | instskip(NEXT) | instid1(VALU_DEP_1)
	v_lshlrev_b64_e32 v[2:3], v2, v[52:53]
	v_and_b32_e32 v2, 3, v2
.LBB6_13832:                            ;   in Loop: Header=BB6_12937 Depth=3
	s_or_b32 exec_lo, exec_lo, s73
	v_bfe_i32 v3, v52, 0, 16
                                        ; implicit-def: $vgpr52
	s_delay_alu instid0(VALU_DEP_1) | instskip(NEXT) | instid1(VALU_DEP_1)
	v_and_b32_e32 v3, 0x80000000, v3
	v_lshl_add_u32 v0, v0, 23, v3
	s_delay_alu instid0(VALU_DEP_1) | instskip(NEXT) | instid1(VALU_DEP_1)
	v_lshl_or_b32 v0, v2, 21, v0
                                        ; implicit-def: $vgpr2
	v_add_nc_u32_e32 v0, 0x38000000, v0
.LBB6_13833:                            ;   in Loop: Header=BB6_12937 Depth=3
	s_and_not1_saveexec_b32 s73, s13
; %bb.13834:                            ;   in Loop: Header=BB6_12937 Depth=3
	v_cmp_lt_i16_e64 s13, -1, v52
	v_mov_b32_e32 v0, 0x7f800000
	v_cmp_eq_u32_e32 vcc_lo, 0, v2
	s_delay_alu instid0(VALU_DEP_2) | instskip(NEXT) | instid1(VALU_DEP_1)
	v_cndmask_b32_e64 v0, 0xff800000, v0, s13
	v_cndmask_b32_e32 v0, 0x7f800001, v0, vcc_lo
; %bb.13835:                            ;   in Loop: Header=BB6_12937 Depth=3
	s_or_b32 exec_lo, exec_lo, s73
.LBB6_13836:                            ;   in Loop: Header=BB6_12937 Depth=3
	s_delay_alu instid0(SALU_CYCLE_1)
	s_or_b32 exec_lo, exec_lo, s72
.LBB6_13837:                            ;   in Loop: Header=BB6_12937 Depth=3
	s_delay_alu instid0(SALU_CYCLE_1) | instskip(NEXT) | instid1(VALU_DEP_1)
	s_or_b32 exec_lo, exec_lo, s43
	v_mul_f32_e32 v2, v1, v0
	v_mov_b32_e32 v1, v21
                                        ; implicit-def: $vgpr28
	s_delay_alu instid0(VALU_DEP_2) | instskip(NEXT) | instid1(VALU_DEP_1)
	v_and_b32_e32 v0, 0x7f800000, v2
	v_cmp_ne_u64_e32 vcc_lo, 0x7f800000, v[0:1]
	v_and_b32_e32 v0, 0x7fffff, v2
	s_and_saveexec_b32 s13, vcc_lo
	s_delay_alu instid0(SALU_CYCLE_1)
	s_xor_b32 s43, exec_lo, s13
	s_cbranch_execz .LBB6_13855
; %bb.13838:                            ;   in Loop: Header=BB6_12937 Depth=3
	v_and_b32_e32 v24, 0x7fffffff, v2
	v_dual_mov_b32 v25, v21 :: v_dual_lshrrev_b32 v3, 24, v2
                                        ; implicit-def: $vgpr28
	s_delay_alu instid0(VALU_DEP_1) | instskip(NEXT) | instid1(VALU_DEP_2)
	v_cmp_gt_u64_e32 vcc_lo, 0x47600001, v[24:25]
	v_and_b32_e32 v25, 0x80, v3
	s_and_saveexec_b32 s13, vcc_lo
	s_delay_alu instid0(SALU_CYCLE_1)
	s_xor_b32 s72, exec_lo, s13
	s_cbranch_execz .LBB6_13852
; %bb.13839:                            ;   in Loop: Header=BB6_12937 Depth=3
	v_mov_b32_e32 v28, 0
	s_mov_b32 s73, exec_lo
	v_cmpx_ne_u32_e32 0, v2
	s_cbranch_execz .LBB6_13851
; %bb.13840:                            ;   in Loop: Header=BB6_12937 Depth=3
	v_bfe_u32 v27, v2, 23, 8
	v_or_b32_e32 v3, 0x800000, v0
	s_delay_alu instid0(VALU_DEP_2) | instskip(SKIP_2) | instid1(VALU_DEP_2)
	v_cmp_gt_u32_e64 s13, 0x72, v27
	v_sub_nc_u32_e32 v2, 0x71, v27
	v_cmp_eq_u32_e32 vcc_lo, 0, v27
	v_dual_cndmask_b32 v2, 0, v2, s13 :: v_dual_cndmask_b32 v0, v3, v0, vcc_lo
	s_delay_alu instid0(VALU_DEP_1) | instskip(NEXT) | instid1(VALU_DEP_1)
	v_cndmask_b32_e64 v28, v2, 0x70, vcc_lo
	v_dual_add_nc_u32 v2, 21, v28 :: v_dual_add_nc_u32 v24, 20, v28
	s_delay_alu instid0(VALU_DEP_1) | instskip(NEXT) | instid1(VALU_DEP_2)
	v_lshlrev_b64_e64 v[2:3], v2, -1
	v_lshlrev_b64_e64 v[30:31], v24, 1
	s_delay_alu instid0(VALU_DEP_2) | instskip(SKIP_1) | instid1(VALU_DEP_4)
	v_bfi_b32 v2, v2, 0, v0
	v_lshrrev_b64 v[0:1], v28, v[0:1]
	v_bfi_b32 v3, v3, 0, 0
	s_delay_alu instid0(VALU_DEP_1) | instskip(NEXT) | instid1(VALU_DEP_3)
	v_cmp_eq_u64_e64 s13, v[2:3], v[30:31]
	v_mov_b64_e32 v[2:3], v[0:1]
	s_and_saveexec_b32 s74, s13
; %bb.13841:                            ;   in Loop: Header=BB6_12937 Depth=3
	v_bfe_u32 v2, v0, 21, 1
	v_mov_b32_e32 v3, v21
	s_delay_alu instid0(VALU_DEP_1) | instskip(NEXT) | instid1(VALU_DEP_1)
	v_add_nc_u64_e32 v[2:3], v[0:1], v[2:3]
	v_add_nc_u64_e32 v[2:3], -1, v[2:3]
; %bb.13842:                            ;   in Loop: Header=BB6_12937 Depth=3
	s_or_b32 exec_lo, exec_lo, s74
	v_add_nc_u32_e32 v1, 0xffffff81, v27
	v_lshrrev_b32_e32 v3, 23, v0
	s_mov_b32 s13, exec_lo
	s_delay_alu instid0(VALU_DEP_2) | instskip(NEXT) | instid1(VALU_DEP_1)
	v_cndmask_b32_e64 v1, v1, 0xffffff82, vcc_lo
	v_add3_u32 v27, v28, v1, v3
	v_and_b32_e32 v1, 0x1fffff, v2
                                        ; implicit-def: $vgpr2
	s_delay_alu instid0(VALU_DEP_1) | instskip(SKIP_1) | instid1(VALU_DEP_2)
	v_dual_add_nc_u32 v3, 14, v27 :: v_dual_add_nc_u32 v0, v1, v0
	v_mov_b32_e32 v1, v21
	v_cmpx_ne_u32_e32 0, v3
	s_xor_b32 s13, exec_lo, s13
; %bb.13843:                            ;   in Loop: Header=BB6_12937 Depth=3
	s_delay_alu instid0(VALU_DEP_2) | instskip(SKIP_1) | instid1(VALU_DEP_1)
	v_cmp_lt_u64_e32 vcc_lo, 0xffffff, v[0:1]
	v_add_nc_u32_e32 v2, 15, v27
	v_cndmask_b32_e32 v2, v3, v2, vcc_lo
	v_cndmask_b32_e64 v3, 0, 1, vcc_lo
	s_delay_alu instid0(VALU_DEP_1)
	v_lshrrev_b64 v[0:1], v3, v[0:1]
; %bb.13844:                            ;   in Loop: Header=BB6_12937 Depth=3
	s_and_not1_saveexec_b32 s13, s13
; %bb.13845:                            ;   in Loop: Header=BB6_12937 Depth=3
	s_delay_alu instid0(VALU_DEP_1)
	v_bfe_u32 v2, v0, 23, 1
; %bb.13846:                            ;   in Loop: Header=BB6_12937 Depth=3
	s_or_b32 exec_lo, exec_lo, s13
	s_delay_alu instid0(VALU_DEP_2) | instskip(NEXT) | instid1(VALU_DEP_2)
	v_lshrrev_b64 v[0:1], 21, v[0:1]
	v_cmp_gt_i32_e32 vcc_lo, 32, v2
	v_cmp_ne_u32_e64 s13, 0, v2
                                        ; implicit-def: $vgpr28
	s_delay_alu instid0(VALU_DEP_3) | instskip(NEXT) | instid1(VALU_DEP_1)
	v_dual_cndmask_b32 v1, 0, v1 :: v_dual_cndmask_b32 v0, 3, v0
	v_cmp_ne_u64_e32 vcc_lo, 0, v[0:1]
	s_or_b32 s13, s13, vcc_lo
	s_delay_alu instid0(SALU_CYCLE_1) | instskip(NEXT) | instid1(SALU_CYCLE_1)
	s_and_saveexec_b32 s74, s13
	s_xor_b32 s13, exec_lo, s74
; %bb.13847:                            ;   in Loop: Header=BB6_12937 Depth=3
	v_min_i32_e32 v1, 31, v2
	s_delay_alu instid0(VALU_DEP_1) | instskip(NEXT) | instid1(VALU_DEP_1)
	v_lshl_or_b32 v1, v1, 2, v25
                                        ; implicit-def: $vgpr25
	v_and_or_b32 v28, v0, 3, v1
; %bb.13848:                            ;   in Loop: Header=BB6_12937 Depth=3
	s_and_not1_saveexec_b32 s13, s13
; %bb.13849:                            ;   in Loop: Header=BB6_12937 Depth=3
	v_mov_b32_e32 v28, v25
; %bb.13850:                            ;   in Loop: Header=BB6_12937 Depth=3
	s_or_b32 exec_lo, exec_lo, s13
.LBB6_13851:                            ;   in Loop: Header=BB6_12937 Depth=3
	s_delay_alu instid0(SALU_CYCLE_1)
	s_or_b32 exec_lo, exec_lo, s73
                                        ; implicit-def: $vgpr25
.LBB6_13852:                            ;   in Loop: Header=BB6_12937 Depth=3
	s_and_not1_saveexec_b32 s13, s72
; %bb.13853:                            ;   in Loop: Header=BB6_12937 Depth=3
	v_or_b32_e32 v28, 0x7b, v25
; %bb.13854:                            ;   in Loop: Header=BB6_12937 Depth=3
	s_or_b32 exec_lo, exec_lo, s13
                                        ; implicit-def: $vgpr2
                                        ; implicit-def: $vgpr0_vgpr1
.LBB6_13855:                            ;   in Loop: Header=BB6_12937 Depth=3
	s_and_not1_saveexec_b32 s13, s43
	s_cbranch_execz .LBB6_13861
; %bb.13856:                            ;   in Loop: Header=BB6_12937 Depth=3
	s_mov_b32 s43, exec_lo
                                        ; implicit-def: $vgpr28
	v_cmpx_ne_u64_e32 0, v[0:1]
	s_xor_b32 s43, exec_lo, s43
; %bb.13857:                            ;   in Loop: Header=BB6_12937 Depth=3
	v_lshrrev_b32_e32 v0, 24, v2
                                        ; implicit-def: $vgpr2
	s_delay_alu instid0(VALU_DEP_1)
	v_or_b32_e32 v28, 0x7f, v0
; %bb.13858:                            ;   in Loop: Header=BB6_12937 Depth=3
	s_and_not1_saveexec_b32 s43, s43
; %bb.13859:                            ;   in Loop: Header=BB6_12937 Depth=3
	v_cmp_lt_i32_e32 vcc_lo, -1, v2
	v_cndmask_b32_e64 v28, -4, 0x7c, vcc_lo
; %bb.13860:                            ;   in Loop: Header=BB6_12937 Depth=3
	s_or_b32 exec_lo, exec_lo, s43
.LBB6_13861:                            ;   in Loop: Header=BB6_12937 Depth=3
	s_delay_alu instid0(SALU_CYCLE_1)
	s_or_b32 exec_lo, exec_lo, s13
	v_dual_mov_b32 v0, 0 :: v_dual_mov_b32 v1, 0
	s_mov_b32 s43, exec_lo
	v_cmpx_ne_u16_e32 0, v120
	s_cbranch_execz .LBB6_13871
; %bb.13862:                            ;   in Loop: Header=BB6_12937 Depth=3
	v_bfrev_b32_e32 v1, 1
	s_mov_b32 s72, exec_lo
	v_cmpx_ne_u16_e32 0xff80, v120
	s_cbranch_execz .LBB6_13870
; %bb.13863:                            ;   in Loop: Header=BB6_12937 Depth=3
	v_and_b32_e32 v1, 0x7c, v120
	v_and_b32_e32 v2, 3, v120
	s_delay_alu instid0(VALU_DEP_2) | instskip(SKIP_1) | instid1(SALU_CYCLE_1)
	v_cmp_ne_u32_e32 vcc_lo, 0x7c, v1
                                        ; implicit-def: $vgpr1
	s_and_saveexec_b32 s13, vcc_lo
	s_xor_b32 s13, exec_lo, s13
	s_cbranch_execz .LBB6_13867
; %bb.13864:                            ;   in Loop: Header=BB6_12937 Depth=3
	v_and_b32_e32 v1, 0xff, v120
	s_mov_b32 s73, exec_lo
	s_delay_alu instid0(VALU_DEP_1) | instskip(NEXT) | instid1(VALU_DEP_1)
	v_bfe_u32 v1, v1, 2, 5
	v_cmpx_eq_u32_e32 0, v1
	s_cbranch_execz .LBB6_13866
; %bb.13865:                            ;   in Loop: Header=BB6_12937 Depth=3
	v_clz_i32_u32_e32 v1, v2
	s_delay_alu instid0(VALU_DEP_1) | instskip(SKIP_1) | instid1(VALU_DEP_2)
	v_min_u32_e32 v1, 32, v1
	v_mov_b32_e32 v121, v21
	v_subrev_nc_u32_e32 v2, 29, v1
	v_sub_nc_u32_e32 v1, 30, v1
	s_delay_alu instid0(VALU_DEP_2) | instskip(NEXT) | instid1(VALU_DEP_1)
	v_lshlrev_b64_e32 v[2:3], v2, v[120:121]
	v_and_b32_e32 v2, 3, v2
.LBB6_13866:                            ;   in Loop: Header=BB6_12937 Depth=3
	s_or_b32 exec_lo, exec_lo, s73
	v_bfe_i32 v3, v120, 0, 16
                                        ; implicit-def: $vgpr120
	s_delay_alu instid0(VALU_DEP_1) | instskip(NEXT) | instid1(VALU_DEP_1)
	v_and_b32_e32 v3, 0x80000000, v3
	v_lshl_add_u32 v1, v1, 23, v3
	s_delay_alu instid0(VALU_DEP_1) | instskip(NEXT) | instid1(VALU_DEP_1)
	v_lshl_or_b32 v1, v2, 21, v1
                                        ; implicit-def: $vgpr2
	v_add_nc_u32_e32 v1, 0x38000000, v1
.LBB6_13867:                            ;   in Loop: Header=BB6_12937 Depth=3
	s_and_not1_saveexec_b32 s73, s13
; %bb.13868:                            ;   in Loop: Header=BB6_12937 Depth=3
	v_cmp_lt_i16_e64 s13, -1, v120
	v_mov_b32_e32 v1, 0x7f800000
	v_cmp_eq_u32_e32 vcc_lo, 0, v2
	s_delay_alu instid0(VALU_DEP_2) | instskip(NEXT) | instid1(VALU_DEP_1)
	v_cndmask_b32_e64 v1, 0xff800000, v1, s13
	v_cndmask_b32_e32 v1, 0x7f800001, v1, vcc_lo
; %bb.13869:                            ;   in Loop: Header=BB6_12937 Depth=3
	s_or_b32 exec_lo, exec_lo, s73
.LBB6_13870:                            ;   in Loop: Header=BB6_12937 Depth=3
	s_delay_alu instid0(SALU_CYCLE_1)
	s_or_b32 exec_lo, exec_lo, s72
.LBB6_13871:                            ;   in Loop: Header=BB6_12937 Depth=3
	s_delay_alu instid0(SALU_CYCLE_1) | instskip(NEXT) | instid1(SALU_CYCLE_1)
	s_or_b32 exec_lo, exec_lo, s43
	s_mov_b32 s43, exec_lo
	v_cmpx_ne_u16_e32 0, v110
	s_cbranch_execz .LBB6_13881
; %bb.13872:                            ;   in Loop: Header=BB6_12937 Depth=3
	v_bfrev_b32_e32 v0, 1
	s_mov_b32 s72, exec_lo
	v_cmpx_ne_u16_e32 0xff80, v110
	s_cbranch_execz .LBB6_13880
; %bb.13873:                            ;   in Loop: Header=BB6_12937 Depth=3
	v_and_b32_e32 v0, 0x7c, v110
	v_and_b32_e32 v2, 3, v110
	s_delay_alu instid0(VALU_DEP_2) | instskip(SKIP_1) | instid1(SALU_CYCLE_1)
	v_cmp_ne_u32_e32 vcc_lo, 0x7c, v0
                                        ; implicit-def: $vgpr0
	s_and_saveexec_b32 s13, vcc_lo
	s_xor_b32 s13, exec_lo, s13
	s_cbranch_execz .LBB6_13877
; %bb.13874:                            ;   in Loop: Header=BB6_12937 Depth=3
	v_and_b32_e32 v0, 0xff, v110
	s_mov_b32 s73, exec_lo
	s_delay_alu instid0(VALU_DEP_1) | instskip(NEXT) | instid1(VALU_DEP_1)
	v_bfe_u32 v0, v0, 2, 5
	v_cmpx_eq_u32_e32 0, v0
	s_cbranch_execz .LBB6_13876
; %bb.13875:                            ;   in Loop: Header=BB6_12937 Depth=3
	v_clz_i32_u32_e32 v0, v2
	s_delay_alu instid0(VALU_DEP_1) | instskip(SKIP_1) | instid1(VALU_DEP_2)
	v_min_u32_e32 v0, 32, v0
	v_mov_b32_e32 v111, v21
	v_subrev_nc_u32_e32 v2, 29, v0
	v_sub_nc_u32_e32 v0, 30, v0
	s_delay_alu instid0(VALU_DEP_2) | instskip(NEXT) | instid1(VALU_DEP_1)
	v_lshlrev_b64_e32 v[2:3], v2, v[110:111]
	v_and_b32_e32 v2, 3, v2
.LBB6_13876:                            ;   in Loop: Header=BB6_12937 Depth=3
	s_or_b32 exec_lo, exec_lo, s73
	v_bfe_i32 v3, v110, 0, 16
                                        ; implicit-def: $vgpr110
	s_delay_alu instid0(VALU_DEP_1) | instskip(NEXT) | instid1(VALU_DEP_1)
	v_and_b32_e32 v3, 0x80000000, v3
	v_lshl_add_u32 v0, v0, 23, v3
	s_delay_alu instid0(VALU_DEP_1) | instskip(NEXT) | instid1(VALU_DEP_1)
	v_lshl_or_b32 v0, v2, 21, v0
                                        ; implicit-def: $vgpr2
	v_add_nc_u32_e32 v0, 0x38000000, v0
.LBB6_13877:                            ;   in Loop: Header=BB6_12937 Depth=3
	s_and_not1_saveexec_b32 s73, s13
; %bb.13878:                            ;   in Loop: Header=BB6_12937 Depth=3
	v_cmp_lt_i16_e64 s13, -1, v110
	v_mov_b32_e32 v0, 0x7f800000
	v_cmp_eq_u32_e32 vcc_lo, 0, v2
	s_delay_alu instid0(VALU_DEP_2) | instskip(NEXT) | instid1(VALU_DEP_1)
	v_cndmask_b32_e64 v0, 0xff800000, v0, s13
	v_cndmask_b32_e32 v0, 0x7f800001, v0, vcc_lo
; %bb.13879:                            ;   in Loop: Header=BB6_12937 Depth=3
	s_or_b32 exec_lo, exec_lo, s73
.LBB6_13880:                            ;   in Loop: Header=BB6_12937 Depth=3
	s_delay_alu instid0(SALU_CYCLE_1)
	s_or_b32 exec_lo, exec_lo, s72
.LBB6_13881:                            ;   in Loop: Header=BB6_12937 Depth=3
	s_delay_alu instid0(SALU_CYCLE_1) | instskip(NEXT) | instid1(VALU_DEP_1)
	s_or_b32 exec_lo, exec_lo, s43
	v_mul_f32_e32 v2, v1, v0
	v_mov_b32_e32 v1, v21
                                        ; implicit-def: $vgpr29
	s_delay_alu instid0(VALU_DEP_2) | instskip(NEXT) | instid1(VALU_DEP_1)
	v_and_b32_e32 v0, 0x7f800000, v2
	v_cmp_ne_u64_e32 vcc_lo, 0x7f800000, v[0:1]
	v_and_b32_e32 v0, 0x7fffff, v2
	s_and_saveexec_b32 s13, vcc_lo
	s_delay_alu instid0(SALU_CYCLE_1)
	s_xor_b32 s43, exec_lo, s13
	s_cbranch_execz .LBB6_13899
; %bb.13882:                            ;   in Loop: Header=BB6_12937 Depth=3
	v_and_b32_e32 v24, 0x7fffffff, v2
	v_dual_mov_b32 v25, v21 :: v_dual_lshrrev_b32 v3, 24, v2
                                        ; implicit-def: $vgpr29
	s_delay_alu instid0(VALU_DEP_1) | instskip(NEXT) | instid1(VALU_DEP_2)
	v_cmp_gt_u64_e32 vcc_lo, 0x47600001, v[24:25]
	v_and_b32_e32 v25, 0x80, v3
	s_and_saveexec_b32 s13, vcc_lo
	s_delay_alu instid0(SALU_CYCLE_1)
	s_xor_b32 s72, exec_lo, s13
	s_cbranch_execz .LBB6_13896
; %bb.13883:                            ;   in Loop: Header=BB6_12937 Depth=3
	v_mov_b32_e32 v29, 0
	s_mov_b32 s73, exec_lo
	v_cmpx_ne_u32_e32 0, v2
	s_cbranch_execz .LBB6_13895
; %bb.13884:                            ;   in Loop: Header=BB6_12937 Depth=3
	v_bfe_u32 v27, v2, 23, 8
	v_or_b32_e32 v3, 0x800000, v0
	s_delay_alu instid0(VALU_DEP_2) | instskip(SKIP_2) | instid1(VALU_DEP_2)
	v_cmp_gt_u32_e64 s13, 0x72, v27
	v_sub_nc_u32_e32 v2, 0x71, v27
	v_cmp_eq_u32_e32 vcc_lo, 0, v27
	v_dual_cndmask_b32 v2, 0, v2, s13 :: v_dual_cndmask_b32 v0, v3, v0, vcc_lo
	s_delay_alu instid0(VALU_DEP_1) | instskip(NEXT) | instid1(VALU_DEP_1)
	v_cndmask_b32_e64 v29, v2, 0x70, vcc_lo
	v_dual_add_nc_u32 v2, 21, v29 :: v_dual_add_nc_u32 v24, 20, v29
	s_delay_alu instid0(VALU_DEP_1) | instskip(NEXT) | instid1(VALU_DEP_2)
	v_lshlrev_b64_e64 v[2:3], v2, -1
	v_lshlrev_b64_e64 v[30:31], v24, 1
	s_delay_alu instid0(VALU_DEP_2) | instskip(SKIP_1) | instid1(VALU_DEP_4)
	v_bfi_b32 v2, v2, 0, v0
	v_lshrrev_b64 v[0:1], v29, v[0:1]
	v_bfi_b32 v3, v3, 0, 0
	s_delay_alu instid0(VALU_DEP_1) | instskip(NEXT) | instid1(VALU_DEP_3)
	v_cmp_eq_u64_e64 s13, v[2:3], v[30:31]
	v_mov_b64_e32 v[2:3], v[0:1]
	s_and_saveexec_b32 s74, s13
; %bb.13885:                            ;   in Loop: Header=BB6_12937 Depth=3
	v_bfe_u32 v2, v0, 21, 1
	v_mov_b32_e32 v3, v21
	s_delay_alu instid0(VALU_DEP_1) | instskip(NEXT) | instid1(VALU_DEP_1)
	v_add_nc_u64_e32 v[2:3], v[0:1], v[2:3]
	v_add_nc_u64_e32 v[2:3], -1, v[2:3]
; %bb.13886:                            ;   in Loop: Header=BB6_12937 Depth=3
	s_or_b32 exec_lo, exec_lo, s74
	v_add_nc_u32_e32 v1, 0xffffff81, v27
	v_lshrrev_b32_e32 v3, 23, v0
	s_mov_b32 s13, exec_lo
	s_delay_alu instid0(VALU_DEP_2) | instskip(NEXT) | instid1(VALU_DEP_1)
	v_cndmask_b32_e64 v1, v1, 0xffffff82, vcc_lo
	v_add3_u32 v27, v29, v1, v3
	v_and_b32_e32 v1, 0x1fffff, v2
                                        ; implicit-def: $vgpr2
	s_delay_alu instid0(VALU_DEP_1) | instskip(SKIP_1) | instid1(VALU_DEP_2)
	v_dual_add_nc_u32 v3, 14, v27 :: v_dual_add_nc_u32 v0, v1, v0
	v_mov_b32_e32 v1, v21
	v_cmpx_ne_u32_e32 0, v3
	s_xor_b32 s13, exec_lo, s13
; %bb.13887:                            ;   in Loop: Header=BB6_12937 Depth=3
	s_delay_alu instid0(VALU_DEP_2) | instskip(SKIP_1) | instid1(VALU_DEP_1)
	v_cmp_lt_u64_e32 vcc_lo, 0xffffff, v[0:1]
	v_add_nc_u32_e32 v2, 15, v27
	v_cndmask_b32_e32 v2, v3, v2, vcc_lo
	v_cndmask_b32_e64 v3, 0, 1, vcc_lo
	s_delay_alu instid0(VALU_DEP_1)
	v_lshrrev_b64 v[0:1], v3, v[0:1]
; %bb.13888:                            ;   in Loop: Header=BB6_12937 Depth=3
	s_and_not1_saveexec_b32 s13, s13
; %bb.13889:                            ;   in Loop: Header=BB6_12937 Depth=3
	s_delay_alu instid0(VALU_DEP_1)
	v_bfe_u32 v2, v0, 23, 1
; %bb.13890:                            ;   in Loop: Header=BB6_12937 Depth=3
	s_or_b32 exec_lo, exec_lo, s13
	s_delay_alu instid0(VALU_DEP_2) | instskip(NEXT) | instid1(VALU_DEP_2)
	v_lshrrev_b64 v[0:1], 21, v[0:1]
	v_cmp_gt_i32_e32 vcc_lo, 32, v2
	v_cmp_ne_u32_e64 s13, 0, v2
                                        ; implicit-def: $vgpr29
	s_delay_alu instid0(VALU_DEP_3) | instskip(NEXT) | instid1(VALU_DEP_1)
	v_dual_cndmask_b32 v1, 0, v1 :: v_dual_cndmask_b32 v0, 3, v0
	v_cmp_ne_u64_e32 vcc_lo, 0, v[0:1]
	s_or_b32 s13, s13, vcc_lo
	s_delay_alu instid0(SALU_CYCLE_1) | instskip(NEXT) | instid1(SALU_CYCLE_1)
	s_and_saveexec_b32 s74, s13
	s_xor_b32 s13, exec_lo, s74
; %bb.13891:                            ;   in Loop: Header=BB6_12937 Depth=3
	v_min_i32_e32 v1, 31, v2
	s_delay_alu instid0(VALU_DEP_1) | instskip(NEXT) | instid1(VALU_DEP_1)
	v_lshl_or_b32 v1, v1, 2, v25
                                        ; implicit-def: $vgpr25
	v_and_or_b32 v29, v0, 3, v1
; %bb.13892:                            ;   in Loop: Header=BB6_12937 Depth=3
	s_and_not1_saveexec_b32 s13, s13
; %bb.13893:                            ;   in Loop: Header=BB6_12937 Depth=3
	v_mov_b32_e32 v29, v25
; %bb.13894:                            ;   in Loop: Header=BB6_12937 Depth=3
	s_or_b32 exec_lo, exec_lo, s13
.LBB6_13895:                            ;   in Loop: Header=BB6_12937 Depth=3
	s_delay_alu instid0(SALU_CYCLE_1)
	s_or_b32 exec_lo, exec_lo, s73
                                        ; implicit-def: $vgpr25
.LBB6_13896:                            ;   in Loop: Header=BB6_12937 Depth=3
	s_and_not1_saveexec_b32 s13, s72
; %bb.13897:                            ;   in Loop: Header=BB6_12937 Depth=3
	v_or_b32_e32 v29, 0x7b, v25
; %bb.13898:                            ;   in Loop: Header=BB6_12937 Depth=3
	s_or_b32 exec_lo, exec_lo, s13
                                        ; implicit-def: $vgpr2
                                        ; implicit-def: $vgpr0_vgpr1
.LBB6_13899:                            ;   in Loop: Header=BB6_12937 Depth=3
	s_and_not1_saveexec_b32 s13, s43
	s_cbranch_execz .LBB6_13905
; %bb.13900:                            ;   in Loop: Header=BB6_12937 Depth=3
	s_mov_b32 s43, exec_lo
                                        ; implicit-def: $vgpr29
	v_cmpx_ne_u64_e32 0, v[0:1]
	s_xor_b32 s43, exec_lo, s43
; %bb.13901:                            ;   in Loop: Header=BB6_12937 Depth=3
	v_lshrrev_b32_e32 v0, 24, v2
                                        ; implicit-def: $vgpr2
	s_delay_alu instid0(VALU_DEP_1)
	v_or_b32_e32 v29, 0x7f, v0
; %bb.13902:                            ;   in Loop: Header=BB6_12937 Depth=3
	s_and_not1_saveexec_b32 s43, s43
; %bb.13903:                            ;   in Loop: Header=BB6_12937 Depth=3
	v_cmp_lt_i32_e32 vcc_lo, -1, v2
	v_cndmask_b32_e64 v29, -4, 0x7c, vcc_lo
; %bb.13904:                            ;   in Loop: Header=BB6_12937 Depth=3
	s_or_b32 exec_lo, exec_lo, s43
.LBB6_13905:                            ;   in Loop: Header=BB6_12937 Depth=3
	s_delay_alu instid0(SALU_CYCLE_1)
	s_or_b32 exec_lo, exec_lo, s13
	v_dual_mov_b32 v0, 0 :: v_dual_mov_b32 v1, 0
	s_mov_b32 s43, exec_lo
	v_cmpx_ne_u16_e32 0, v108
	s_cbranch_execz .LBB6_13915
; %bb.13906:                            ;   in Loop: Header=BB6_12937 Depth=3
	v_bfrev_b32_e32 v1, 1
	s_mov_b32 s72, exec_lo
	v_cmpx_ne_u16_e32 0xff80, v108
	s_cbranch_execz .LBB6_13914
; %bb.13907:                            ;   in Loop: Header=BB6_12937 Depth=3
	v_and_b32_e32 v1, 0x7c, v108
	v_and_b32_e32 v2, 3, v108
	s_delay_alu instid0(VALU_DEP_2) | instskip(SKIP_1) | instid1(SALU_CYCLE_1)
	v_cmp_ne_u32_e32 vcc_lo, 0x7c, v1
                                        ; implicit-def: $vgpr1
	s_and_saveexec_b32 s13, vcc_lo
	s_xor_b32 s13, exec_lo, s13
	s_cbranch_execz .LBB6_13911
; %bb.13908:                            ;   in Loop: Header=BB6_12937 Depth=3
	v_and_b32_e32 v1, 0xff, v108
	s_mov_b32 s73, exec_lo
	s_delay_alu instid0(VALU_DEP_1) | instskip(NEXT) | instid1(VALU_DEP_1)
	v_bfe_u32 v1, v1, 2, 5
	v_cmpx_eq_u32_e32 0, v1
	s_cbranch_execz .LBB6_13910
; %bb.13909:                            ;   in Loop: Header=BB6_12937 Depth=3
	v_clz_i32_u32_e32 v1, v2
	s_delay_alu instid0(VALU_DEP_1) | instskip(SKIP_1) | instid1(VALU_DEP_2)
	v_min_u32_e32 v1, 32, v1
	v_mov_b32_e32 v109, v21
	v_subrev_nc_u32_e32 v2, 29, v1
	v_sub_nc_u32_e32 v1, 30, v1
	s_delay_alu instid0(VALU_DEP_2) | instskip(NEXT) | instid1(VALU_DEP_1)
	v_lshlrev_b64_e32 v[2:3], v2, v[108:109]
	v_and_b32_e32 v2, 3, v2
.LBB6_13910:                            ;   in Loop: Header=BB6_12937 Depth=3
	s_or_b32 exec_lo, exec_lo, s73
	v_bfe_i32 v3, v108, 0, 16
                                        ; implicit-def: $vgpr108
	s_delay_alu instid0(VALU_DEP_1) | instskip(NEXT) | instid1(VALU_DEP_1)
	v_and_b32_e32 v3, 0x80000000, v3
	v_lshl_add_u32 v1, v1, 23, v3
	s_delay_alu instid0(VALU_DEP_1) | instskip(NEXT) | instid1(VALU_DEP_1)
	v_lshl_or_b32 v1, v2, 21, v1
                                        ; implicit-def: $vgpr2
	v_add_nc_u32_e32 v1, 0x38000000, v1
.LBB6_13911:                            ;   in Loop: Header=BB6_12937 Depth=3
	s_and_not1_saveexec_b32 s73, s13
; %bb.13912:                            ;   in Loop: Header=BB6_12937 Depth=3
	v_cmp_lt_i16_e64 s13, -1, v108
	v_mov_b32_e32 v1, 0x7f800000
	v_cmp_eq_u32_e32 vcc_lo, 0, v2
	s_delay_alu instid0(VALU_DEP_2) | instskip(NEXT) | instid1(VALU_DEP_1)
	v_cndmask_b32_e64 v1, 0xff800000, v1, s13
	v_cndmask_b32_e32 v1, 0x7f800001, v1, vcc_lo
; %bb.13913:                            ;   in Loop: Header=BB6_12937 Depth=3
	s_or_b32 exec_lo, exec_lo, s73
.LBB6_13914:                            ;   in Loop: Header=BB6_12937 Depth=3
	s_delay_alu instid0(SALU_CYCLE_1)
	s_or_b32 exec_lo, exec_lo, s72
.LBB6_13915:                            ;   in Loop: Header=BB6_12937 Depth=3
	s_delay_alu instid0(SALU_CYCLE_1) | instskip(NEXT) | instid1(SALU_CYCLE_1)
	s_or_b32 exec_lo, exec_lo, s43
	s_mov_b32 s43, exec_lo
	v_cmpx_ne_u16_e32 0, v106
	s_cbranch_execz .LBB6_13925
; %bb.13916:                            ;   in Loop: Header=BB6_12937 Depth=3
	v_bfrev_b32_e32 v0, 1
	s_mov_b32 s72, exec_lo
	v_cmpx_ne_u16_e32 0xff80, v106
	s_cbranch_execz .LBB6_13924
; %bb.13917:                            ;   in Loop: Header=BB6_12937 Depth=3
	v_and_b32_e32 v0, 0x7c, v106
	v_and_b32_e32 v2, 3, v106
	s_delay_alu instid0(VALU_DEP_2) | instskip(SKIP_1) | instid1(SALU_CYCLE_1)
	v_cmp_ne_u32_e32 vcc_lo, 0x7c, v0
                                        ; implicit-def: $vgpr0
	s_and_saveexec_b32 s13, vcc_lo
	s_xor_b32 s13, exec_lo, s13
	s_cbranch_execz .LBB6_13921
; %bb.13918:                            ;   in Loop: Header=BB6_12937 Depth=3
	v_and_b32_e32 v0, 0xff, v106
	s_mov_b32 s73, exec_lo
	s_delay_alu instid0(VALU_DEP_1) | instskip(NEXT) | instid1(VALU_DEP_1)
	v_bfe_u32 v0, v0, 2, 5
	v_cmpx_eq_u32_e32 0, v0
	s_cbranch_execz .LBB6_13920
; %bb.13919:                            ;   in Loop: Header=BB6_12937 Depth=3
	v_clz_i32_u32_e32 v0, v2
	s_delay_alu instid0(VALU_DEP_1) | instskip(SKIP_1) | instid1(VALU_DEP_2)
	v_min_u32_e32 v0, 32, v0
	v_mov_b32_e32 v107, v21
	v_subrev_nc_u32_e32 v2, 29, v0
	v_sub_nc_u32_e32 v0, 30, v0
	s_delay_alu instid0(VALU_DEP_2) | instskip(NEXT) | instid1(VALU_DEP_1)
	v_lshlrev_b64_e32 v[2:3], v2, v[106:107]
	v_and_b32_e32 v2, 3, v2
.LBB6_13920:                            ;   in Loop: Header=BB6_12937 Depth=3
	s_or_b32 exec_lo, exec_lo, s73
	v_bfe_i32 v3, v106, 0, 16
                                        ; implicit-def: $vgpr106
	s_delay_alu instid0(VALU_DEP_1) | instskip(NEXT) | instid1(VALU_DEP_1)
	v_and_b32_e32 v3, 0x80000000, v3
	v_lshl_add_u32 v0, v0, 23, v3
	s_delay_alu instid0(VALU_DEP_1) | instskip(NEXT) | instid1(VALU_DEP_1)
	v_lshl_or_b32 v0, v2, 21, v0
                                        ; implicit-def: $vgpr2
	v_add_nc_u32_e32 v0, 0x38000000, v0
.LBB6_13921:                            ;   in Loop: Header=BB6_12937 Depth=3
	s_and_not1_saveexec_b32 s73, s13
; %bb.13922:                            ;   in Loop: Header=BB6_12937 Depth=3
	v_cmp_lt_i16_e64 s13, -1, v106
	v_mov_b32_e32 v0, 0x7f800000
	v_cmp_eq_u32_e32 vcc_lo, 0, v2
	s_delay_alu instid0(VALU_DEP_2) | instskip(NEXT) | instid1(VALU_DEP_1)
	v_cndmask_b32_e64 v0, 0xff800000, v0, s13
	v_cndmask_b32_e32 v0, 0x7f800001, v0, vcc_lo
; %bb.13923:                            ;   in Loop: Header=BB6_12937 Depth=3
	s_or_b32 exec_lo, exec_lo, s73
.LBB6_13924:                            ;   in Loop: Header=BB6_12937 Depth=3
	s_delay_alu instid0(SALU_CYCLE_1)
	s_or_b32 exec_lo, exec_lo, s72
.LBB6_13925:                            ;   in Loop: Header=BB6_12937 Depth=3
	s_delay_alu instid0(SALU_CYCLE_1) | instskip(NEXT) | instid1(VALU_DEP_1)
	s_or_b32 exec_lo, exec_lo, s43
	v_mul_f32_e32 v2, v1, v0
	v_mov_b32_e32 v1, v21
                                        ; implicit-def: $vgpr30
	s_delay_alu instid0(VALU_DEP_2) | instskip(NEXT) | instid1(VALU_DEP_1)
	v_and_b32_e32 v0, 0x7f800000, v2
	v_cmp_ne_u64_e32 vcc_lo, 0x7f800000, v[0:1]
	v_and_b32_e32 v0, 0x7fffff, v2
	s_and_saveexec_b32 s13, vcc_lo
	s_delay_alu instid0(SALU_CYCLE_1)
	s_xor_b32 s43, exec_lo, s13
	s_cbranch_execz .LBB6_13943
; %bb.13926:                            ;   in Loop: Header=BB6_12937 Depth=3
	v_and_b32_e32 v24, 0x7fffffff, v2
	v_dual_mov_b32 v25, v21 :: v_dual_lshrrev_b32 v3, 24, v2
                                        ; implicit-def: $vgpr30
	s_delay_alu instid0(VALU_DEP_1) | instskip(NEXT) | instid1(VALU_DEP_2)
	v_cmp_gt_u64_e32 vcc_lo, 0x47600001, v[24:25]
	v_and_b32_e32 v25, 0x80, v3
	s_and_saveexec_b32 s13, vcc_lo
	s_delay_alu instid0(SALU_CYCLE_1)
	s_xor_b32 s72, exec_lo, s13
	s_cbranch_execz .LBB6_13940
; %bb.13927:                            ;   in Loop: Header=BB6_12937 Depth=3
	v_mov_b32_e32 v30, 0
	s_mov_b32 s73, exec_lo
	v_cmpx_ne_u32_e32 0, v2
	s_cbranch_execz .LBB6_13939
; %bb.13928:                            ;   in Loop: Header=BB6_12937 Depth=3
	v_bfe_u32 v27, v2, 23, 8
	v_or_b32_e32 v3, 0x800000, v0
	s_delay_alu instid0(VALU_DEP_2) | instskip(SKIP_2) | instid1(VALU_DEP_2)
	v_cmp_gt_u32_e64 s13, 0x72, v27
	v_sub_nc_u32_e32 v2, 0x71, v27
	v_cmp_eq_u32_e32 vcc_lo, 0, v27
	v_dual_cndmask_b32 v2, 0, v2, s13 :: v_dual_cndmask_b32 v0, v3, v0, vcc_lo
	s_delay_alu instid0(VALU_DEP_1) | instskip(NEXT) | instid1(VALU_DEP_1)
	v_cndmask_b32_e64 v30, v2, 0x70, vcc_lo
	v_dual_add_nc_u32 v2, 21, v30 :: v_dual_add_nc_u32 v24, 20, v30
	s_delay_alu instid0(VALU_DEP_1) | instskip(NEXT) | instid1(VALU_DEP_2)
	v_lshlrev_b64_e64 v[2:3], v2, -1
	v_lshlrev_b64_e64 v[52:53], v24, 1
	s_delay_alu instid0(VALU_DEP_2) | instskip(SKIP_1) | instid1(VALU_DEP_4)
	v_bfi_b32 v2, v2, 0, v0
	v_lshrrev_b64 v[0:1], v30, v[0:1]
	v_bfi_b32 v3, v3, 0, 0
	s_delay_alu instid0(VALU_DEP_1) | instskip(NEXT) | instid1(VALU_DEP_3)
	v_cmp_eq_u64_e64 s13, v[2:3], v[52:53]
	v_mov_b64_e32 v[2:3], v[0:1]
	s_and_saveexec_b32 s74, s13
; %bb.13929:                            ;   in Loop: Header=BB6_12937 Depth=3
	v_bfe_u32 v2, v0, 21, 1
	v_mov_b32_e32 v3, v21
	s_delay_alu instid0(VALU_DEP_1) | instskip(NEXT) | instid1(VALU_DEP_1)
	v_add_nc_u64_e32 v[2:3], v[0:1], v[2:3]
	v_add_nc_u64_e32 v[2:3], -1, v[2:3]
; %bb.13930:                            ;   in Loop: Header=BB6_12937 Depth=3
	s_or_b32 exec_lo, exec_lo, s74
	v_add_nc_u32_e32 v1, 0xffffff81, v27
	v_lshrrev_b32_e32 v3, 23, v0
	s_mov_b32 s13, exec_lo
	s_delay_alu instid0(VALU_DEP_2) | instskip(NEXT) | instid1(VALU_DEP_1)
	v_cndmask_b32_e64 v1, v1, 0xffffff82, vcc_lo
	v_add3_u32 v27, v30, v1, v3
	v_and_b32_e32 v1, 0x1fffff, v2
                                        ; implicit-def: $vgpr2
	s_delay_alu instid0(VALU_DEP_1) | instskip(SKIP_1) | instid1(VALU_DEP_2)
	v_dual_add_nc_u32 v3, 14, v27 :: v_dual_add_nc_u32 v0, v1, v0
	v_mov_b32_e32 v1, v21
	v_cmpx_ne_u32_e32 0, v3
	s_xor_b32 s13, exec_lo, s13
; %bb.13931:                            ;   in Loop: Header=BB6_12937 Depth=3
	s_delay_alu instid0(VALU_DEP_2) | instskip(SKIP_1) | instid1(VALU_DEP_1)
	v_cmp_lt_u64_e32 vcc_lo, 0xffffff, v[0:1]
	v_add_nc_u32_e32 v2, 15, v27
	v_cndmask_b32_e32 v2, v3, v2, vcc_lo
	v_cndmask_b32_e64 v3, 0, 1, vcc_lo
	s_delay_alu instid0(VALU_DEP_1)
	v_lshrrev_b64 v[0:1], v3, v[0:1]
; %bb.13932:                            ;   in Loop: Header=BB6_12937 Depth=3
	s_and_not1_saveexec_b32 s13, s13
; %bb.13933:                            ;   in Loop: Header=BB6_12937 Depth=3
	s_delay_alu instid0(VALU_DEP_1)
	v_bfe_u32 v2, v0, 23, 1
; %bb.13934:                            ;   in Loop: Header=BB6_12937 Depth=3
	s_or_b32 exec_lo, exec_lo, s13
	s_delay_alu instid0(VALU_DEP_2) | instskip(NEXT) | instid1(VALU_DEP_2)
	v_lshrrev_b64 v[0:1], 21, v[0:1]
	v_cmp_gt_i32_e32 vcc_lo, 32, v2
	v_cmp_ne_u32_e64 s13, 0, v2
                                        ; implicit-def: $vgpr30
	s_delay_alu instid0(VALU_DEP_3) | instskip(NEXT) | instid1(VALU_DEP_1)
	v_dual_cndmask_b32 v1, 0, v1 :: v_dual_cndmask_b32 v0, 3, v0
	v_cmp_ne_u64_e32 vcc_lo, 0, v[0:1]
	s_or_b32 s13, s13, vcc_lo
	s_delay_alu instid0(SALU_CYCLE_1) | instskip(NEXT) | instid1(SALU_CYCLE_1)
	s_and_saveexec_b32 s74, s13
	s_xor_b32 s13, exec_lo, s74
; %bb.13935:                            ;   in Loop: Header=BB6_12937 Depth=3
	v_min_i32_e32 v1, 31, v2
	s_delay_alu instid0(VALU_DEP_1) | instskip(NEXT) | instid1(VALU_DEP_1)
	v_lshl_or_b32 v1, v1, 2, v25
                                        ; implicit-def: $vgpr25
	v_and_or_b32 v30, v0, 3, v1
; %bb.13936:                            ;   in Loop: Header=BB6_12937 Depth=3
	s_and_not1_saveexec_b32 s13, s13
; %bb.13937:                            ;   in Loop: Header=BB6_12937 Depth=3
	v_mov_b32_e32 v30, v25
; %bb.13938:                            ;   in Loop: Header=BB6_12937 Depth=3
	s_or_b32 exec_lo, exec_lo, s13
.LBB6_13939:                            ;   in Loop: Header=BB6_12937 Depth=3
	s_delay_alu instid0(SALU_CYCLE_1)
	s_or_b32 exec_lo, exec_lo, s73
                                        ; implicit-def: $vgpr25
.LBB6_13940:                            ;   in Loop: Header=BB6_12937 Depth=3
	s_and_not1_saveexec_b32 s13, s72
; %bb.13941:                            ;   in Loop: Header=BB6_12937 Depth=3
	v_or_b32_e32 v30, 0x7b, v25
; %bb.13942:                            ;   in Loop: Header=BB6_12937 Depth=3
	s_or_b32 exec_lo, exec_lo, s13
                                        ; implicit-def: $vgpr2
                                        ; implicit-def: $vgpr0_vgpr1
.LBB6_13943:                            ;   in Loop: Header=BB6_12937 Depth=3
	s_and_not1_saveexec_b32 s13, s43
	s_cbranch_execz .LBB6_13949
; %bb.13944:                            ;   in Loop: Header=BB6_12937 Depth=3
	s_mov_b32 s43, exec_lo
                                        ; implicit-def: $vgpr30
	v_cmpx_ne_u64_e32 0, v[0:1]
	s_xor_b32 s43, exec_lo, s43
; %bb.13945:                            ;   in Loop: Header=BB6_12937 Depth=3
	v_lshrrev_b32_e32 v0, 24, v2
                                        ; implicit-def: $vgpr2
	s_delay_alu instid0(VALU_DEP_1)
	v_or_b32_e32 v30, 0x7f, v0
; %bb.13946:                            ;   in Loop: Header=BB6_12937 Depth=3
	s_and_not1_saveexec_b32 s43, s43
; %bb.13947:                            ;   in Loop: Header=BB6_12937 Depth=3
	v_cmp_lt_i32_e32 vcc_lo, -1, v2
	v_cndmask_b32_e64 v30, -4, 0x7c, vcc_lo
; %bb.13948:                            ;   in Loop: Header=BB6_12937 Depth=3
	s_or_b32 exec_lo, exec_lo, s43
.LBB6_13949:                            ;   in Loop: Header=BB6_12937 Depth=3
	s_delay_alu instid0(SALU_CYCLE_1)
	s_or_b32 exec_lo, exec_lo, s13
	v_dual_mov_b32 v0, 0 :: v_dual_mov_b32 v1, 0
	s_mov_b32 s43, exec_lo
	v_cmpx_ne_u16_e32 0, v104
	s_cbranch_execz .LBB6_13959
; %bb.13950:                            ;   in Loop: Header=BB6_12937 Depth=3
	v_bfrev_b32_e32 v1, 1
	s_mov_b32 s72, exec_lo
	v_cmpx_ne_u16_e32 0xff80, v104
	s_cbranch_execz .LBB6_13958
; %bb.13951:                            ;   in Loop: Header=BB6_12937 Depth=3
	v_and_b32_e32 v1, 0x7c, v104
	v_and_b32_e32 v2, 3, v104
	s_delay_alu instid0(VALU_DEP_2) | instskip(SKIP_1) | instid1(SALU_CYCLE_1)
	v_cmp_ne_u32_e32 vcc_lo, 0x7c, v1
                                        ; implicit-def: $vgpr1
	s_and_saveexec_b32 s13, vcc_lo
	s_xor_b32 s13, exec_lo, s13
	s_cbranch_execz .LBB6_13955
; %bb.13952:                            ;   in Loop: Header=BB6_12937 Depth=3
	v_and_b32_e32 v1, 0xff, v104
	s_mov_b32 s73, exec_lo
	s_delay_alu instid0(VALU_DEP_1) | instskip(NEXT) | instid1(VALU_DEP_1)
	v_bfe_u32 v1, v1, 2, 5
	v_cmpx_eq_u32_e32 0, v1
	s_cbranch_execz .LBB6_13954
; %bb.13953:                            ;   in Loop: Header=BB6_12937 Depth=3
	v_clz_i32_u32_e32 v1, v2
	s_delay_alu instid0(VALU_DEP_1) | instskip(SKIP_1) | instid1(VALU_DEP_2)
	v_min_u32_e32 v1, 32, v1
	v_mov_b32_e32 v105, v21
	v_subrev_nc_u32_e32 v2, 29, v1
	v_sub_nc_u32_e32 v1, 30, v1
	s_delay_alu instid0(VALU_DEP_2) | instskip(NEXT) | instid1(VALU_DEP_1)
	v_lshlrev_b64_e32 v[2:3], v2, v[104:105]
	v_and_b32_e32 v2, 3, v2
.LBB6_13954:                            ;   in Loop: Header=BB6_12937 Depth=3
	s_or_b32 exec_lo, exec_lo, s73
	v_bfe_i32 v3, v104, 0, 16
                                        ; implicit-def: $vgpr104
	s_delay_alu instid0(VALU_DEP_1) | instskip(NEXT) | instid1(VALU_DEP_1)
	v_and_b32_e32 v3, 0x80000000, v3
	v_lshl_add_u32 v1, v1, 23, v3
	s_delay_alu instid0(VALU_DEP_1) | instskip(NEXT) | instid1(VALU_DEP_1)
	v_lshl_or_b32 v1, v2, 21, v1
                                        ; implicit-def: $vgpr2
	v_add_nc_u32_e32 v1, 0x38000000, v1
.LBB6_13955:                            ;   in Loop: Header=BB6_12937 Depth=3
	s_and_not1_saveexec_b32 s73, s13
; %bb.13956:                            ;   in Loop: Header=BB6_12937 Depth=3
	v_cmp_lt_i16_e64 s13, -1, v104
	v_mov_b32_e32 v1, 0x7f800000
	v_cmp_eq_u32_e32 vcc_lo, 0, v2
	s_delay_alu instid0(VALU_DEP_2) | instskip(NEXT) | instid1(VALU_DEP_1)
	v_cndmask_b32_e64 v1, 0xff800000, v1, s13
	v_cndmask_b32_e32 v1, 0x7f800001, v1, vcc_lo
; %bb.13957:                            ;   in Loop: Header=BB6_12937 Depth=3
	s_or_b32 exec_lo, exec_lo, s73
.LBB6_13958:                            ;   in Loop: Header=BB6_12937 Depth=3
	s_delay_alu instid0(SALU_CYCLE_1)
	s_or_b32 exec_lo, exec_lo, s72
.LBB6_13959:                            ;   in Loop: Header=BB6_12937 Depth=3
	s_delay_alu instid0(SALU_CYCLE_1) | instskip(NEXT) | instid1(SALU_CYCLE_1)
	s_or_b32 exec_lo, exec_lo, s43
	s_mov_b32 s43, exec_lo
	v_cmpx_ne_u16_e32 0, v94
	s_cbranch_execz .LBB6_13969
; %bb.13960:                            ;   in Loop: Header=BB6_12937 Depth=3
	v_bfrev_b32_e32 v0, 1
	s_mov_b32 s72, exec_lo
	v_cmpx_ne_u16_e32 0xff80, v94
	s_cbranch_execz .LBB6_13968
; %bb.13961:                            ;   in Loop: Header=BB6_12937 Depth=3
	v_and_b32_e32 v0, 0x7c, v94
	v_and_b32_e32 v2, 3, v94
	s_delay_alu instid0(VALU_DEP_2) | instskip(SKIP_1) | instid1(SALU_CYCLE_1)
	v_cmp_ne_u32_e32 vcc_lo, 0x7c, v0
                                        ; implicit-def: $vgpr0
	s_and_saveexec_b32 s13, vcc_lo
	s_xor_b32 s13, exec_lo, s13
	s_cbranch_execz .LBB6_13965
; %bb.13962:                            ;   in Loop: Header=BB6_12937 Depth=3
	v_and_b32_e32 v0, 0xff, v94
	s_mov_b32 s73, exec_lo
	s_delay_alu instid0(VALU_DEP_1) | instskip(NEXT) | instid1(VALU_DEP_1)
	v_bfe_u32 v0, v0, 2, 5
	v_cmpx_eq_u32_e32 0, v0
	s_cbranch_execz .LBB6_13964
; %bb.13963:                            ;   in Loop: Header=BB6_12937 Depth=3
	v_clz_i32_u32_e32 v0, v2
	s_delay_alu instid0(VALU_DEP_1) | instskip(SKIP_1) | instid1(VALU_DEP_2)
	v_min_u32_e32 v0, 32, v0
	v_mov_b32_e32 v95, v21
	v_subrev_nc_u32_e32 v2, 29, v0
	v_sub_nc_u32_e32 v0, 30, v0
	s_delay_alu instid0(VALU_DEP_2) | instskip(NEXT) | instid1(VALU_DEP_1)
	v_lshlrev_b64_e32 v[2:3], v2, v[94:95]
	v_and_b32_e32 v2, 3, v2
.LBB6_13964:                            ;   in Loop: Header=BB6_12937 Depth=3
	s_or_b32 exec_lo, exec_lo, s73
	v_bfe_i32 v3, v94, 0, 16
                                        ; implicit-def: $vgpr94
	s_delay_alu instid0(VALU_DEP_1) | instskip(NEXT) | instid1(VALU_DEP_1)
	v_and_b32_e32 v3, 0x80000000, v3
	v_lshl_add_u32 v0, v0, 23, v3
	s_delay_alu instid0(VALU_DEP_1) | instskip(NEXT) | instid1(VALU_DEP_1)
	v_lshl_or_b32 v0, v2, 21, v0
                                        ; implicit-def: $vgpr2
	v_add_nc_u32_e32 v0, 0x38000000, v0
.LBB6_13965:                            ;   in Loop: Header=BB6_12937 Depth=3
	s_and_not1_saveexec_b32 s73, s13
; %bb.13966:                            ;   in Loop: Header=BB6_12937 Depth=3
	v_cmp_lt_i16_e64 s13, -1, v94
	v_mov_b32_e32 v0, 0x7f800000
	v_cmp_eq_u32_e32 vcc_lo, 0, v2
	s_delay_alu instid0(VALU_DEP_2) | instskip(NEXT) | instid1(VALU_DEP_1)
	v_cndmask_b32_e64 v0, 0xff800000, v0, s13
	v_cndmask_b32_e32 v0, 0x7f800001, v0, vcc_lo
; %bb.13967:                            ;   in Loop: Header=BB6_12937 Depth=3
	s_or_b32 exec_lo, exec_lo, s73
.LBB6_13968:                            ;   in Loop: Header=BB6_12937 Depth=3
	s_delay_alu instid0(SALU_CYCLE_1)
	s_or_b32 exec_lo, exec_lo, s72
.LBB6_13969:                            ;   in Loop: Header=BB6_12937 Depth=3
	s_delay_alu instid0(SALU_CYCLE_1) | instskip(NEXT) | instid1(VALU_DEP_1)
	s_or_b32 exec_lo, exec_lo, s43
	v_mul_f32_e32 v2, v1, v0
	v_mov_b32_e32 v1, v21
                                        ; implicit-def: $vgpr31
	s_delay_alu instid0(VALU_DEP_2) | instskip(NEXT) | instid1(VALU_DEP_1)
	v_and_b32_e32 v0, 0x7f800000, v2
	v_cmp_ne_u64_e32 vcc_lo, 0x7f800000, v[0:1]
	v_and_b32_e32 v0, 0x7fffff, v2
	s_and_saveexec_b32 s13, vcc_lo
	s_delay_alu instid0(SALU_CYCLE_1)
	s_xor_b32 s43, exec_lo, s13
	s_cbranch_execz .LBB6_13987
; %bb.13970:                            ;   in Loop: Header=BB6_12937 Depth=3
	v_and_b32_e32 v24, 0x7fffffff, v2
	v_dual_mov_b32 v25, v21 :: v_dual_lshrrev_b32 v3, 24, v2
                                        ; implicit-def: $vgpr31
	s_delay_alu instid0(VALU_DEP_1) | instskip(NEXT) | instid1(VALU_DEP_2)
	v_cmp_gt_u64_e32 vcc_lo, 0x47600001, v[24:25]
	v_and_b32_e32 v25, 0x80, v3
	s_and_saveexec_b32 s13, vcc_lo
	s_delay_alu instid0(SALU_CYCLE_1)
	s_xor_b32 s72, exec_lo, s13
	s_cbranch_execz .LBB6_13984
; %bb.13971:                            ;   in Loop: Header=BB6_12937 Depth=3
	v_mov_b32_e32 v31, 0
	s_mov_b32 s73, exec_lo
	v_cmpx_ne_u32_e32 0, v2
	s_cbranch_execz .LBB6_13983
; %bb.13972:                            ;   in Loop: Header=BB6_12937 Depth=3
	v_bfe_u32 v27, v2, 23, 8
	v_or_b32_e32 v3, 0x800000, v0
	s_delay_alu instid0(VALU_DEP_2) | instskip(SKIP_2) | instid1(VALU_DEP_2)
	v_cmp_gt_u32_e64 s13, 0x72, v27
	v_sub_nc_u32_e32 v2, 0x71, v27
	v_cmp_eq_u32_e32 vcc_lo, 0, v27
	v_dual_cndmask_b32 v2, 0, v2, s13 :: v_dual_cndmask_b32 v0, v3, v0, vcc_lo
	s_delay_alu instid0(VALU_DEP_1) | instskip(NEXT) | instid1(VALU_DEP_1)
	v_cndmask_b32_e64 v31, v2, 0x70, vcc_lo
	v_dual_add_nc_u32 v2, 21, v31 :: v_dual_add_nc_u32 v24, 20, v31
	s_delay_alu instid0(VALU_DEP_1) | instskip(NEXT) | instid1(VALU_DEP_2)
	v_lshlrev_b64_e64 v[2:3], v2, -1
	v_lshlrev_b64_e64 v[52:53], v24, 1
	s_delay_alu instid0(VALU_DEP_2) | instskip(SKIP_1) | instid1(VALU_DEP_4)
	v_bfi_b32 v2, v2, 0, v0
	v_lshrrev_b64 v[0:1], v31, v[0:1]
	v_bfi_b32 v3, v3, 0, 0
	s_delay_alu instid0(VALU_DEP_1) | instskip(NEXT) | instid1(VALU_DEP_3)
	v_cmp_eq_u64_e64 s13, v[2:3], v[52:53]
	v_mov_b64_e32 v[2:3], v[0:1]
	s_and_saveexec_b32 s74, s13
; %bb.13973:                            ;   in Loop: Header=BB6_12937 Depth=3
	v_bfe_u32 v2, v0, 21, 1
	v_mov_b32_e32 v3, v21
	s_delay_alu instid0(VALU_DEP_1) | instskip(NEXT) | instid1(VALU_DEP_1)
	v_add_nc_u64_e32 v[2:3], v[0:1], v[2:3]
	v_add_nc_u64_e32 v[2:3], -1, v[2:3]
; %bb.13974:                            ;   in Loop: Header=BB6_12937 Depth=3
	s_or_b32 exec_lo, exec_lo, s74
	v_add_nc_u32_e32 v1, 0xffffff81, v27
	v_lshrrev_b32_e32 v3, 23, v0
	s_mov_b32 s13, exec_lo
	s_delay_alu instid0(VALU_DEP_2) | instskip(NEXT) | instid1(VALU_DEP_1)
	v_cndmask_b32_e64 v1, v1, 0xffffff82, vcc_lo
	v_add3_u32 v27, v31, v1, v3
	v_and_b32_e32 v1, 0x1fffff, v2
                                        ; implicit-def: $vgpr2
	s_delay_alu instid0(VALU_DEP_1) | instskip(SKIP_1) | instid1(VALU_DEP_2)
	v_dual_add_nc_u32 v3, 14, v27 :: v_dual_add_nc_u32 v0, v1, v0
	v_mov_b32_e32 v1, v21
	v_cmpx_ne_u32_e32 0, v3
	s_xor_b32 s13, exec_lo, s13
; %bb.13975:                            ;   in Loop: Header=BB6_12937 Depth=3
	s_delay_alu instid0(VALU_DEP_2) | instskip(SKIP_1) | instid1(VALU_DEP_1)
	v_cmp_lt_u64_e32 vcc_lo, 0xffffff, v[0:1]
	v_add_nc_u32_e32 v2, 15, v27
	v_cndmask_b32_e32 v2, v3, v2, vcc_lo
	v_cndmask_b32_e64 v3, 0, 1, vcc_lo
	s_delay_alu instid0(VALU_DEP_1)
	v_lshrrev_b64 v[0:1], v3, v[0:1]
; %bb.13976:                            ;   in Loop: Header=BB6_12937 Depth=3
	s_and_not1_saveexec_b32 s13, s13
; %bb.13977:                            ;   in Loop: Header=BB6_12937 Depth=3
	s_delay_alu instid0(VALU_DEP_1)
	v_bfe_u32 v2, v0, 23, 1
; %bb.13978:                            ;   in Loop: Header=BB6_12937 Depth=3
	s_or_b32 exec_lo, exec_lo, s13
	s_delay_alu instid0(VALU_DEP_2) | instskip(NEXT) | instid1(VALU_DEP_2)
	v_lshrrev_b64 v[0:1], 21, v[0:1]
	v_cmp_gt_i32_e32 vcc_lo, 32, v2
	v_cmp_ne_u32_e64 s13, 0, v2
                                        ; implicit-def: $vgpr31
	s_delay_alu instid0(VALU_DEP_3) | instskip(NEXT) | instid1(VALU_DEP_1)
	v_dual_cndmask_b32 v1, 0, v1 :: v_dual_cndmask_b32 v0, 3, v0
	v_cmp_ne_u64_e32 vcc_lo, 0, v[0:1]
	s_or_b32 s13, s13, vcc_lo
	s_delay_alu instid0(SALU_CYCLE_1) | instskip(NEXT) | instid1(SALU_CYCLE_1)
	s_and_saveexec_b32 s74, s13
	s_xor_b32 s13, exec_lo, s74
; %bb.13979:                            ;   in Loop: Header=BB6_12937 Depth=3
	v_min_i32_e32 v1, 31, v2
	s_delay_alu instid0(VALU_DEP_1) | instskip(NEXT) | instid1(VALU_DEP_1)
	v_lshl_or_b32 v1, v1, 2, v25
                                        ; implicit-def: $vgpr25
	v_and_or_b32 v31, v0, 3, v1
; %bb.13980:                            ;   in Loop: Header=BB6_12937 Depth=3
	s_and_not1_saveexec_b32 s13, s13
; %bb.13981:                            ;   in Loop: Header=BB6_12937 Depth=3
	v_mov_b32_e32 v31, v25
; %bb.13982:                            ;   in Loop: Header=BB6_12937 Depth=3
	s_or_b32 exec_lo, exec_lo, s13
.LBB6_13983:                            ;   in Loop: Header=BB6_12937 Depth=3
	s_delay_alu instid0(SALU_CYCLE_1)
	s_or_b32 exec_lo, exec_lo, s73
                                        ; implicit-def: $vgpr25
.LBB6_13984:                            ;   in Loop: Header=BB6_12937 Depth=3
	s_and_not1_saveexec_b32 s13, s72
; %bb.13985:                            ;   in Loop: Header=BB6_12937 Depth=3
	v_or_b32_e32 v31, 0x7b, v25
; %bb.13986:                            ;   in Loop: Header=BB6_12937 Depth=3
	s_or_b32 exec_lo, exec_lo, s13
                                        ; implicit-def: $vgpr2
                                        ; implicit-def: $vgpr0_vgpr1
.LBB6_13987:                            ;   in Loop: Header=BB6_12937 Depth=3
	s_and_not1_saveexec_b32 s13, s43
	s_cbranch_execz .LBB6_13993
; %bb.13988:                            ;   in Loop: Header=BB6_12937 Depth=3
	s_mov_b32 s43, exec_lo
                                        ; implicit-def: $vgpr31
	v_cmpx_ne_u64_e32 0, v[0:1]
	s_xor_b32 s43, exec_lo, s43
; %bb.13989:                            ;   in Loop: Header=BB6_12937 Depth=3
	v_lshrrev_b32_e32 v0, 24, v2
                                        ; implicit-def: $vgpr2
	s_delay_alu instid0(VALU_DEP_1)
	v_or_b32_e32 v31, 0x7f, v0
; %bb.13990:                            ;   in Loop: Header=BB6_12937 Depth=3
	s_and_not1_saveexec_b32 s43, s43
; %bb.13991:                            ;   in Loop: Header=BB6_12937 Depth=3
	v_cmp_lt_i32_e32 vcc_lo, -1, v2
	v_cndmask_b32_e64 v31, -4, 0x7c, vcc_lo
; %bb.13992:                            ;   in Loop: Header=BB6_12937 Depth=3
	s_or_b32 exec_lo, exec_lo, s43
.LBB6_13993:                            ;   in Loop: Header=BB6_12937 Depth=3
	s_delay_alu instid0(SALU_CYCLE_1)
	s_or_b32 exec_lo, exec_lo, s13
	v_dual_mov_b32 v0, 0 :: v_dual_mov_b32 v1, 0
	s_mov_b32 s43, exec_lo
	v_cmpx_ne_u16_e32 0, v92
	s_cbranch_execz .LBB6_14003
; %bb.13994:                            ;   in Loop: Header=BB6_12937 Depth=3
	v_bfrev_b32_e32 v1, 1
	s_mov_b32 s72, exec_lo
	v_cmpx_ne_u16_e32 0xff80, v92
	s_cbranch_execz .LBB6_14002
; %bb.13995:                            ;   in Loop: Header=BB6_12937 Depth=3
	v_and_b32_e32 v1, 0x7c, v92
	v_and_b32_e32 v2, 3, v92
	s_delay_alu instid0(VALU_DEP_2) | instskip(SKIP_1) | instid1(SALU_CYCLE_1)
	v_cmp_ne_u32_e32 vcc_lo, 0x7c, v1
                                        ; implicit-def: $vgpr1
	s_and_saveexec_b32 s13, vcc_lo
	s_xor_b32 s13, exec_lo, s13
	s_cbranch_execz .LBB6_13999
; %bb.13996:                            ;   in Loop: Header=BB6_12937 Depth=3
	v_and_b32_e32 v1, 0xff, v92
	s_mov_b32 s73, exec_lo
	s_delay_alu instid0(VALU_DEP_1) | instskip(NEXT) | instid1(VALU_DEP_1)
	v_bfe_u32 v1, v1, 2, 5
	v_cmpx_eq_u32_e32 0, v1
	s_cbranch_execz .LBB6_13998
; %bb.13997:                            ;   in Loop: Header=BB6_12937 Depth=3
	v_clz_i32_u32_e32 v1, v2
	s_delay_alu instid0(VALU_DEP_1) | instskip(SKIP_1) | instid1(VALU_DEP_2)
	v_min_u32_e32 v1, 32, v1
	v_mov_b32_e32 v93, v21
	v_subrev_nc_u32_e32 v2, 29, v1
	v_sub_nc_u32_e32 v1, 30, v1
	s_delay_alu instid0(VALU_DEP_2) | instskip(NEXT) | instid1(VALU_DEP_1)
	v_lshlrev_b64_e32 v[2:3], v2, v[92:93]
	v_and_b32_e32 v2, 3, v2
.LBB6_13998:                            ;   in Loop: Header=BB6_12937 Depth=3
	s_or_b32 exec_lo, exec_lo, s73
	v_bfe_i32 v3, v92, 0, 16
                                        ; implicit-def: $vgpr92
	s_delay_alu instid0(VALU_DEP_1) | instskip(NEXT) | instid1(VALU_DEP_1)
	v_and_b32_e32 v3, 0x80000000, v3
	v_lshl_add_u32 v1, v1, 23, v3
	s_delay_alu instid0(VALU_DEP_1) | instskip(NEXT) | instid1(VALU_DEP_1)
	v_lshl_or_b32 v1, v2, 21, v1
                                        ; implicit-def: $vgpr2
	v_add_nc_u32_e32 v1, 0x38000000, v1
.LBB6_13999:                            ;   in Loop: Header=BB6_12937 Depth=3
	s_and_not1_saveexec_b32 s73, s13
; %bb.14000:                            ;   in Loop: Header=BB6_12937 Depth=3
	v_cmp_lt_i16_e64 s13, -1, v92
	v_mov_b32_e32 v1, 0x7f800000
	v_cmp_eq_u32_e32 vcc_lo, 0, v2
	s_delay_alu instid0(VALU_DEP_2) | instskip(NEXT) | instid1(VALU_DEP_1)
	v_cndmask_b32_e64 v1, 0xff800000, v1, s13
	v_cndmask_b32_e32 v1, 0x7f800001, v1, vcc_lo
; %bb.14001:                            ;   in Loop: Header=BB6_12937 Depth=3
	s_or_b32 exec_lo, exec_lo, s73
.LBB6_14002:                            ;   in Loop: Header=BB6_12937 Depth=3
	s_delay_alu instid0(SALU_CYCLE_1)
	s_or_b32 exec_lo, exec_lo, s72
.LBB6_14003:                            ;   in Loop: Header=BB6_12937 Depth=3
	s_delay_alu instid0(SALU_CYCLE_1) | instskip(NEXT) | instid1(SALU_CYCLE_1)
	s_or_b32 exec_lo, exec_lo, s43
	s_mov_b32 s43, exec_lo
	v_cmpx_ne_u16_e32 0, v90
	s_cbranch_execz .LBB6_14013
; %bb.14004:                            ;   in Loop: Header=BB6_12937 Depth=3
	v_bfrev_b32_e32 v0, 1
	s_mov_b32 s72, exec_lo
	v_cmpx_ne_u16_e32 0xff80, v90
	s_cbranch_execz .LBB6_14012
; %bb.14005:                            ;   in Loop: Header=BB6_12937 Depth=3
	v_and_b32_e32 v0, 0x7c, v90
	v_and_b32_e32 v2, 3, v90
	s_delay_alu instid0(VALU_DEP_2) | instskip(SKIP_1) | instid1(SALU_CYCLE_1)
	v_cmp_ne_u32_e32 vcc_lo, 0x7c, v0
                                        ; implicit-def: $vgpr0
	s_and_saveexec_b32 s13, vcc_lo
	s_xor_b32 s13, exec_lo, s13
	s_cbranch_execz .LBB6_14009
; %bb.14006:                            ;   in Loop: Header=BB6_12937 Depth=3
	v_and_b32_e32 v0, 0xff, v90
	s_mov_b32 s73, exec_lo
	s_delay_alu instid0(VALU_DEP_1) | instskip(NEXT) | instid1(VALU_DEP_1)
	v_bfe_u32 v0, v0, 2, 5
	v_cmpx_eq_u32_e32 0, v0
	s_cbranch_execz .LBB6_14008
; %bb.14007:                            ;   in Loop: Header=BB6_12937 Depth=3
	v_clz_i32_u32_e32 v0, v2
	s_delay_alu instid0(VALU_DEP_1) | instskip(SKIP_1) | instid1(VALU_DEP_2)
	v_min_u32_e32 v0, 32, v0
	v_mov_b32_e32 v91, v21
	v_subrev_nc_u32_e32 v2, 29, v0
	v_sub_nc_u32_e32 v0, 30, v0
	s_delay_alu instid0(VALU_DEP_2) | instskip(NEXT) | instid1(VALU_DEP_1)
	v_lshlrev_b64_e32 v[2:3], v2, v[90:91]
	v_and_b32_e32 v2, 3, v2
.LBB6_14008:                            ;   in Loop: Header=BB6_12937 Depth=3
	s_or_b32 exec_lo, exec_lo, s73
	v_bfe_i32 v3, v90, 0, 16
                                        ; implicit-def: $vgpr90
	s_delay_alu instid0(VALU_DEP_1) | instskip(NEXT) | instid1(VALU_DEP_1)
	v_and_b32_e32 v3, 0x80000000, v3
	v_lshl_add_u32 v0, v0, 23, v3
	s_delay_alu instid0(VALU_DEP_1) | instskip(NEXT) | instid1(VALU_DEP_1)
	v_lshl_or_b32 v0, v2, 21, v0
                                        ; implicit-def: $vgpr2
	v_add_nc_u32_e32 v0, 0x38000000, v0
.LBB6_14009:                            ;   in Loop: Header=BB6_12937 Depth=3
	s_and_not1_saveexec_b32 s73, s13
; %bb.14010:                            ;   in Loop: Header=BB6_12937 Depth=3
	v_cmp_lt_i16_e64 s13, -1, v90
	v_mov_b32_e32 v0, 0x7f800000
	v_cmp_eq_u32_e32 vcc_lo, 0, v2
	s_delay_alu instid0(VALU_DEP_2) | instskip(NEXT) | instid1(VALU_DEP_1)
	v_cndmask_b32_e64 v0, 0xff800000, v0, s13
	v_cndmask_b32_e32 v0, 0x7f800001, v0, vcc_lo
; %bb.14011:                            ;   in Loop: Header=BB6_12937 Depth=3
	s_or_b32 exec_lo, exec_lo, s73
.LBB6_14012:                            ;   in Loop: Header=BB6_12937 Depth=3
	s_delay_alu instid0(SALU_CYCLE_1)
	s_or_b32 exec_lo, exec_lo, s72
.LBB6_14013:                            ;   in Loop: Header=BB6_12937 Depth=3
	s_delay_alu instid0(SALU_CYCLE_1) | instskip(NEXT) | instid1(VALU_DEP_1)
	s_or_b32 exec_lo, exec_lo, s43
	v_mul_f32_e32 v2, v1, v0
	v_mov_b32_e32 v1, v21
                                        ; implicit-def: $vgpr52
	s_delay_alu instid0(VALU_DEP_2) | instskip(NEXT) | instid1(VALU_DEP_1)
	v_and_b32_e32 v0, 0x7f800000, v2
	v_cmp_ne_u64_e32 vcc_lo, 0x7f800000, v[0:1]
	v_and_b32_e32 v0, 0x7fffff, v2
	s_and_saveexec_b32 s13, vcc_lo
	s_delay_alu instid0(SALU_CYCLE_1)
	s_xor_b32 s43, exec_lo, s13
	s_cbranch_execz .LBB6_14031
; %bb.14014:                            ;   in Loop: Header=BB6_12937 Depth=3
	v_and_b32_e32 v24, 0x7fffffff, v2
	v_dual_mov_b32 v25, v21 :: v_dual_lshrrev_b32 v3, 24, v2
                                        ; implicit-def: $vgpr52
	s_delay_alu instid0(VALU_DEP_1) | instskip(NEXT) | instid1(VALU_DEP_2)
	v_cmp_gt_u64_e32 vcc_lo, 0x47600001, v[24:25]
	v_and_b32_e32 v25, 0x80, v3
	s_and_saveexec_b32 s13, vcc_lo
	s_delay_alu instid0(SALU_CYCLE_1)
	s_xor_b32 s72, exec_lo, s13
	s_cbranch_execz .LBB6_14028
; %bb.14015:                            ;   in Loop: Header=BB6_12937 Depth=3
	v_mov_b32_e32 v52, 0
	s_mov_b32 s73, exec_lo
	v_cmpx_ne_u32_e32 0, v2
	s_cbranch_execz .LBB6_14027
; %bb.14016:                            ;   in Loop: Header=BB6_12937 Depth=3
	v_bfe_u32 v27, v2, 23, 8
	v_or_b32_e32 v3, 0x800000, v0
	s_delay_alu instid0(VALU_DEP_2) | instskip(SKIP_2) | instid1(VALU_DEP_2)
	v_cmp_gt_u32_e64 s13, 0x72, v27
	v_sub_nc_u32_e32 v2, 0x71, v27
	v_cmp_eq_u32_e32 vcc_lo, 0, v27
	v_dual_cndmask_b32 v2, 0, v2, s13 :: v_dual_cndmask_b32 v0, v3, v0, vcc_lo
	s_delay_alu instid0(VALU_DEP_1) | instskip(NEXT) | instid1(VALU_DEP_1)
	v_cndmask_b32_e64 v33, v2, 0x70, vcc_lo
	v_dual_add_nc_u32 v2, 21, v33 :: v_dual_add_nc_u32 v24, 20, v33
	s_delay_alu instid0(VALU_DEP_1) | instskip(NEXT) | instid1(VALU_DEP_2)
	v_lshlrev_b64_e64 v[2:3], v2, -1
	v_lshlrev_b64_e64 v[52:53], v24, 1
	s_delay_alu instid0(VALU_DEP_2) | instskip(SKIP_1) | instid1(VALU_DEP_4)
	v_bfi_b32 v2, v2, 0, v0
	v_lshrrev_b64 v[0:1], v33, v[0:1]
	v_bfi_b32 v3, v3, 0, 0
	s_delay_alu instid0(VALU_DEP_1) | instskip(NEXT) | instid1(VALU_DEP_3)
	v_cmp_eq_u64_e64 s13, v[2:3], v[52:53]
	v_mov_b64_e32 v[2:3], v[0:1]
	s_and_saveexec_b32 s74, s13
; %bb.14017:                            ;   in Loop: Header=BB6_12937 Depth=3
	v_bfe_u32 v2, v0, 21, 1
	v_mov_b32_e32 v3, v21
	s_delay_alu instid0(VALU_DEP_1) | instskip(NEXT) | instid1(VALU_DEP_1)
	v_add_nc_u64_e32 v[2:3], v[0:1], v[2:3]
	v_add_nc_u64_e32 v[2:3], -1, v[2:3]
; %bb.14018:                            ;   in Loop: Header=BB6_12937 Depth=3
	s_or_b32 exec_lo, exec_lo, s74
	v_add_nc_u32_e32 v1, 0xffffff81, v27
	v_lshrrev_b32_e32 v3, 23, v0
	s_mov_b32 s13, exec_lo
	s_delay_alu instid0(VALU_DEP_2) | instskip(NEXT) | instid1(VALU_DEP_1)
	v_cndmask_b32_e64 v1, v1, 0xffffff82, vcc_lo
	v_add3_u32 v27, v33, v1, v3
	v_and_b32_e32 v1, 0x1fffff, v2
                                        ; implicit-def: $vgpr2
	s_delay_alu instid0(VALU_DEP_1) | instskip(SKIP_1) | instid1(VALU_DEP_2)
	v_dual_add_nc_u32 v3, 14, v27 :: v_dual_add_nc_u32 v0, v1, v0
	v_mov_b32_e32 v1, v21
	v_cmpx_ne_u32_e32 0, v3
	s_xor_b32 s13, exec_lo, s13
; %bb.14019:                            ;   in Loop: Header=BB6_12937 Depth=3
	s_delay_alu instid0(VALU_DEP_2) | instskip(SKIP_1) | instid1(VALU_DEP_1)
	v_cmp_lt_u64_e32 vcc_lo, 0xffffff, v[0:1]
	v_add_nc_u32_e32 v2, 15, v27
	v_cndmask_b32_e32 v2, v3, v2, vcc_lo
	v_cndmask_b32_e64 v3, 0, 1, vcc_lo
	s_delay_alu instid0(VALU_DEP_1)
	v_lshrrev_b64 v[0:1], v3, v[0:1]
; %bb.14020:                            ;   in Loop: Header=BB6_12937 Depth=3
	s_and_not1_saveexec_b32 s13, s13
; %bb.14021:                            ;   in Loop: Header=BB6_12937 Depth=3
	s_delay_alu instid0(VALU_DEP_1)
	v_bfe_u32 v2, v0, 23, 1
; %bb.14022:                            ;   in Loop: Header=BB6_12937 Depth=3
	s_or_b32 exec_lo, exec_lo, s13
	s_delay_alu instid0(VALU_DEP_2) | instskip(NEXT) | instid1(VALU_DEP_2)
	v_lshrrev_b64 v[0:1], 21, v[0:1]
	v_cmp_gt_i32_e32 vcc_lo, 32, v2
	v_cmp_ne_u32_e64 s13, 0, v2
                                        ; implicit-def: $vgpr52
	s_delay_alu instid0(VALU_DEP_3) | instskip(NEXT) | instid1(VALU_DEP_1)
	v_dual_cndmask_b32 v1, 0, v1 :: v_dual_cndmask_b32 v0, 3, v0
	v_cmp_ne_u64_e32 vcc_lo, 0, v[0:1]
	s_or_b32 s13, s13, vcc_lo
	s_delay_alu instid0(SALU_CYCLE_1) | instskip(NEXT) | instid1(SALU_CYCLE_1)
	s_and_saveexec_b32 s74, s13
	s_xor_b32 s13, exec_lo, s74
; %bb.14023:                            ;   in Loop: Header=BB6_12937 Depth=3
	v_min_i32_e32 v1, 31, v2
	s_delay_alu instid0(VALU_DEP_1) | instskip(NEXT) | instid1(VALU_DEP_1)
	v_lshl_or_b32 v1, v1, 2, v25
                                        ; implicit-def: $vgpr25
	v_and_or_b32 v52, v0, 3, v1
; %bb.14024:                            ;   in Loop: Header=BB6_12937 Depth=3
	s_and_not1_saveexec_b32 s13, s13
; %bb.14025:                            ;   in Loop: Header=BB6_12937 Depth=3
	v_mov_b32_e32 v52, v25
; %bb.14026:                            ;   in Loop: Header=BB6_12937 Depth=3
	s_or_b32 exec_lo, exec_lo, s13
.LBB6_14027:                            ;   in Loop: Header=BB6_12937 Depth=3
	s_delay_alu instid0(SALU_CYCLE_1)
	s_or_b32 exec_lo, exec_lo, s73
                                        ; implicit-def: $vgpr25
.LBB6_14028:                            ;   in Loop: Header=BB6_12937 Depth=3
	s_and_not1_saveexec_b32 s13, s72
; %bb.14029:                            ;   in Loop: Header=BB6_12937 Depth=3
	v_or_b32_e32 v52, 0x7b, v25
; %bb.14030:                            ;   in Loop: Header=BB6_12937 Depth=3
	s_or_b32 exec_lo, exec_lo, s13
                                        ; implicit-def: $vgpr2
                                        ; implicit-def: $vgpr0_vgpr1
.LBB6_14031:                            ;   in Loop: Header=BB6_12937 Depth=3
	s_and_not1_saveexec_b32 s13, s43
	s_cbranch_execz .LBB6_14037
; %bb.14032:                            ;   in Loop: Header=BB6_12937 Depth=3
	s_mov_b32 s43, exec_lo
                                        ; implicit-def: $vgpr52
	v_cmpx_ne_u64_e32 0, v[0:1]
	s_xor_b32 s43, exec_lo, s43
; %bb.14033:                            ;   in Loop: Header=BB6_12937 Depth=3
	v_lshrrev_b32_e32 v0, 24, v2
                                        ; implicit-def: $vgpr2
	s_delay_alu instid0(VALU_DEP_1)
	v_or_b32_e32 v52, 0x7f, v0
; %bb.14034:                            ;   in Loop: Header=BB6_12937 Depth=3
	s_and_not1_saveexec_b32 s43, s43
; %bb.14035:                            ;   in Loop: Header=BB6_12937 Depth=3
	v_cmp_lt_i32_e32 vcc_lo, -1, v2
	v_cndmask_b32_e64 v52, -4, 0x7c, vcc_lo
; %bb.14036:                            ;   in Loop: Header=BB6_12937 Depth=3
	s_or_b32 exec_lo, exec_lo, s43
.LBB6_14037:                            ;   in Loop: Header=BB6_12937 Depth=3
	s_delay_alu instid0(SALU_CYCLE_1)
	s_or_b32 exec_lo, exec_lo, s13
	v_dual_mov_b32 v0, 0 :: v_dual_mov_b32 v1, 0
	s_mov_b32 s43, exec_lo
	v_cmpx_ne_u16_e32 0, v88
	s_cbranch_execz .LBB6_14047
; %bb.14038:                            ;   in Loop: Header=BB6_12937 Depth=3
	v_bfrev_b32_e32 v1, 1
	s_mov_b32 s72, exec_lo
	v_cmpx_ne_u16_e32 0xff80, v88
	s_cbranch_execz .LBB6_14046
; %bb.14039:                            ;   in Loop: Header=BB6_12937 Depth=3
	v_and_b32_e32 v1, 0x7c, v88
	v_and_b32_e32 v2, 3, v88
	s_delay_alu instid0(VALU_DEP_2) | instskip(SKIP_1) | instid1(SALU_CYCLE_1)
	v_cmp_ne_u32_e32 vcc_lo, 0x7c, v1
                                        ; implicit-def: $vgpr1
	s_and_saveexec_b32 s13, vcc_lo
	s_xor_b32 s13, exec_lo, s13
	s_cbranch_execz .LBB6_14043
; %bb.14040:                            ;   in Loop: Header=BB6_12937 Depth=3
	v_and_b32_e32 v1, 0xff, v88
	s_mov_b32 s73, exec_lo
	s_delay_alu instid0(VALU_DEP_1) | instskip(NEXT) | instid1(VALU_DEP_1)
	v_bfe_u32 v1, v1, 2, 5
	v_cmpx_eq_u32_e32 0, v1
	s_cbranch_execz .LBB6_14042
; %bb.14041:                            ;   in Loop: Header=BB6_12937 Depth=3
	v_clz_i32_u32_e32 v1, v2
	s_delay_alu instid0(VALU_DEP_1) | instskip(SKIP_1) | instid1(VALU_DEP_2)
	v_min_u32_e32 v1, 32, v1
	v_mov_b32_e32 v89, v21
	v_subrev_nc_u32_e32 v2, 29, v1
	v_sub_nc_u32_e32 v1, 30, v1
	s_delay_alu instid0(VALU_DEP_2) | instskip(NEXT) | instid1(VALU_DEP_1)
	v_lshlrev_b64_e32 v[2:3], v2, v[88:89]
	v_and_b32_e32 v2, 3, v2
.LBB6_14042:                            ;   in Loop: Header=BB6_12937 Depth=3
	s_or_b32 exec_lo, exec_lo, s73
	v_bfe_i32 v3, v88, 0, 16
                                        ; implicit-def: $vgpr88
	s_delay_alu instid0(VALU_DEP_1) | instskip(NEXT) | instid1(VALU_DEP_1)
	v_and_b32_e32 v3, 0x80000000, v3
	v_lshl_add_u32 v1, v1, 23, v3
	s_delay_alu instid0(VALU_DEP_1) | instskip(NEXT) | instid1(VALU_DEP_1)
	v_lshl_or_b32 v1, v2, 21, v1
                                        ; implicit-def: $vgpr2
	v_add_nc_u32_e32 v1, 0x38000000, v1
.LBB6_14043:                            ;   in Loop: Header=BB6_12937 Depth=3
	s_and_not1_saveexec_b32 s73, s13
; %bb.14044:                            ;   in Loop: Header=BB6_12937 Depth=3
	v_cmp_lt_i16_e64 s13, -1, v88
	v_mov_b32_e32 v1, 0x7f800000
	v_cmp_eq_u32_e32 vcc_lo, 0, v2
	s_delay_alu instid0(VALU_DEP_2) | instskip(NEXT) | instid1(VALU_DEP_1)
	v_cndmask_b32_e64 v1, 0xff800000, v1, s13
	v_cndmask_b32_e32 v1, 0x7f800001, v1, vcc_lo
; %bb.14045:                            ;   in Loop: Header=BB6_12937 Depth=3
	s_or_b32 exec_lo, exec_lo, s73
.LBB6_14046:                            ;   in Loop: Header=BB6_12937 Depth=3
	s_delay_alu instid0(SALU_CYCLE_1)
	s_or_b32 exec_lo, exec_lo, s72
.LBB6_14047:                            ;   in Loop: Header=BB6_12937 Depth=3
	s_delay_alu instid0(SALU_CYCLE_1) | instskip(NEXT) | instid1(SALU_CYCLE_1)
	s_or_b32 exec_lo, exec_lo, s43
	s_mov_b32 s43, exec_lo
	v_cmpx_ne_u16_e32 0, v50
	s_cbranch_execz .LBB6_14057
; %bb.14048:                            ;   in Loop: Header=BB6_12937 Depth=3
	v_bfrev_b32_e32 v0, 1
	s_mov_b32 s72, exec_lo
	v_cmpx_ne_u16_e32 0xff80, v50
	s_cbranch_execz .LBB6_14056
; %bb.14049:                            ;   in Loop: Header=BB6_12937 Depth=3
	v_and_b32_e32 v0, 0x7c, v50
	v_and_b32_e32 v2, 3, v50
	s_delay_alu instid0(VALU_DEP_2) | instskip(SKIP_1) | instid1(SALU_CYCLE_1)
	v_cmp_ne_u32_e32 vcc_lo, 0x7c, v0
                                        ; implicit-def: $vgpr0
	s_and_saveexec_b32 s13, vcc_lo
	s_xor_b32 s13, exec_lo, s13
	s_cbranch_execz .LBB6_14053
; %bb.14050:                            ;   in Loop: Header=BB6_12937 Depth=3
	v_and_b32_e32 v0, 0xff, v50
	s_mov_b32 s73, exec_lo
	s_delay_alu instid0(VALU_DEP_1) | instskip(NEXT) | instid1(VALU_DEP_1)
	v_bfe_u32 v0, v0, 2, 5
	v_cmpx_eq_u32_e32 0, v0
	s_cbranch_execz .LBB6_14052
; %bb.14051:                            ;   in Loop: Header=BB6_12937 Depth=3
	v_clz_i32_u32_e32 v0, v2
	s_delay_alu instid0(VALU_DEP_1) | instskip(SKIP_1) | instid1(VALU_DEP_2)
	v_min_u32_e32 v0, 32, v0
	v_mov_b32_e32 v51, v21
	v_subrev_nc_u32_e32 v2, 29, v0
	v_sub_nc_u32_e32 v0, 30, v0
	s_delay_alu instid0(VALU_DEP_2) | instskip(NEXT) | instid1(VALU_DEP_1)
	v_lshlrev_b64_e32 v[2:3], v2, v[50:51]
	v_and_b32_e32 v2, 3, v2
.LBB6_14052:                            ;   in Loop: Header=BB6_12937 Depth=3
	s_or_b32 exec_lo, exec_lo, s73
	v_bfe_i32 v3, v50, 0, 16
                                        ; implicit-def: $vgpr50
	s_delay_alu instid0(VALU_DEP_1) | instskip(NEXT) | instid1(VALU_DEP_1)
	v_and_b32_e32 v3, 0x80000000, v3
	v_lshl_add_u32 v0, v0, 23, v3
	s_delay_alu instid0(VALU_DEP_1) | instskip(NEXT) | instid1(VALU_DEP_1)
	v_lshl_or_b32 v0, v2, 21, v0
                                        ; implicit-def: $vgpr2
	v_add_nc_u32_e32 v0, 0x38000000, v0
.LBB6_14053:                            ;   in Loop: Header=BB6_12937 Depth=3
	s_and_not1_saveexec_b32 s73, s13
; %bb.14054:                            ;   in Loop: Header=BB6_12937 Depth=3
	v_cmp_lt_i16_e64 s13, -1, v50
	v_mov_b32_e32 v0, 0x7f800000
	v_cmp_eq_u32_e32 vcc_lo, 0, v2
	s_delay_alu instid0(VALU_DEP_2) | instskip(NEXT) | instid1(VALU_DEP_1)
	v_cndmask_b32_e64 v0, 0xff800000, v0, s13
	v_cndmask_b32_e32 v0, 0x7f800001, v0, vcc_lo
; %bb.14055:                            ;   in Loop: Header=BB6_12937 Depth=3
	s_or_b32 exec_lo, exec_lo, s73
.LBB6_14056:                            ;   in Loop: Header=BB6_12937 Depth=3
	s_delay_alu instid0(SALU_CYCLE_1)
	s_or_b32 exec_lo, exec_lo, s72
.LBB6_14057:                            ;   in Loop: Header=BB6_12937 Depth=3
	s_delay_alu instid0(SALU_CYCLE_1) | instskip(NEXT) | instid1(VALU_DEP_1)
	s_or_b32 exec_lo, exec_lo, s43
	v_mul_f32_e32 v2, v1, v0
	v_mov_b32_e32 v1, v21
                                        ; implicit-def: $vgpr50
	s_delay_alu instid0(VALU_DEP_2) | instskip(NEXT) | instid1(VALU_DEP_1)
	v_and_b32_e32 v0, 0x7f800000, v2
	v_cmp_ne_u64_e32 vcc_lo, 0x7f800000, v[0:1]
	v_and_b32_e32 v0, 0x7fffff, v2
	s_and_saveexec_b32 s13, vcc_lo
	s_delay_alu instid0(SALU_CYCLE_1)
	s_xor_b32 s43, exec_lo, s13
	s_cbranch_execz .LBB6_14075
; %bb.14058:                            ;   in Loop: Header=BB6_12937 Depth=3
	v_and_b32_e32 v24, 0x7fffffff, v2
	v_dual_mov_b32 v25, v21 :: v_dual_lshrrev_b32 v3, 24, v2
                                        ; implicit-def: $vgpr50
	s_delay_alu instid0(VALU_DEP_1) | instskip(NEXT) | instid1(VALU_DEP_2)
	v_cmp_gt_u64_e32 vcc_lo, 0x47600001, v[24:25]
	v_and_b32_e32 v25, 0x80, v3
	s_and_saveexec_b32 s13, vcc_lo
	s_delay_alu instid0(SALU_CYCLE_1)
	s_xor_b32 s72, exec_lo, s13
	s_cbranch_execz .LBB6_14072
; %bb.14059:                            ;   in Loop: Header=BB6_12937 Depth=3
	v_mov_b32_e32 v50, 0
	s_mov_b32 s73, exec_lo
	v_cmpx_ne_u32_e32 0, v2
	s_cbranch_execz .LBB6_14071
; %bb.14060:                            ;   in Loop: Header=BB6_12937 Depth=3
	v_bfe_u32 v27, v2, 23, 8
	v_or_b32_e32 v3, 0x800000, v0
	s_delay_alu instid0(VALU_DEP_2) | instskip(SKIP_2) | instid1(VALU_DEP_2)
	v_cmp_gt_u32_e64 s13, 0x72, v27
	v_sub_nc_u32_e32 v2, 0x71, v27
	v_cmp_eq_u32_e32 vcc_lo, 0, v27
	v_dual_cndmask_b32 v2, 0, v2, s13 :: v_dual_cndmask_b32 v0, v3, v0, vcc_lo
	s_delay_alu instid0(VALU_DEP_1) | instskip(NEXT) | instid1(VALU_DEP_1)
	v_cndmask_b32_e64 v33, v2, 0x70, vcc_lo
	v_dual_add_nc_u32 v2, 21, v33 :: v_dual_add_nc_u32 v24, 20, v33
	s_delay_alu instid0(VALU_DEP_1) | instskip(NEXT) | instid1(VALU_DEP_2)
	v_lshlrev_b64_e64 v[2:3], v2, -1
	v_lshlrev_b64_e64 v[50:51], v24, 1
	s_delay_alu instid0(VALU_DEP_2) | instskip(SKIP_1) | instid1(VALU_DEP_4)
	v_bfi_b32 v2, v2, 0, v0
	v_lshrrev_b64 v[0:1], v33, v[0:1]
	v_bfi_b32 v3, v3, 0, 0
	s_delay_alu instid0(VALU_DEP_1) | instskip(NEXT) | instid1(VALU_DEP_3)
	v_cmp_eq_u64_e64 s13, v[2:3], v[50:51]
	v_mov_b64_e32 v[2:3], v[0:1]
	s_and_saveexec_b32 s74, s13
; %bb.14061:                            ;   in Loop: Header=BB6_12937 Depth=3
	v_bfe_u32 v2, v0, 21, 1
	v_mov_b32_e32 v3, v21
	s_delay_alu instid0(VALU_DEP_1) | instskip(NEXT) | instid1(VALU_DEP_1)
	v_add_nc_u64_e32 v[2:3], v[0:1], v[2:3]
	v_add_nc_u64_e32 v[2:3], -1, v[2:3]
; %bb.14062:                            ;   in Loop: Header=BB6_12937 Depth=3
	s_or_b32 exec_lo, exec_lo, s74
	v_add_nc_u32_e32 v1, 0xffffff81, v27
	v_lshrrev_b32_e32 v3, 23, v0
	s_mov_b32 s13, exec_lo
	s_delay_alu instid0(VALU_DEP_2) | instskip(NEXT) | instid1(VALU_DEP_1)
	v_cndmask_b32_e64 v1, v1, 0xffffff82, vcc_lo
	v_add3_u32 v27, v33, v1, v3
	v_and_b32_e32 v1, 0x1fffff, v2
                                        ; implicit-def: $vgpr2
	s_delay_alu instid0(VALU_DEP_1) | instskip(SKIP_1) | instid1(VALU_DEP_2)
	v_dual_add_nc_u32 v3, 14, v27 :: v_dual_add_nc_u32 v0, v1, v0
	v_mov_b32_e32 v1, v21
	v_cmpx_ne_u32_e32 0, v3
	s_xor_b32 s13, exec_lo, s13
; %bb.14063:                            ;   in Loop: Header=BB6_12937 Depth=3
	s_delay_alu instid0(VALU_DEP_2) | instskip(SKIP_1) | instid1(VALU_DEP_1)
	v_cmp_lt_u64_e32 vcc_lo, 0xffffff, v[0:1]
	v_add_nc_u32_e32 v2, 15, v27
	v_cndmask_b32_e32 v2, v3, v2, vcc_lo
	v_cndmask_b32_e64 v3, 0, 1, vcc_lo
	s_delay_alu instid0(VALU_DEP_1)
	v_lshrrev_b64 v[0:1], v3, v[0:1]
; %bb.14064:                            ;   in Loop: Header=BB6_12937 Depth=3
	s_and_not1_saveexec_b32 s13, s13
; %bb.14065:                            ;   in Loop: Header=BB6_12937 Depth=3
	s_delay_alu instid0(VALU_DEP_1)
	v_bfe_u32 v2, v0, 23, 1
; %bb.14066:                            ;   in Loop: Header=BB6_12937 Depth=3
	s_or_b32 exec_lo, exec_lo, s13
	s_delay_alu instid0(VALU_DEP_2) | instskip(NEXT) | instid1(VALU_DEP_2)
	v_lshrrev_b64 v[0:1], 21, v[0:1]
	v_cmp_gt_i32_e32 vcc_lo, 32, v2
	v_cmp_ne_u32_e64 s13, 0, v2
                                        ; implicit-def: $vgpr50
	s_delay_alu instid0(VALU_DEP_3) | instskip(NEXT) | instid1(VALU_DEP_1)
	v_dual_cndmask_b32 v1, 0, v1 :: v_dual_cndmask_b32 v0, 3, v0
	v_cmp_ne_u64_e32 vcc_lo, 0, v[0:1]
	s_or_b32 s13, s13, vcc_lo
	s_delay_alu instid0(SALU_CYCLE_1) | instskip(NEXT) | instid1(SALU_CYCLE_1)
	s_and_saveexec_b32 s74, s13
	s_xor_b32 s13, exec_lo, s74
; %bb.14067:                            ;   in Loop: Header=BB6_12937 Depth=3
	v_min_i32_e32 v1, 31, v2
	s_delay_alu instid0(VALU_DEP_1) | instskip(NEXT) | instid1(VALU_DEP_1)
	v_lshl_or_b32 v1, v1, 2, v25
                                        ; implicit-def: $vgpr25
	v_and_or_b32 v50, v0, 3, v1
; %bb.14068:                            ;   in Loop: Header=BB6_12937 Depth=3
	s_and_not1_saveexec_b32 s13, s13
; %bb.14069:                            ;   in Loop: Header=BB6_12937 Depth=3
	v_mov_b32_e32 v50, v25
; %bb.14070:                            ;   in Loop: Header=BB6_12937 Depth=3
	s_or_b32 exec_lo, exec_lo, s13
.LBB6_14071:                            ;   in Loop: Header=BB6_12937 Depth=3
	s_delay_alu instid0(SALU_CYCLE_1)
	s_or_b32 exec_lo, exec_lo, s73
                                        ; implicit-def: $vgpr25
.LBB6_14072:                            ;   in Loop: Header=BB6_12937 Depth=3
	s_and_not1_saveexec_b32 s13, s72
; %bb.14073:                            ;   in Loop: Header=BB6_12937 Depth=3
	v_or_b32_e32 v50, 0x7b, v25
; %bb.14074:                            ;   in Loop: Header=BB6_12937 Depth=3
	s_or_b32 exec_lo, exec_lo, s13
                                        ; implicit-def: $vgpr2
                                        ; implicit-def: $vgpr0_vgpr1
.LBB6_14075:                            ;   in Loop: Header=BB6_12937 Depth=3
	s_and_not1_saveexec_b32 s13, s43
	s_cbranch_execz .LBB6_14081
; %bb.14076:                            ;   in Loop: Header=BB6_12937 Depth=3
	s_mov_b32 s43, exec_lo
                                        ; implicit-def: $vgpr50
	v_cmpx_ne_u64_e32 0, v[0:1]
	s_xor_b32 s43, exec_lo, s43
; %bb.14077:                            ;   in Loop: Header=BB6_12937 Depth=3
	v_lshrrev_b32_e32 v0, 24, v2
                                        ; implicit-def: $vgpr2
	s_delay_alu instid0(VALU_DEP_1)
	v_or_b32_e32 v50, 0x7f, v0
; %bb.14078:                            ;   in Loop: Header=BB6_12937 Depth=3
	s_and_not1_saveexec_b32 s43, s43
; %bb.14079:                            ;   in Loop: Header=BB6_12937 Depth=3
	v_cmp_lt_i32_e32 vcc_lo, -1, v2
	v_cndmask_b32_e64 v50, -4, 0x7c, vcc_lo
; %bb.14080:                            ;   in Loop: Header=BB6_12937 Depth=3
	s_or_b32 exec_lo, exec_lo, s43
.LBB6_14081:                            ;   in Loop: Header=BB6_12937 Depth=3
	s_delay_alu instid0(SALU_CYCLE_1)
	s_or_b32 exec_lo, exec_lo, s13
	v_dual_mov_b32 v0, 0 :: v_dual_mov_b32 v1, 0
	s_mov_b32 s43, exec_lo
	v_cmpx_ne_u16_e32 0, v48
	s_cbranch_execz .LBB6_14091
; %bb.14082:                            ;   in Loop: Header=BB6_12937 Depth=3
	v_bfrev_b32_e32 v1, 1
	s_mov_b32 s72, exec_lo
	v_cmpx_ne_u16_e32 0xff80, v48
	s_cbranch_execz .LBB6_14090
; %bb.14083:                            ;   in Loop: Header=BB6_12937 Depth=3
	v_and_b32_e32 v1, 0x7c, v48
	v_and_b32_e32 v2, 3, v48
	s_delay_alu instid0(VALU_DEP_2) | instskip(SKIP_1) | instid1(SALU_CYCLE_1)
	v_cmp_ne_u32_e32 vcc_lo, 0x7c, v1
                                        ; implicit-def: $vgpr1
	s_and_saveexec_b32 s13, vcc_lo
	s_xor_b32 s13, exec_lo, s13
	s_cbranch_execz .LBB6_14087
; %bb.14084:                            ;   in Loop: Header=BB6_12937 Depth=3
	v_and_b32_e32 v1, 0xff, v48
	s_mov_b32 s73, exec_lo
	s_delay_alu instid0(VALU_DEP_1) | instskip(NEXT) | instid1(VALU_DEP_1)
	v_bfe_u32 v1, v1, 2, 5
	v_cmpx_eq_u32_e32 0, v1
	s_cbranch_execz .LBB6_14086
; %bb.14085:                            ;   in Loop: Header=BB6_12937 Depth=3
	v_clz_i32_u32_e32 v1, v2
	s_delay_alu instid0(VALU_DEP_1) | instskip(SKIP_1) | instid1(VALU_DEP_2)
	v_min_u32_e32 v1, 32, v1
	v_mov_b32_e32 v49, v21
	v_subrev_nc_u32_e32 v2, 29, v1
	v_sub_nc_u32_e32 v1, 30, v1
	s_delay_alu instid0(VALU_DEP_2) | instskip(NEXT) | instid1(VALU_DEP_1)
	v_lshlrev_b64_e32 v[2:3], v2, v[48:49]
	v_and_b32_e32 v2, 3, v2
.LBB6_14086:                            ;   in Loop: Header=BB6_12937 Depth=3
	s_or_b32 exec_lo, exec_lo, s73
	v_bfe_i32 v3, v48, 0, 16
                                        ; implicit-def: $vgpr48
	s_delay_alu instid0(VALU_DEP_1) | instskip(NEXT) | instid1(VALU_DEP_1)
	v_and_b32_e32 v3, 0x80000000, v3
	v_lshl_add_u32 v1, v1, 23, v3
	s_delay_alu instid0(VALU_DEP_1) | instskip(NEXT) | instid1(VALU_DEP_1)
	v_lshl_or_b32 v1, v2, 21, v1
                                        ; implicit-def: $vgpr2
	v_add_nc_u32_e32 v1, 0x38000000, v1
.LBB6_14087:                            ;   in Loop: Header=BB6_12937 Depth=3
	s_and_not1_saveexec_b32 s73, s13
; %bb.14088:                            ;   in Loop: Header=BB6_12937 Depth=3
	v_cmp_lt_i16_e64 s13, -1, v48
	v_mov_b32_e32 v1, 0x7f800000
	v_cmp_eq_u32_e32 vcc_lo, 0, v2
	s_delay_alu instid0(VALU_DEP_2) | instskip(NEXT) | instid1(VALU_DEP_1)
	v_cndmask_b32_e64 v1, 0xff800000, v1, s13
	v_cndmask_b32_e32 v1, 0x7f800001, v1, vcc_lo
; %bb.14089:                            ;   in Loop: Header=BB6_12937 Depth=3
	s_or_b32 exec_lo, exec_lo, s73
.LBB6_14090:                            ;   in Loop: Header=BB6_12937 Depth=3
	s_delay_alu instid0(SALU_CYCLE_1)
	s_or_b32 exec_lo, exec_lo, s72
.LBB6_14091:                            ;   in Loop: Header=BB6_12937 Depth=3
	s_delay_alu instid0(SALU_CYCLE_1) | instskip(NEXT) | instid1(SALU_CYCLE_1)
	s_or_b32 exec_lo, exec_lo, s43
	s_mov_b32 s43, exec_lo
	v_cmpx_ne_u16_e32 0, v38
	s_cbranch_execz .LBB6_14101
; %bb.14092:                            ;   in Loop: Header=BB6_12937 Depth=3
	v_bfrev_b32_e32 v0, 1
	s_mov_b32 s72, exec_lo
	v_cmpx_ne_u16_e32 0xff80, v38
	s_cbranch_execz .LBB6_14100
; %bb.14093:                            ;   in Loop: Header=BB6_12937 Depth=3
	v_and_b32_e32 v0, 0x7c, v38
	v_and_b32_e32 v2, 3, v38
	s_delay_alu instid0(VALU_DEP_2) | instskip(SKIP_1) | instid1(SALU_CYCLE_1)
	v_cmp_ne_u32_e32 vcc_lo, 0x7c, v0
                                        ; implicit-def: $vgpr0
	s_and_saveexec_b32 s13, vcc_lo
	s_xor_b32 s13, exec_lo, s13
	s_cbranch_execz .LBB6_14097
; %bb.14094:                            ;   in Loop: Header=BB6_12937 Depth=3
	v_and_b32_e32 v0, 0xff, v38
	s_mov_b32 s73, exec_lo
	s_delay_alu instid0(VALU_DEP_1) | instskip(NEXT) | instid1(VALU_DEP_1)
	v_bfe_u32 v0, v0, 2, 5
	v_cmpx_eq_u32_e32 0, v0
	s_cbranch_execz .LBB6_14096
; %bb.14095:                            ;   in Loop: Header=BB6_12937 Depth=3
	v_clz_i32_u32_e32 v0, v2
	s_delay_alu instid0(VALU_DEP_1) | instskip(SKIP_1) | instid1(VALU_DEP_2)
	v_min_u32_e32 v0, 32, v0
	v_mov_b32_e32 v39, v21
	v_subrev_nc_u32_e32 v2, 29, v0
	v_sub_nc_u32_e32 v0, 30, v0
	s_delay_alu instid0(VALU_DEP_2) | instskip(NEXT) | instid1(VALU_DEP_1)
	v_lshlrev_b64_e32 v[2:3], v2, v[38:39]
	v_and_b32_e32 v2, 3, v2
.LBB6_14096:                            ;   in Loop: Header=BB6_12937 Depth=3
	s_or_b32 exec_lo, exec_lo, s73
	v_bfe_i32 v3, v38, 0, 16
                                        ; implicit-def: $vgpr38
	s_delay_alu instid0(VALU_DEP_1) | instskip(NEXT) | instid1(VALU_DEP_1)
	v_and_b32_e32 v3, 0x80000000, v3
	v_lshl_add_u32 v0, v0, 23, v3
	s_delay_alu instid0(VALU_DEP_1) | instskip(NEXT) | instid1(VALU_DEP_1)
	v_lshl_or_b32 v0, v2, 21, v0
                                        ; implicit-def: $vgpr2
	v_add_nc_u32_e32 v0, 0x38000000, v0
.LBB6_14097:                            ;   in Loop: Header=BB6_12937 Depth=3
	s_and_not1_saveexec_b32 s73, s13
; %bb.14098:                            ;   in Loop: Header=BB6_12937 Depth=3
	v_cmp_lt_i16_e64 s13, -1, v38
	v_mov_b32_e32 v0, 0x7f800000
	v_cmp_eq_u32_e32 vcc_lo, 0, v2
	s_delay_alu instid0(VALU_DEP_2) | instskip(NEXT) | instid1(VALU_DEP_1)
	v_cndmask_b32_e64 v0, 0xff800000, v0, s13
	v_cndmask_b32_e32 v0, 0x7f800001, v0, vcc_lo
; %bb.14099:                            ;   in Loop: Header=BB6_12937 Depth=3
	s_or_b32 exec_lo, exec_lo, s73
.LBB6_14100:                            ;   in Loop: Header=BB6_12937 Depth=3
	s_delay_alu instid0(SALU_CYCLE_1)
	s_or_b32 exec_lo, exec_lo, s72
.LBB6_14101:                            ;   in Loop: Header=BB6_12937 Depth=3
	s_delay_alu instid0(SALU_CYCLE_1) | instskip(NEXT) | instid1(VALU_DEP_1)
	s_or_b32 exec_lo, exec_lo, s43
	v_mul_f32_e32 v2, v1, v0
	v_mov_b32_e32 v1, v21
                                        ; implicit-def: $vgpr38
	s_delay_alu instid0(VALU_DEP_2) | instskip(NEXT) | instid1(VALU_DEP_1)
	v_and_b32_e32 v0, 0x7f800000, v2
	v_cmp_ne_u64_e32 vcc_lo, 0x7f800000, v[0:1]
	v_and_b32_e32 v0, 0x7fffff, v2
	s_and_saveexec_b32 s13, vcc_lo
	s_delay_alu instid0(SALU_CYCLE_1)
	s_xor_b32 s43, exec_lo, s13
	s_cbranch_execz .LBB6_14119
; %bb.14102:                            ;   in Loop: Header=BB6_12937 Depth=3
	v_and_b32_e32 v24, 0x7fffffff, v2
	v_dual_mov_b32 v25, v21 :: v_dual_lshrrev_b32 v3, 24, v2
                                        ; implicit-def: $vgpr38
	s_delay_alu instid0(VALU_DEP_1) | instskip(NEXT) | instid1(VALU_DEP_2)
	v_cmp_gt_u64_e32 vcc_lo, 0x47600001, v[24:25]
	v_and_b32_e32 v25, 0x80, v3
	s_and_saveexec_b32 s13, vcc_lo
	s_delay_alu instid0(SALU_CYCLE_1)
	s_xor_b32 s72, exec_lo, s13
	s_cbranch_execz .LBB6_14116
; %bb.14103:                            ;   in Loop: Header=BB6_12937 Depth=3
	v_mov_b32_e32 v38, 0
	s_mov_b32 s73, exec_lo
	v_cmpx_ne_u32_e32 0, v2
	s_cbranch_execz .LBB6_14115
; %bb.14104:                            ;   in Loop: Header=BB6_12937 Depth=3
	v_bfe_u32 v27, v2, 23, 8
	v_or_b32_e32 v3, 0x800000, v0
	s_delay_alu instid0(VALU_DEP_2) | instskip(SKIP_2) | instid1(VALU_DEP_2)
	v_cmp_gt_u32_e64 s13, 0x72, v27
	v_sub_nc_u32_e32 v2, 0x71, v27
	v_cmp_eq_u32_e32 vcc_lo, 0, v27
	v_dual_cndmask_b32 v2, 0, v2, s13 :: v_dual_cndmask_b32 v0, v3, v0, vcc_lo
	s_delay_alu instid0(VALU_DEP_1) | instskip(NEXT) | instid1(VALU_DEP_1)
	v_cndmask_b32_e64 v33, v2, 0x70, vcc_lo
	v_dual_add_nc_u32 v2, 21, v33 :: v_dual_add_nc_u32 v24, 20, v33
	s_delay_alu instid0(VALU_DEP_1) | instskip(NEXT) | instid1(VALU_DEP_2)
	v_lshlrev_b64_e64 v[2:3], v2, -1
	v_lshlrev_b64_e64 v[38:39], v24, 1
	s_delay_alu instid0(VALU_DEP_2) | instskip(SKIP_1) | instid1(VALU_DEP_4)
	v_bfi_b32 v2, v2, 0, v0
	v_lshrrev_b64 v[0:1], v33, v[0:1]
	v_bfi_b32 v3, v3, 0, 0
	s_delay_alu instid0(VALU_DEP_1) | instskip(NEXT) | instid1(VALU_DEP_3)
	v_cmp_eq_u64_e64 s13, v[2:3], v[38:39]
	v_mov_b64_e32 v[2:3], v[0:1]
	s_and_saveexec_b32 s74, s13
; %bb.14105:                            ;   in Loop: Header=BB6_12937 Depth=3
	v_bfe_u32 v2, v0, 21, 1
	v_mov_b32_e32 v3, v21
	s_delay_alu instid0(VALU_DEP_1) | instskip(NEXT) | instid1(VALU_DEP_1)
	v_add_nc_u64_e32 v[2:3], v[0:1], v[2:3]
	v_add_nc_u64_e32 v[2:3], -1, v[2:3]
; %bb.14106:                            ;   in Loop: Header=BB6_12937 Depth=3
	s_or_b32 exec_lo, exec_lo, s74
	v_add_nc_u32_e32 v1, 0xffffff81, v27
	v_lshrrev_b32_e32 v3, 23, v0
	s_mov_b32 s13, exec_lo
	s_delay_alu instid0(VALU_DEP_2) | instskip(NEXT) | instid1(VALU_DEP_1)
	v_cndmask_b32_e64 v1, v1, 0xffffff82, vcc_lo
	v_add3_u32 v27, v33, v1, v3
	v_and_b32_e32 v1, 0x1fffff, v2
                                        ; implicit-def: $vgpr2
	s_delay_alu instid0(VALU_DEP_1) | instskip(SKIP_1) | instid1(VALU_DEP_2)
	v_dual_add_nc_u32 v3, 14, v27 :: v_dual_add_nc_u32 v0, v1, v0
	v_mov_b32_e32 v1, v21
	v_cmpx_ne_u32_e32 0, v3
	s_xor_b32 s13, exec_lo, s13
; %bb.14107:                            ;   in Loop: Header=BB6_12937 Depth=3
	s_delay_alu instid0(VALU_DEP_2) | instskip(SKIP_1) | instid1(VALU_DEP_1)
	v_cmp_lt_u64_e32 vcc_lo, 0xffffff, v[0:1]
	v_add_nc_u32_e32 v2, 15, v27
	v_cndmask_b32_e32 v2, v3, v2, vcc_lo
	v_cndmask_b32_e64 v3, 0, 1, vcc_lo
	s_delay_alu instid0(VALU_DEP_1)
	v_lshrrev_b64 v[0:1], v3, v[0:1]
; %bb.14108:                            ;   in Loop: Header=BB6_12937 Depth=3
	s_and_not1_saveexec_b32 s13, s13
; %bb.14109:                            ;   in Loop: Header=BB6_12937 Depth=3
	s_delay_alu instid0(VALU_DEP_1)
	v_bfe_u32 v2, v0, 23, 1
; %bb.14110:                            ;   in Loop: Header=BB6_12937 Depth=3
	s_or_b32 exec_lo, exec_lo, s13
	s_delay_alu instid0(VALU_DEP_2) | instskip(NEXT) | instid1(VALU_DEP_2)
	v_lshrrev_b64 v[0:1], 21, v[0:1]
	v_cmp_gt_i32_e32 vcc_lo, 32, v2
	v_cmp_ne_u32_e64 s13, 0, v2
                                        ; implicit-def: $vgpr38
	s_delay_alu instid0(VALU_DEP_3) | instskip(NEXT) | instid1(VALU_DEP_1)
	v_dual_cndmask_b32 v1, 0, v1 :: v_dual_cndmask_b32 v0, 3, v0
	v_cmp_ne_u64_e32 vcc_lo, 0, v[0:1]
	s_or_b32 s13, s13, vcc_lo
	s_delay_alu instid0(SALU_CYCLE_1) | instskip(NEXT) | instid1(SALU_CYCLE_1)
	s_and_saveexec_b32 s74, s13
	s_xor_b32 s13, exec_lo, s74
; %bb.14111:                            ;   in Loop: Header=BB6_12937 Depth=3
	v_min_i32_e32 v1, 31, v2
	s_delay_alu instid0(VALU_DEP_1) | instskip(NEXT) | instid1(VALU_DEP_1)
	v_lshl_or_b32 v1, v1, 2, v25
                                        ; implicit-def: $vgpr25
	v_and_or_b32 v38, v0, 3, v1
; %bb.14112:                            ;   in Loop: Header=BB6_12937 Depth=3
	s_and_not1_saveexec_b32 s13, s13
; %bb.14113:                            ;   in Loop: Header=BB6_12937 Depth=3
	v_mov_b32_e32 v38, v25
; %bb.14114:                            ;   in Loop: Header=BB6_12937 Depth=3
	s_or_b32 exec_lo, exec_lo, s13
.LBB6_14115:                            ;   in Loop: Header=BB6_12937 Depth=3
	s_delay_alu instid0(SALU_CYCLE_1)
	s_or_b32 exec_lo, exec_lo, s73
                                        ; implicit-def: $vgpr25
.LBB6_14116:                            ;   in Loop: Header=BB6_12937 Depth=3
	s_and_not1_saveexec_b32 s13, s72
; %bb.14117:                            ;   in Loop: Header=BB6_12937 Depth=3
	v_or_b32_e32 v38, 0x7b, v25
; %bb.14118:                            ;   in Loop: Header=BB6_12937 Depth=3
	s_or_b32 exec_lo, exec_lo, s13
                                        ; implicit-def: $vgpr2
                                        ; implicit-def: $vgpr0_vgpr1
.LBB6_14119:                            ;   in Loop: Header=BB6_12937 Depth=3
	s_and_not1_saveexec_b32 s13, s43
	s_cbranch_execz .LBB6_14125
; %bb.14120:                            ;   in Loop: Header=BB6_12937 Depth=3
	s_mov_b32 s43, exec_lo
                                        ; implicit-def: $vgpr38
	v_cmpx_ne_u64_e32 0, v[0:1]
	s_xor_b32 s43, exec_lo, s43
; %bb.14121:                            ;   in Loop: Header=BB6_12937 Depth=3
	v_lshrrev_b32_e32 v0, 24, v2
                                        ; implicit-def: $vgpr2
	s_delay_alu instid0(VALU_DEP_1)
	v_or_b32_e32 v38, 0x7f, v0
; %bb.14122:                            ;   in Loop: Header=BB6_12937 Depth=3
	s_and_not1_saveexec_b32 s43, s43
; %bb.14123:                            ;   in Loop: Header=BB6_12937 Depth=3
	v_cmp_lt_i32_e32 vcc_lo, -1, v2
	v_cndmask_b32_e64 v38, -4, 0x7c, vcc_lo
; %bb.14124:                            ;   in Loop: Header=BB6_12937 Depth=3
	s_or_b32 exec_lo, exec_lo, s43
.LBB6_14125:                            ;   in Loop: Header=BB6_12937 Depth=3
	s_delay_alu instid0(SALU_CYCLE_1)
	s_or_b32 exec_lo, exec_lo, s13
	v_dual_mov_b32 v0, 0 :: v_dual_mov_b32 v1, 0
	s_mov_b32 s43, exec_lo
	v_cmpx_ne_u16_e32 0, v36
	s_cbranch_execz .LBB6_14135
; %bb.14126:                            ;   in Loop: Header=BB6_12937 Depth=3
	v_bfrev_b32_e32 v1, 1
	s_mov_b32 s72, exec_lo
	v_cmpx_ne_u16_e32 0xff80, v36
	s_cbranch_execz .LBB6_14134
; %bb.14127:                            ;   in Loop: Header=BB6_12937 Depth=3
	v_and_b32_e32 v1, 0x7c, v36
	v_and_b32_e32 v2, 3, v36
	s_delay_alu instid0(VALU_DEP_2) | instskip(SKIP_1) | instid1(SALU_CYCLE_1)
	v_cmp_ne_u32_e32 vcc_lo, 0x7c, v1
                                        ; implicit-def: $vgpr1
	s_and_saveexec_b32 s13, vcc_lo
	s_xor_b32 s13, exec_lo, s13
	s_cbranch_execz .LBB6_14131
; %bb.14128:                            ;   in Loop: Header=BB6_12937 Depth=3
	v_and_b32_e32 v1, 0xff, v36
	s_mov_b32 s73, exec_lo
	s_delay_alu instid0(VALU_DEP_1) | instskip(NEXT) | instid1(VALU_DEP_1)
	v_bfe_u32 v1, v1, 2, 5
	v_cmpx_eq_u32_e32 0, v1
	s_cbranch_execz .LBB6_14130
; %bb.14129:                            ;   in Loop: Header=BB6_12937 Depth=3
	v_clz_i32_u32_e32 v1, v2
	s_delay_alu instid0(VALU_DEP_1) | instskip(SKIP_1) | instid1(VALU_DEP_2)
	v_min_u32_e32 v1, 32, v1
	v_mov_b32_e32 v37, v21
	v_subrev_nc_u32_e32 v2, 29, v1
	v_sub_nc_u32_e32 v1, 30, v1
	s_delay_alu instid0(VALU_DEP_2) | instskip(NEXT) | instid1(VALU_DEP_1)
	v_lshlrev_b64_e32 v[2:3], v2, v[36:37]
	v_and_b32_e32 v2, 3, v2
.LBB6_14130:                            ;   in Loop: Header=BB6_12937 Depth=3
	s_or_b32 exec_lo, exec_lo, s73
	v_bfe_i32 v3, v36, 0, 16
                                        ; implicit-def: $vgpr36
	s_delay_alu instid0(VALU_DEP_1) | instskip(NEXT) | instid1(VALU_DEP_1)
	v_and_b32_e32 v3, 0x80000000, v3
	v_lshl_add_u32 v1, v1, 23, v3
	s_delay_alu instid0(VALU_DEP_1) | instskip(NEXT) | instid1(VALU_DEP_1)
	v_lshl_or_b32 v1, v2, 21, v1
                                        ; implicit-def: $vgpr2
	v_add_nc_u32_e32 v1, 0x38000000, v1
.LBB6_14131:                            ;   in Loop: Header=BB6_12937 Depth=3
	s_and_not1_saveexec_b32 s73, s13
; %bb.14132:                            ;   in Loop: Header=BB6_12937 Depth=3
	v_cmp_lt_i16_e64 s13, -1, v36
	v_mov_b32_e32 v1, 0x7f800000
	v_cmp_eq_u32_e32 vcc_lo, 0, v2
	s_delay_alu instid0(VALU_DEP_2) | instskip(NEXT) | instid1(VALU_DEP_1)
	v_cndmask_b32_e64 v1, 0xff800000, v1, s13
	v_cndmask_b32_e32 v1, 0x7f800001, v1, vcc_lo
; %bb.14133:                            ;   in Loop: Header=BB6_12937 Depth=3
	s_or_b32 exec_lo, exec_lo, s73
.LBB6_14134:                            ;   in Loop: Header=BB6_12937 Depth=3
	s_delay_alu instid0(SALU_CYCLE_1)
	s_or_b32 exec_lo, exec_lo, s72
.LBB6_14135:                            ;   in Loop: Header=BB6_12937 Depth=3
	s_delay_alu instid0(SALU_CYCLE_1) | instskip(NEXT) | instid1(SALU_CYCLE_1)
	s_or_b32 exec_lo, exec_lo, s43
	s_mov_b32 s43, exec_lo
	v_cmpx_ne_u16_e32 0, v34
	s_cbranch_execz .LBB6_14145
; %bb.14136:                            ;   in Loop: Header=BB6_12937 Depth=3
	v_bfrev_b32_e32 v0, 1
	s_mov_b32 s72, exec_lo
	v_cmpx_ne_u16_e32 0xff80, v34
	s_cbranch_execz .LBB6_14144
; %bb.14137:                            ;   in Loop: Header=BB6_12937 Depth=3
	v_and_b32_e32 v0, 0x7c, v34
	v_and_b32_e32 v2, 3, v34
	s_delay_alu instid0(VALU_DEP_2) | instskip(SKIP_1) | instid1(SALU_CYCLE_1)
	v_cmp_ne_u32_e32 vcc_lo, 0x7c, v0
                                        ; implicit-def: $vgpr0
	s_and_saveexec_b32 s13, vcc_lo
	s_xor_b32 s13, exec_lo, s13
	s_cbranch_execz .LBB6_14141
; %bb.14138:                            ;   in Loop: Header=BB6_12937 Depth=3
	v_and_b32_e32 v0, 0xff, v34
	s_mov_b32 s73, exec_lo
	s_delay_alu instid0(VALU_DEP_1) | instskip(NEXT) | instid1(VALU_DEP_1)
	v_bfe_u32 v0, v0, 2, 5
	v_cmpx_eq_u32_e32 0, v0
	s_cbranch_execz .LBB6_14140
; %bb.14139:                            ;   in Loop: Header=BB6_12937 Depth=3
	v_clz_i32_u32_e32 v0, v2
	s_delay_alu instid0(VALU_DEP_1) | instskip(SKIP_1) | instid1(VALU_DEP_2)
	v_min_u32_e32 v0, 32, v0
	v_mov_b32_e32 v35, v21
	v_subrev_nc_u32_e32 v2, 29, v0
	v_sub_nc_u32_e32 v0, 30, v0
	s_delay_alu instid0(VALU_DEP_2) | instskip(NEXT) | instid1(VALU_DEP_1)
	v_lshlrev_b64_e32 v[2:3], v2, v[34:35]
	v_and_b32_e32 v2, 3, v2
.LBB6_14140:                            ;   in Loop: Header=BB6_12937 Depth=3
	s_or_b32 exec_lo, exec_lo, s73
	v_bfe_i32 v3, v34, 0, 16
                                        ; implicit-def: $vgpr34
	s_delay_alu instid0(VALU_DEP_1) | instskip(NEXT) | instid1(VALU_DEP_1)
	v_and_b32_e32 v3, 0x80000000, v3
	v_lshl_add_u32 v0, v0, 23, v3
	s_delay_alu instid0(VALU_DEP_1) | instskip(NEXT) | instid1(VALU_DEP_1)
	v_lshl_or_b32 v0, v2, 21, v0
                                        ; implicit-def: $vgpr2
	v_add_nc_u32_e32 v0, 0x38000000, v0
.LBB6_14141:                            ;   in Loop: Header=BB6_12937 Depth=3
	s_and_not1_saveexec_b32 s73, s13
; %bb.14142:                            ;   in Loop: Header=BB6_12937 Depth=3
	v_cmp_lt_i16_e64 s13, -1, v34
	v_mov_b32_e32 v0, 0x7f800000
	v_cmp_eq_u32_e32 vcc_lo, 0, v2
	s_delay_alu instid0(VALU_DEP_2) | instskip(NEXT) | instid1(VALU_DEP_1)
	v_cndmask_b32_e64 v0, 0xff800000, v0, s13
	v_cndmask_b32_e32 v0, 0x7f800001, v0, vcc_lo
; %bb.14143:                            ;   in Loop: Header=BB6_12937 Depth=3
	s_or_b32 exec_lo, exec_lo, s73
.LBB6_14144:                            ;   in Loop: Header=BB6_12937 Depth=3
	s_delay_alu instid0(SALU_CYCLE_1)
	s_or_b32 exec_lo, exec_lo, s72
.LBB6_14145:                            ;   in Loop: Header=BB6_12937 Depth=3
	s_delay_alu instid0(SALU_CYCLE_1) | instskip(NEXT) | instid1(VALU_DEP_1)
	s_or_b32 exec_lo, exec_lo, s43
	v_mul_f32_e32 v2, v1, v0
	v_mov_b32_e32 v1, v21
                                        ; implicit-def: $vgpr34
	s_delay_alu instid0(VALU_DEP_2) | instskip(NEXT) | instid1(VALU_DEP_1)
	v_and_b32_e32 v0, 0x7f800000, v2
	v_cmp_ne_u64_e32 vcc_lo, 0x7f800000, v[0:1]
	v_and_b32_e32 v0, 0x7fffff, v2
	s_and_saveexec_b32 s13, vcc_lo
	s_delay_alu instid0(SALU_CYCLE_1)
	s_xor_b32 s43, exec_lo, s13
	s_cbranch_execz .LBB6_14163
; %bb.14146:                            ;   in Loop: Header=BB6_12937 Depth=3
	v_and_b32_e32 v24, 0x7fffffff, v2
	v_dual_mov_b32 v25, v21 :: v_dual_lshrrev_b32 v3, 24, v2
                                        ; implicit-def: $vgpr34
	s_delay_alu instid0(VALU_DEP_1) | instskip(NEXT) | instid1(VALU_DEP_2)
	v_cmp_gt_u64_e32 vcc_lo, 0x47600001, v[24:25]
	v_and_b32_e32 v25, 0x80, v3
	s_and_saveexec_b32 s13, vcc_lo
	s_delay_alu instid0(SALU_CYCLE_1)
	s_xor_b32 s72, exec_lo, s13
	s_cbranch_execz .LBB6_14160
; %bb.14147:                            ;   in Loop: Header=BB6_12937 Depth=3
	v_mov_b32_e32 v34, 0
	s_mov_b32 s73, exec_lo
	v_cmpx_ne_u32_e32 0, v2
	s_cbranch_execz .LBB6_14159
; %bb.14148:                            ;   in Loop: Header=BB6_12937 Depth=3
	v_bfe_u32 v27, v2, 23, 8
	v_or_b32_e32 v3, 0x800000, v0
	s_delay_alu instid0(VALU_DEP_2) | instskip(SKIP_2) | instid1(VALU_DEP_2)
	v_cmp_gt_u32_e64 s13, 0x72, v27
	v_sub_nc_u32_e32 v2, 0x71, v27
	v_cmp_eq_u32_e32 vcc_lo, 0, v27
	v_dual_cndmask_b32 v2, 0, v2, s13 :: v_dual_cndmask_b32 v0, v3, v0, vcc_lo
	s_delay_alu instid0(VALU_DEP_1) | instskip(NEXT) | instid1(VALU_DEP_1)
	v_cndmask_b32_e64 v33, v2, 0x70, vcc_lo
	v_dual_add_nc_u32 v2, 21, v33 :: v_dual_add_nc_u32 v24, 20, v33
	s_delay_alu instid0(VALU_DEP_1) | instskip(NEXT) | instid1(VALU_DEP_2)
	v_lshlrev_b64_e64 v[2:3], v2, -1
	v_lshlrev_b64_e64 v[34:35], v24, 1
	s_delay_alu instid0(VALU_DEP_2) | instskip(SKIP_1) | instid1(VALU_DEP_4)
	v_bfi_b32 v2, v2, 0, v0
	v_lshrrev_b64 v[0:1], v33, v[0:1]
	v_bfi_b32 v3, v3, 0, 0
	s_delay_alu instid0(VALU_DEP_1) | instskip(NEXT) | instid1(VALU_DEP_3)
	v_cmp_eq_u64_e64 s13, v[2:3], v[34:35]
	v_mov_b64_e32 v[2:3], v[0:1]
	s_and_saveexec_b32 s74, s13
; %bb.14149:                            ;   in Loop: Header=BB6_12937 Depth=3
	v_bfe_u32 v2, v0, 21, 1
	v_mov_b32_e32 v3, v21
	s_delay_alu instid0(VALU_DEP_1) | instskip(NEXT) | instid1(VALU_DEP_1)
	v_add_nc_u64_e32 v[2:3], v[0:1], v[2:3]
	v_add_nc_u64_e32 v[2:3], -1, v[2:3]
; %bb.14150:                            ;   in Loop: Header=BB6_12937 Depth=3
	s_or_b32 exec_lo, exec_lo, s74
	v_add_nc_u32_e32 v1, 0xffffff81, v27
	v_lshrrev_b32_e32 v3, 23, v0
	s_mov_b32 s13, exec_lo
	s_delay_alu instid0(VALU_DEP_2) | instskip(NEXT) | instid1(VALU_DEP_1)
	v_cndmask_b32_e64 v1, v1, 0xffffff82, vcc_lo
	v_add3_u32 v27, v33, v1, v3
	v_and_b32_e32 v1, 0x1fffff, v2
                                        ; implicit-def: $vgpr2
	s_delay_alu instid0(VALU_DEP_1) | instskip(SKIP_1) | instid1(VALU_DEP_2)
	v_dual_add_nc_u32 v3, 14, v27 :: v_dual_add_nc_u32 v0, v1, v0
	v_mov_b32_e32 v1, v21
	v_cmpx_ne_u32_e32 0, v3
	s_xor_b32 s13, exec_lo, s13
; %bb.14151:                            ;   in Loop: Header=BB6_12937 Depth=3
	s_delay_alu instid0(VALU_DEP_2) | instskip(SKIP_1) | instid1(VALU_DEP_1)
	v_cmp_lt_u64_e32 vcc_lo, 0xffffff, v[0:1]
	v_add_nc_u32_e32 v2, 15, v27
	v_cndmask_b32_e32 v2, v3, v2, vcc_lo
	v_cndmask_b32_e64 v3, 0, 1, vcc_lo
	s_delay_alu instid0(VALU_DEP_1)
	v_lshrrev_b64 v[0:1], v3, v[0:1]
; %bb.14152:                            ;   in Loop: Header=BB6_12937 Depth=3
	s_and_not1_saveexec_b32 s13, s13
; %bb.14153:                            ;   in Loop: Header=BB6_12937 Depth=3
	s_delay_alu instid0(VALU_DEP_1)
	v_bfe_u32 v2, v0, 23, 1
; %bb.14154:                            ;   in Loop: Header=BB6_12937 Depth=3
	s_or_b32 exec_lo, exec_lo, s13
	s_delay_alu instid0(VALU_DEP_2) | instskip(NEXT) | instid1(VALU_DEP_2)
	v_lshrrev_b64 v[0:1], 21, v[0:1]
	v_cmp_gt_i32_e32 vcc_lo, 32, v2
	v_cmp_ne_u32_e64 s13, 0, v2
                                        ; implicit-def: $vgpr34
	s_delay_alu instid0(VALU_DEP_3) | instskip(NEXT) | instid1(VALU_DEP_1)
	v_dual_cndmask_b32 v1, 0, v1 :: v_dual_cndmask_b32 v0, 3, v0
	v_cmp_ne_u64_e32 vcc_lo, 0, v[0:1]
	s_or_b32 s13, s13, vcc_lo
	s_delay_alu instid0(SALU_CYCLE_1) | instskip(NEXT) | instid1(SALU_CYCLE_1)
	s_and_saveexec_b32 s74, s13
	s_xor_b32 s13, exec_lo, s74
; %bb.14155:                            ;   in Loop: Header=BB6_12937 Depth=3
	v_min_i32_e32 v1, 31, v2
	s_delay_alu instid0(VALU_DEP_1) | instskip(NEXT) | instid1(VALU_DEP_1)
	v_lshl_or_b32 v1, v1, 2, v25
                                        ; implicit-def: $vgpr25
	v_and_or_b32 v34, v0, 3, v1
; %bb.14156:                            ;   in Loop: Header=BB6_12937 Depth=3
	s_and_not1_saveexec_b32 s13, s13
; %bb.14157:                            ;   in Loop: Header=BB6_12937 Depth=3
	v_mov_b32_e32 v34, v25
; %bb.14158:                            ;   in Loop: Header=BB6_12937 Depth=3
	s_or_b32 exec_lo, exec_lo, s13
.LBB6_14159:                            ;   in Loop: Header=BB6_12937 Depth=3
	s_delay_alu instid0(SALU_CYCLE_1)
	s_or_b32 exec_lo, exec_lo, s73
                                        ; implicit-def: $vgpr25
.LBB6_14160:                            ;   in Loop: Header=BB6_12937 Depth=3
	s_and_not1_saveexec_b32 s13, s72
; %bb.14161:                            ;   in Loop: Header=BB6_12937 Depth=3
	v_or_b32_e32 v34, 0x7b, v25
; %bb.14162:                            ;   in Loop: Header=BB6_12937 Depth=3
	s_or_b32 exec_lo, exec_lo, s13
                                        ; implicit-def: $vgpr2
                                        ; implicit-def: $vgpr0_vgpr1
.LBB6_14163:                            ;   in Loop: Header=BB6_12937 Depth=3
	s_and_not1_saveexec_b32 s13, s43
	s_cbranch_execz .LBB6_14169
; %bb.14164:                            ;   in Loop: Header=BB6_12937 Depth=3
	s_mov_b32 s43, exec_lo
                                        ; implicit-def: $vgpr34
	v_cmpx_ne_u64_e32 0, v[0:1]
	s_xor_b32 s43, exec_lo, s43
; %bb.14165:                            ;   in Loop: Header=BB6_12937 Depth=3
	v_lshrrev_b32_e32 v0, 24, v2
                                        ; implicit-def: $vgpr2
	s_delay_alu instid0(VALU_DEP_1)
	v_or_b32_e32 v34, 0x7f, v0
; %bb.14166:                            ;   in Loop: Header=BB6_12937 Depth=3
	s_and_not1_saveexec_b32 s43, s43
; %bb.14167:                            ;   in Loop: Header=BB6_12937 Depth=3
	v_cmp_lt_i32_e32 vcc_lo, -1, v2
	v_cndmask_b32_e64 v34, -4, 0x7c, vcc_lo
; %bb.14168:                            ;   in Loop: Header=BB6_12937 Depth=3
	s_or_b32 exec_lo, exec_lo, s43
.LBB6_14169:                            ;   in Loop: Header=BB6_12937 Depth=3
	s_delay_alu instid0(SALU_CYCLE_1)
	s_or_b32 exec_lo, exec_lo, s13
	v_dual_mov_b32 v0, 0 :: v_dual_mov_b32 v1, 0
	s_mov_b32 s43, exec_lo
	v_cmpx_ne_u16_e32 0, v32
	s_cbranch_execz .LBB6_14179
; %bb.14170:                            ;   in Loop: Header=BB6_12937 Depth=3
	v_bfrev_b32_e32 v1, 1
	s_mov_b32 s72, exec_lo
	v_cmpx_ne_u16_e32 0xff80, v32
	s_cbranch_execz .LBB6_14178
; %bb.14171:                            ;   in Loop: Header=BB6_12937 Depth=3
	v_and_b32_e32 v1, 0x7c, v32
	v_and_b32_e32 v2, 3, v32
	s_delay_alu instid0(VALU_DEP_2) | instskip(SKIP_1) | instid1(SALU_CYCLE_1)
	v_cmp_ne_u32_e32 vcc_lo, 0x7c, v1
                                        ; implicit-def: $vgpr1
	s_and_saveexec_b32 s13, vcc_lo
	s_xor_b32 s13, exec_lo, s13
	s_cbranch_execz .LBB6_14175
; %bb.14172:                            ;   in Loop: Header=BB6_12937 Depth=3
	v_and_b32_e32 v1, 0xff, v32
	s_mov_b32 s73, exec_lo
	s_delay_alu instid0(VALU_DEP_1) | instskip(NEXT) | instid1(VALU_DEP_1)
	v_bfe_u32 v1, v1, 2, 5
	v_cmpx_eq_u32_e32 0, v1
	s_cbranch_execz .LBB6_14174
; %bb.14173:                            ;   in Loop: Header=BB6_12937 Depth=3
	v_clz_i32_u32_e32 v1, v2
	s_delay_alu instid0(VALU_DEP_1) | instskip(SKIP_1) | instid1(VALU_DEP_2)
	v_min_u32_e32 v1, 32, v1
	v_mov_b32_e32 v33, v21
	v_subrev_nc_u32_e32 v2, 29, v1
	v_sub_nc_u32_e32 v1, 30, v1
	s_delay_alu instid0(VALU_DEP_2) | instskip(NEXT) | instid1(VALU_DEP_1)
	v_lshlrev_b64_e32 v[2:3], v2, v[32:33]
	v_and_b32_e32 v2, 3, v2
.LBB6_14174:                            ;   in Loop: Header=BB6_12937 Depth=3
	s_or_b32 exec_lo, exec_lo, s73
	v_bfe_i32 v3, v32, 0, 16
                                        ; implicit-def: $vgpr32
	s_delay_alu instid0(VALU_DEP_1) | instskip(NEXT) | instid1(VALU_DEP_1)
	v_and_b32_e32 v3, 0x80000000, v3
	v_lshl_add_u32 v1, v1, 23, v3
	s_delay_alu instid0(VALU_DEP_1) | instskip(NEXT) | instid1(VALU_DEP_1)
	v_lshl_or_b32 v1, v2, 21, v1
                                        ; implicit-def: $vgpr2
	v_add_nc_u32_e32 v1, 0x38000000, v1
.LBB6_14175:                            ;   in Loop: Header=BB6_12937 Depth=3
	s_and_not1_saveexec_b32 s73, s13
; %bb.14176:                            ;   in Loop: Header=BB6_12937 Depth=3
	v_cmp_lt_i16_e64 s13, -1, v32
	v_mov_b32_e32 v1, 0x7f800000
	v_cmp_eq_u32_e32 vcc_lo, 0, v2
	s_delay_alu instid0(VALU_DEP_2) | instskip(NEXT) | instid1(VALU_DEP_1)
	v_cndmask_b32_e64 v1, 0xff800000, v1, s13
	v_cndmask_b32_e32 v1, 0x7f800001, v1, vcc_lo
; %bb.14177:                            ;   in Loop: Header=BB6_12937 Depth=3
	s_or_b32 exec_lo, exec_lo, s73
.LBB6_14178:                            ;   in Loop: Header=BB6_12937 Depth=3
	s_delay_alu instid0(SALU_CYCLE_1)
	s_or_b32 exec_lo, exec_lo, s72
.LBB6_14179:                            ;   in Loop: Header=BB6_12937 Depth=3
	s_delay_alu instid0(SALU_CYCLE_1) | instskip(NEXT) | instid1(SALU_CYCLE_1)
	s_or_b32 exec_lo, exec_lo, s43
	s_mov_b32 s13, exec_lo
	v_cmpx_ne_u16_e32 0, v26
	s_cbranch_execz .LBB6_14189
; %bb.14180:                            ;   in Loop: Header=BB6_12937 Depth=3
	v_bfrev_b32_e32 v0, 1
	s_mov_b32 s43, exec_lo
	v_cmpx_ne_u16_e32 0xff80, v26
	s_cbranch_execz .LBB6_14188
; %bb.14181:                            ;   in Loop: Header=BB6_12937 Depth=3
	v_and_b32_e32 v0, 0x7c, v26
	v_and_b32_e32 v2, 3, v26
	s_delay_alu instid0(VALU_DEP_2) | instskip(SKIP_1) | instid1(SALU_CYCLE_1)
	v_cmp_ne_u32_e32 vcc_lo, 0x7c, v0
                                        ; implicit-def: $vgpr0
	s_and_saveexec_b32 s72, vcc_lo
	s_xor_b32 s72, exec_lo, s72
	s_cbranch_execz .LBB6_14185
; %bb.14182:                            ;   in Loop: Header=BB6_12937 Depth=3
	v_and_b32_e32 v0, 0xff, v26
	s_mov_b32 s73, exec_lo
	s_delay_alu instid0(VALU_DEP_1) | instskip(NEXT) | instid1(VALU_DEP_1)
	v_bfe_u32 v0, v0, 2, 5
	v_cmpx_eq_u32_e32 0, v0
	s_cbranch_execz .LBB6_14184
; %bb.14183:                            ;   in Loop: Header=BB6_12937 Depth=3
	v_clz_i32_u32_e32 v0, v2
	s_delay_alu instid0(VALU_DEP_1) | instskip(SKIP_1) | instid1(VALU_DEP_2)
	v_min_u32_e32 v0, 32, v0
	v_mov_b32_e32 v27, v21
	v_subrev_nc_u32_e32 v2, 29, v0
	v_sub_nc_u32_e32 v0, 30, v0
	s_delay_alu instid0(VALU_DEP_2) | instskip(NEXT) | instid1(VALU_DEP_1)
	v_lshlrev_b64_e32 v[2:3], v2, v[26:27]
	v_and_b32_e32 v2, 3, v2
.LBB6_14184:                            ;   in Loop: Header=BB6_12937 Depth=3
	s_or_b32 exec_lo, exec_lo, s73
	v_bfe_i32 v3, v26, 0, 16
                                        ; implicit-def: $vgpr26
	s_delay_alu instid0(VALU_DEP_1) | instskip(NEXT) | instid1(VALU_DEP_1)
	v_and_b32_e32 v3, 0x80000000, v3
	v_lshl_add_u32 v0, v0, 23, v3
	s_delay_alu instid0(VALU_DEP_1) | instskip(NEXT) | instid1(VALU_DEP_1)
	v_lshl_or_b32 v0, v2, 21, v0
                                        ; implicit-def: $vgpr2
	v_add_nc_u32_e32 v0, 0x38000000, v0
.LBB6_14185:                            ;   in Loop: Header=BB6_12937 Depth=3
	s_and_not1_saveexec_b32 s72, s72
; %bb.14186:                            ;   in Loop: Header=BB6_12937 Depth=3
	v_cmp_lt_i16_e32 vcc_lo, -1, v26
	v_mov_b32_e32 v0, 0x7f800000
	s_delay_alu instid0(VALU_DEP_1) | instskip(SKIP_1) | instid1(VALU_DEP_2)
	v_cndmask_b32_e32 v0, 0xff800000, v0, vcc_lo
	v_cmp_eq_u32_e32 vcc_lo, 0, v2
	v_cndmask_b32_e32 v0, 0x7f800001, v0, vcc_lo
; %bb.14187:                            ;   in Loop: Header=BB6_12937 Depth=3
	s_or_b32 exec_lo, exec_lo, s72
.LBB6_14188:                            ;   in Loop: Header=BB6_12937 Depth=3
	s_delay_alu instid0(SALU_CYCLE_1)
	s_or_b32 exec_lo, exec_lo, s43
.LBB6_14189:                            ;   in Loop: Header=BB6_12937 Depth=3
	s_delay_alu instid0(SALU_CYCLE_1) | instskip(NEXT) | instid1(VALU_DEP_1)
	s_or_b32 exec_lo, exec_lo, s13
	v_mul_f32_e32 v2, v1, v0
	v_mov_b32_e32 v1, v21
                                        ; implicit-def: $vgpr26
	s_delay_alu instid0(VALU_DEP_2) | instskip(NEXT) | instid1(VALU_DEP_1)
	v_and_b32_e32 v0, 0x7f800000, v2
	v_cmp_ne_u64_e32 vcc_lo, 0x7f800000, v[0:1]
	v_and_b32_e32 v0, 0x7fffff, v2
	s_and_saveexec_b32 s13, vcc_lo
	s_delay_alu instid0(SALU_CYCLE_1)
	s_xor_b32 s43, exec_lo, s13
	s_cbranch_execz .LBB6_14207
; %bb.14190:                            ;   in Loop: Header=BB6_12937 Depth=3
	v_and_b32_e32 v24, 0x7fffffff, v2
	v_dual_mov_b32 v25, v21 :: v_dual_lshrrev_b32 v3, 24, v2
                                        ; implicit-def: $vgpr26
	s_delay_alu instid0(VALU_DEP_1) | instskip(NEXT) | instid1(VALU_DEP_2)
	v_cmp_gt_u64_e32 vcc_lo, 0x47600001, v[24:25]
	v_and_b32_e32 v25, 0x80, v3
	s_and_saveexec_b32 s13, vcc_lo
	s_delay_alu instid0(SALU_CYCLE_1)
	s_xor_b32 s72, exec_lo, s13
	s_cbranch_execz .LBB6_14204
; %bb.14191:                            ;   in Loop: Header=BB6_12937 Depth=3
	v_mov_b32_e32 v26, 0
	s_mov_b32 s73, exec_lo
	v_cmpx_ne_u32_e32 0, v2
	s_cbranch_execz .LBB6_14203
; %bb.14192:                            ;   in Loop: Header=BB6_12937 Depth=3
	v_bfe_u32 v26, v2, 23, 8
	v_or_b32_e32 v3, 0x800000, v0
	s_delay_alu instid0(VALU_DEP_2) | instskip(SKIP_2) | instid1(VALU_DEP_2)
	v_cmp_gt_u32_e64 s13, 0x72, v26
	v_sub_nc_u32_e32 v2, 0x71, v26
	v_cmp_eq_u32_e32 vcc_lo, 0, v26
	v_dual_cndmask_b32 v2, 0, v2, s13 :: v_dual_cndmask_b32 v0, v3, v0, vcc_lo
	s_delay_alu instid0(VALU_DEP_1) | instskip(NEXT) | instid1(VALU_DEP_1)
	v_cndmask_b32_e64 v27, v2, 0x70, vcc_lo
	v_dual_add_nc_u32 v2, 21, v27 :: v_dual_add_nc_u32 v24, 20, v27
	s_delay_alu instid0(VALU_DEP_1) | instskip(NEXT) | instid1(VALU_DEP_2)
	v_lshlrev_b64_e64 v[2:3], v2, -1
	v_lshlrev_b64_e64 v[32:33], v24, 1
	s_delay_alu instid0(VALU_DEP_2) | instskip(SKIP_1) | instid1(VALU_DEP_4)
	v_bfi_b32 v2, v2, 0, v0
	v_lshrrev_b64 v[0:1], v27, v[0:1]
	v_bfi_b32 v3, v3, 0, 0
	s_delay_alu instid0(VALU_DEP_1) | instskip(NEXT) | instid1(VALU_DEP_3)
	v_cmp_eq_u64_e64 s13, v[2:3], v[32:33]
	v_mov_b64_e32 v[2:3], v[0:1]
	s_and_saveexec_b32 s74, s13
; %bb.14193:                            ;   in Loop: Header=BB6_12937 Depth=3
	v_bfe_u32 v2, v0, 21, 1
	v_mov_b32_e32 v3, v21
	s_delay_alu instid0(VALU_DEP_1) | instskip(NEXT) | instid1(VALU_DEP_1)
	v_add_nc_u64_e32 v[2:3], v[0:1], v[2:3]
	v_add_nc_u64_e32 v[2:3], -1, v[2:3]
; %bb.14194:                            ;   in Loop: Header=BB6_12937 Depth=3
	s_or_b32 exec_lo, exec_lo, s74
	v_add_nc_u32_e32 v1, 0xffffff81, v26
	v_lshrrev_b32_e32 v3, 23, v0
	s_mov_b32 s13, exec_lo
	s_delay_alu instid0(VALU_DEP_2) | instskip(NEXT) | instid1(VALU_DEP_1)
	v_cndmask_b32_e64 v1, v1, 0xffffff82, vcc_lo
	v_add3_u32 v26, v27, v1, v3
	v_and_b32_e32 v1, 0x1fffff, v2
                                        ; implicit-def: $vgpr2
	s_delay_alu instid0(VALU_DEP_1) | instskip(SKIP_1) | instid1(VALU_DEP_2)
	v_dual_add_nc_u32 v3, 14, v26 :: v_dual_add_nc_u32 v0, v1, v0
	v_mov_b32_e32 v1, v21
	v_cmpx_ne_u32_e32 0, v3
	s_xor_b32 s13, exec_lo, s13
; %bb.14195:                            ;   in Loop: Header=BB6_12937 Depth=3
	s_delay_alu instid0(VALU_DEP_2) | instskip(SKIP_1) | instid1(VALU_DEP_1)
	v_cmp_lt_u64_e32 vcc_lo, 0xffffff, v[0:1]
	v_add_nc_u32_e32 v2, 15, v26
	v_cndmask_b32_e32 v2, v3, v2, vcc_lo
	v_cndmask_b32_e64 v3, 0, 1, vcc_lo
	s_delay_alu instid0(VALU_DEP_1)
	v_lshrrev_b64 v[0:1], v3, v[0:1]
; %bb.14196:                            ;   in Loop: Header=BB6_12937 Depth=3
	s_and_not1_saveexec_b32 s13, s13
; %bb.14197:                            ;   in Loop: Header=BB6_12937 Depth=3
	s_delay_alu instid0(VALU_DEP_1)
	v_bfe_u32 v2, v0, 23, 1
; %bb.14198:                            ;   in Loop: Header=BB6_12937 Depth=3
	s_or_b32 exec_lo, exec_lo, s13
	s_delay_alu instid0(VALU_DEP_2) | instskip(NEXT) | instid1(VALU_DEP_2)
	v_lshrrev_b64 v[0:1], 21, v[0:1]
	v_cmp_gt_i32_e32 vcc_lo, 32, v2
	v_cmp_ne_u32_e64 s13, 0, v2
                                        ; implicit-def: $vgpr26
	s_delay_alu instid0(VALU_DEP_3) | instskip(NEXT) | instid1(VALU_DEP_1)
	v_dual_cndmask_b32 v1, 0, v1 :: v_dual_cndmask_b32 v0, 3, v0
	v_cmp_ne_u64_e32 vcc_lo, 0, v[0:1]
	s_or_b32 s13, s13, vcc_lo
	s_delay_alu instid0(SALU_CYCLE_1) | instskip(NEXT) | instid1(SALU_CYCLE_1)
	s_and_saveexec_b32 s74, s13
	s_xor_b32 s13, exec_lo, s74
; %bb.14199:                            ;   in Loop: Header=BB6_12937 Depth=3
	v_min_i32_e32 v1, 31, v2
	s_delay_alu instid0(VALU_DEP_1) | instskip(NEXT) | instid1(VALU_DEP_1)
	v_lshl_or_b32 v1, v1, 2, v25
                                        ; implicit-def: $vgpr25
	v_and_or_b32 v26, v0, 3, v1
; %bb.14200:                            ;   in Loop: Header=BB6_12937 Depth=3
	s_and_not1_saveexec_b32 s13, s13
; %bb.14201:                            ;   in Loop: Header=BB6_12937 Depth=3
	v_mov_b32_e32 v26, v25
; %bb.14202:                            ;   in Loop: Header=BB6_12937 Depth=3
	s_or_b32 exec_lo, exec_lo, s13
.LBB6_14203:                            ;   in Loop: Header=BB6_12937 Depth=3
	s_delay_alu instid0(SALU_CYCLE_1)
	s_or_b32 exec_lo, exec_lo, s73
                                        ; implicit-def: $vgpr25
.LBB6_14204:                            ;   in Loop: Header=BB6_12937 Depth=3
	s_and_not1_saveexec_b32 s13, s72
; %bb.14205:                            ;   in Loop: Header=BB6_12937 Depth=3
	v_or_b32_e32 v26, 0x7b, v25
; %bb.14206:                            ;   in Loop: Header=BB6_12937 Depth=3
	s_or_b32 exec_lo, exec_lo, s13
                                        ; implicit-def: $vgpr2
                                        ; implicit-def: $vgpr0_vgpr1
.LBB6_14207:                            ;   in Loop: Header=BB6_12937 Depth=3
	s_and_not1_saveexec_b32 s13, s43
	s_cbranch_execz .LBB6_14213
; %bb.14208:                            ;   in Loop: Header=BB6_12937 Depth=3
	s_mov_b32 s43, exec_lo
                                        ; implicit-def: $vgpr26
	v_cmpx_ne_u64_e32 0, v[0:1]
	s_xor_b32 s43, exec_lo, s43
; %bb.14209:                            ;   in Loop: Header=BB6_12937 Depth=3
	v_lshrrev_b32_e32 v0, 24, v2
                                        ; implicit-def: $vgpr2
	s_delay_alu instid0(VALU_DEP_1)
	v_or_b32_e32 v26, 0x7f, v0
; %bb.14210:                            ;   in Loop: Header=BB6_12937 Depth=3
	s_and_not1_saveexec_b32 s43, s43
; %bb.14211:                            ;   in Loop: Header=BB6_12937 Depth=3
	v_cmp_lt_i32_e32 vcc_lo, -1, v2
	v_cndmask_b32_e64 v26, -4, 0x7c, vcc_lo
; %bb.14212:                            ;   in Loop: Header=BB6_12937 Depth=3
	s_or_b32 exec_lo, exec_lo, s43
.LBB6_14213:                            ;   in Loop: Header=BB6_12937 Depth=3
	s_delay_alu instid0(SALU_CYCLE_1)
	s_or_b32 exec_lo, exec_lo, s13
	scratch_load_b64 v[2:3], off, s33 offset:236 ; 8-byte Folded Reload
	v_dual_mov_b32 v0, 0 :: v_dual_mov_b32 v1, 0
	s_mov_b32 s13, exec_lo
	s_wait_loadcnt 0x0
	s_wait_xcnt 0x0
	v_cmpx_ne_u16_e32 0, v2
	s_cbranch_execz .LBB6_14223
; %bb.14214:                            ;   in Loop: Header=BB6_12937 Depth=3
	v_bfrev_b32_e32 v1, 1
	s_mov_b32 s43, exec_lo
	v_cmpx_ne_u16_e32 0xff80, v2
	s_cbranch_execz .LBB6_14222
; %bb.14215:                            ;   in Loop: Header=BB6_12937 Depth=3
	v_and_b32_e32 v1, 0x7c, v2
	v_and_b32_e32 v2, 3, v2
	s_delay_alu instid0(VALU_DEP_2) | instskip(SKIP_1) | instid1(SALU_CYCLE_1)
	v_cmp_ne_u32_e32 vcc_lo, 0x7c, v1
                                        ; implicit-def: $vgpr1
	s_and_saveexec_b32 s72, vcc_lo
	s_xor_b32 s72, exec_lo, s72
	s_cbranch_execz .LBB6_14219
; %bb.14216:                            ;   in Loop: Header=BB6_12937 Depth=3
	scratch_load_b64 v[24:25], off, s33 offset:236 ; 8-byte Folded Reload
	s_mov_b32 s73, exec_lo
	s_wait_loadcnt 0x0
	v_and_b32_e32 v1, 0xff, v24
	s_delay_alu instid0(VALU_DEP_1) | instskip(SKIP_1) | instid1(VALU_DEP_1)
	v_bfe_u32 v1, v1, 2, 5
	s_wait_xcnt 0x0
	v_cmpx_eq_u32_e32 0, v1
	s_cbranch_execz .LBB6_14218
; %bb.14217:                            ;   in Loop: Header=BB6_12937 Depth=3
	v_clz_i32_u32_e32 v1, v2
	s_delay_alu instid0(VALU_DEP_1) | instskip(SKIP_1) | instid1(VALU_DEP_2)
	v_min_u32_e32 v1, 32, v1
	v_mov_b32_e32 v25, v21
	v_subrev_nc_u32_e32 v2, 29, v1
	v_sub_nc_u32_e32 v1, 30, v1
	s_delay_alu instid0(VALU_DEP_2) | instskip(NEXT) | instid1(VALU_DEP_1)
	v_lshlrev_b64_e32 v[2:3], v2, v[24:25]
	v_and_b32_e32 v2, 3, v2
.LBB6_14218:                            ;   in Loop: Header=BB6_12937 Depth=3
	s_or_b32 exec_lo, exec_lo, s73
	v_bfe_i32 v3, v24, 0, 16
                                        ; implicit-def: $vgpr24
	scratch_store_b64 off, v[24:25], s33 offset:236 ; 8-byte Folded Spill
	v_and_b32_e32 v3, 0x80000000, v3
	s_delay_alu instid0(VALU_DEP_1) | instskip(NEXT) | instid1(VALU_DEP_1)
	v_lshl_add_u32 v1, v1, 23, v3
	v_lshl_or_b32 v1, v2, 21, v1
                                        ; implicit-def: $vgpr2
	s_delay_alu instid0(VALU_DEP_1)
	v_add_nc_u32_e32 v1, 0x38000000, v1
.LBB6_14219:                            ;   in Loop: Header=BB6_12937 Depth=3
	s_wait_xcnt 0x0
	s_and_not1_saveexec_b32 s72, s72
	s_cbranch_execz .LBB6_14221
; %bb.14220:                            ;   in Loop: Header=BB6_12937 Depth=3
	scratch_load_b64 v[24:25], off, s33 offset:236 th:TH_LOAD_LU ; 8-byte Folded Reload
	v_mov_b32_e32 v1, 0x7f800000
	s_wait_loadcnt 0x0
	v_cmp_lt_i16_e32 vcc_lo, -1, v24
	s_delay_alu instid0(VALU_DEP_2) | instskip(SKIP_1) | instid1(VALU_DEP_2)
	v_cndmask_b32_e32 v1, 0xff800000, v1, vcc_lo
	v_cmp_eq_u32_e32 vcc_lo, 0, v2
	v_cndmask_b32_e32 v1, 0x7f800001, v1, vcc_lo
.LBB6_14221:                            ;   in Loop: Header=BB6_12937 Depth=3
	s_wait_xcnt 0x0
	s_or_b32 exec_lo, exec_lo, s72
.LBB6_14222:                            ;   in Loop: Header=BB6_12937 Depth=3
	s_delay_alu instid0(SALU_CYCLE_1)
	s_or_b32 exec_lo, exec_lo, s43
.LBB6_14223:                            ;   in Loop: Header=BB6_12937 Depth=3
	s_delay_alu instid0(SALU_CYCLE_1)
	s_or_b32 exec_lo, exec_lo, s13
	scratch_load_b64 v[2:3], off, s33 offset:228 ; 8-byte Folded Reload
	s_mov_b32 s13, exec_lo
	s_wait_loadcnt 0x0
	s_wait_xcnt 0x0
	v_cmpx_ne_u16_e32 0, v2
	s_cbranch_execz .LBB6_14233
; %bb.14224:                            ;   in Loop: Header=BB6_12937 Depth=3
	v_bfrev_b32_e32 v0, 1
	s_mov_b32 s43, exec_lo
	v_cmpx_ne_u16_e32 0xff80, v2
	s_cbranch_execz .LBB6_14232
; %bb.14225:                            ;   in Loop: Header=BB6_12937 Depth=3
	v_and_b32_e32 v0, 0x7c, v2
	v_and_b32_e32 v2, 3, v2
	s_delay_alu instid0(VALU_DEP_2) | instskip(SKIP_1) | instid1(SALU_CYCLE_1)
	v_cmp_ne_u32_e32 vcc_lo, 0x7c, v0
                                        ; implicit-def: $vgpr0
	s_and_saveexec_b32 s72, vcc_lo
	s_xor_b32 s72, exec_lo, s72
	s_cbranch_execz .LBB6_14229
; %bb.14226:                            ;   in Loop: Header=BB6_12937 Depth=3
	scratch_load_b64 v[24:25], off, s33 offset:228 ; 8-byte Folded Reload
	s_mov_b32 s73, exec_lo
	s_wait_loadcnt 0x0
	v_and_b32_e32 v0, 0xff, v24
	s_delay_alu instid0(VALU_DEP_1) | instskip(SKIP_1) | instid1(VALU_DEP_1)
	v_bfe_u32 v0, v0, 2, 5
	s_wait_xcnt 0x0
	v_cmpx_eq_u32_e32 0, v0
	s_cbranch_execz .LBB6_14228
; %bb.14227:                            ;   in Loop: Header=BB6_12937 Depth=3
	v_clz_i32_u32_e32 v0, v2
	s_delay_alu instid0(VALU_DEP_1) | instskip(SKIP_1) | instid1(VALU_DEP_2)
	v_min_u32_e32 v0, 32, v0
	v_mov_b32_e32 v25, v21
	v_subrev_nc_u32_e32 v2, 29, v0
	v_sub_nc_u32_e32 v0, 30, v0
	s_delay_alu instid0(VALU_DEP_2) | instskip(NEXT) | instid1(VALU_DEP_1)
	v_lshlrev_b64_e32 v[2:3], v2, v[24:25]
	v_and_b32_e32 v2, 3, v2
.LBB6_14228:                            ;   in Loop: Header=BB6_12937 Depth=3
	s_or_b32 exec_lo, exec_lo, s73
	v_bfe_i32 v3, v24, 0, 16
                                        ; implicit-def: $vgpr24
	scratch_store_b64 off, v[24:25], s33 offset:228 ; 8-byte Folded Spill
	v_and_b32_e32 v3, 0x80000000, v3
	s_delay_alu instid0(VALU_DEP_1) | instskip(NEXT) | instid1(VALU_DEP_1)
	v_lshl_add_u32 v0, v0, 23, v3
	v_lshl_or_b32 v0, v2, 21, v0
                                        ; implicit-def: $vgpr2
	s_delay_alu instid0(VALU_DEP_1)
	v_add_nc_u32_e32 v0, 0x38000000, v0
.LBB6_14229:                            ;   in Loop: Header=BB6_12937 Depth=3
	s_wait_xcnt 0x0
	s_and_not1_saveexec_b32 s72, s72
	s_cbranch_execz .LBB6_14231
; %bb.14230:                            ;   in Loop: Header=BB6_12937 Depth=3
	scratch_load_b64 v[24:25], off, s33 offset:228 th:TH_LOAD_LU ; 8-byte Folded Reload
	v_mov_b32_e32 v0, 0x7f800000
	s_wait_loadcnt 0x0
	v_cmp_lt_i16_e32 vcc_lo, -1, v24
	s_delay_alu instid0(VALU_DEP_2) | instskip(SKIP_1) | instid1(VALU_DEP_2)
	v_cndmask_b32_e32 v0, 0xff800000, v0, vcc_lo
	v_cmp_eq_u32_e32 vcc_lo, 0, v2
	v_cndmask_b32_e32 v0, 0x7f800001, v0, vcc_lo
.LBB6_14231:                            ;   in Loop: Header=BB6_12937 Depth=3
	s_wait_xcnt 0x0
	s_or_b32 exec_lo, exec_lo, s72
.LBB6_14232:                            ;   in Loop: Header=BB6_12937 Depth=3
	s_delay_alu instid0(SALU_CYCLE_1)
	s_or_b32 exec_lo, exec_lo, s43
.LBB6_14233:                            ;   in Loop: Header=BB6_12937 Depth=3
	s_delay_alu instid0(SALU_CYCLE_1) | instskip(SKIP_2) | instid1(VALU_DEP_2)
	s_or_b32 exec_lo, exec_lo, s13
	v_mul_f32_e32 v2, v1, v0
	v_mov_b32_e32 v1, v21
                                        ; implicit-def: $vgpr24
	v_and_b32_e32 v0, 0x7f800000, v2
	s_delay_alu instid0(VALU_DEP_1) | instskip(SKIP_2) | instid1(SALU_CYCLE_1)
	v_cmp_ne_u64_e32 vcc_lo, 0x7f800000, v[0:1]
	v_and_b32_e32 v0, 0x7fffff, v2
	s_and_saveexec_b32 s13, vcc_lo
	s_xor_b32 s43, exec_lo, s13
	s_cbranch_execz .LBB6_14251
; %bb.14234:                            ;   in Loop: Header=BB6_12937 Depth=3
	v_and_b32_e32 v24, 0x7fffffff, v2
	v_dual_mov_b32 v25, v21 :: v_dual_lshrrev_b32 v3, 24, v2
	s_delay_alu instid0(VALU_DEP_1) | instskip(NEXT) | instid1(VALU_DEP_2)
	v_cmp_gt_u64_e32 vcc_lo, 0x47600001, v[24:25]
	v_and_b32_e32 v25, 0x80, v3
                                        ; implicit-def: $vgpr24
	s_and_saveexec_b32 s13, vcc_lo
	s_delay_alu instid0(SALU_CYCLE_1)
	s_xor_b32 s72, exec_lo, s13
	s_cbranch_execz .LBB6_14248
; %bb.14235:                            ;   in Loop: Header=BB6_12937 Depth=3
	v_mov_b32_e32 v24, 0
	s_mov_b32 s73, exec_lo
	v_cmpx_ne_u32_e32 0, v2
	s_cbranch_execz .LBB6_14247
; %bb.14236:                            ;   in Loop: Header=BB6_12937 Depth=3
	v_bfe_u32 v24, v2, 23, 8
	v_or_b32_e32 v3, 0x800000, v0
	s_delay_alu instid0(VALU_DEP_2) | instskip(SKIP_2) | instid1(VALU_DEP_2)
	v_cmp_gt_u32_e64 s13, 0x72, v24
	v_sub_nc_u32_e32 v2, 0x71, v24
	v_cmp_eq_u32_e32 vcc_lo, 0, v24
	v_dual_cndmask_b32 v2, 0, v2, s13 :: v_dual_cndmask_b32 v0, v3, v0, vcc_lo
	s_delay_alu instid0(VALU_DEP_1) | instskip(NEXT) | instid1(VALU_DEP_1)
	v_cndmask_b32_e64 v27, v2, 0x70, vcc_lo
	v_dual_add_nc_u32 v2, 21, v27 :: v_dual_add_nc_u32 v32, 20, v27
	s_delay_alu instid0(VALU_DEP_1) | instskip(NEXT) | instid1(VALU_DEP_2)
	v_lshlrev_b64_e64 v[2:3], v2, -1
	v_lshlrev_b64_e64 v[32:33], v32, 1
	s_delay_alu instid0(VALU_DEP_2) | instskip(SKIP_1) | instid1(VALU_DEP_4)
	v_bfi_b32 v2, v2, 0, v0
	v_lshrrev_b64 v[0:1], v27, v[0:1]
	v_bfi_b32 v3, v3, 0, 0
	s_delay_alu instid0(VALU_DEP_1) | instskip(NEXT) | instid1(VALU_DEP_3)
	v_cmp_eq_u64_e64 s13, v[2:3], v[32:33]
	v_mov_b64_e32 v[2:3], v[0:1]
	s_and_saveexec_b32 s74, s13
; %bb.14237:                            ;   in Loop: Header=BB6_12937 Depth=3
	v_bfe_u32 v2, v0, 21, 1
	v_mov_b32_e32 v3, v21
	s_delay_alu instid0(VALU_DEP_1) | instskip(NEXT) | instid1(VALU_DEP_1)
	v_add_nc_u64_e32 v[2:3], v[0:1], v[2:3]
	v_add_nc_u64_e32 v[2:3], -1, v[2:3]
; %bb.14238:                            ;   in Loop: Header=BB6_12937 Depth=3
	s_or_b32 exec_lo, exec_lo, s74
	v_add_nc_u32_e32 v1, 0xffffff81, v24
	v_lshrrev_b32_e32 v3, 23, v0
	s_mov_b32 s13, exec_lo
	s_delay_alu instid0(VALU_DEP_2) | instskip(NEXT) | instid1(VALU_DEP_1)
	v_cndmask_b32_e64 v1, v1, 0xffffff82, vcc_lo
	v_add3_u32 v24, v27, v1, v3
	v_and_b32_e32 v1, 0x1fffff, v2
                                        ; implicit-def: $vgpr2
	s_delay_alu instid0(VALU_DEP_2) | instskip(NEXT) | instid1(VALU_DEP_2)
	v_add_nc_u32_e32 v3, 14, v24
	v_add_nc_u32_e32 v0, v1, v0
	v_mov_b32_e32 v1, v21
	s_delay_alu instid0(VALU_DEP_3)
	v_cmpx_ne_u32_e32 0, v3
	s_xor_b32 s13, exec_lo, s13
; %bb.14239:                            ;   in Loop: Header=BB6_12937 Depth=3
	s_delay_alu instid0(VALU_DEP_2) | instskip(SKIP_1) | instid1(VALU_DEP_1)
	v_cmp_lt_u64_e32 vcc_lo, 0xffffff, v[0:1]
	v_add_nc_u32_e32 v2, 15, v24
	v_cndmask_b32_e32 v2, v3, v2, vcc_lo
	v_cndmask_b32_e64 v3, 0, 1, vcc_lo
	s_delay_alu instid0(VALU_DEP_1)
	v_lshrrev_b64 v[0:1], v3, v[0:1]
; %bb.14240:                            ;   in Loop: Header=BB6_12937 Depth=3
	s_and_not1_saveexec_b32 s13, s13
; %bb.14241:                            ;   in Loop: Header=BB6_12937 Depth=3
	s_delay_alu instid0(VALU_DEP_1)
	v_bfe_u32 v2, v0, 23, 1
; %bb.14242:                            ;   in Loop: Header=BB6_12937 Depth=3
	s_or_b32 exec_lo, exec_lo, s13
	s_delay_alu instid0(VALU_DEP_2) | instskip(NEXT) | instid1(VALU_DEP_2)
	v_lshrrev_b64 v[0:1], 21, v[0:1]
	v_cmp_gt_i32_e32 vcc_lo, 32, v2
	v_cmp_ne_u32_e64 s13, 0, v2
                                        ; implicit-def: $vgpr24
	s_delay_alu instid0(VALU_DEP_3) | instskip(NEXT) | instid1(VALU_DEP_1)
	v_dual_cndmask_b32 v1, 0, v1 :: v_dual_cndmask_b32 v0, 3, v0
	v_cmp_ne_u64_e32 vcc_lo, 0, v[0:1]
	s_or_b32 s13, s13, vcc_lo
	s_delay_alu instid0(SALU_CYCLE_1) | instskip(NEXT) | instid1(SALU_CYCLE_1)
	s_and_saveexec_b32 s74, s13
	s_xor_b32 s13, exec_lo, s74
; %bb.14243:                            ;   in Loop: Header=BB6_12937 Depth=3
	v_min_i32_e32 v1, 31, v2
	s_delay_alu instid0(VALU_DEP_1) | instskip(NEXT) | instid1(VALU_DEP_1)
	v_lshl_or_b32 v1, v1, 2, v25
                                        ; implicit-def: $vgpr25
	v_and_or_b32 v24, v0, 3, v1
; %bb.14244:                            ;   in Loop: Header=BB6_12937 Depth=3
	s_and_not1_saveexec_b32 s13, s13
; %bb.14245:                            ;   in Loop: Header=BB6_12937 Depth=3
	v_mov_b32_e32 v24, v25
; %bb.14246:                            ;   in Loop: Header=BB6_12937 Depth=3
	s_or_b32 exec_lo, exec_lo, s13
.LBB6_14247:                            ;   in Loop: Header=BB6_12937 Depth=3
	s_delay_alu instid0(SALU_CYCLE_1)
	s_or_b32 exec_lo, exec_lo, s73
                                        ; implicit-def: $vgpr25
.LBB6_14248:                            ;   in Loop: Header=BB6_12937 Depth=3
	s_and_not1_saveexec_b32 s13, s72
; %bb.14249:                            ;   in Loop: Header=BB6_12937 Depth=3
	v_or_b32_e32 v24, 0x7b, v25
; %bb.14250:                            ;   in Loop: Header=BB6_12937 Depth=3
	s_or_b32 exec_lo, exec_lo, s13
                                        ; implicit-def: $vgpr2
                                        ; implicit-def: $vgpr0_vgpr1
.LBB6_14251:                            ;   in Loop: Header=BB6_12937 Depth=3
	s_and_not1_saveexec_b32 s13, s43
	s_cbranch_execz .LBB6_14257
; %bb.14252:                            ;   in Loop: Header=BB6_12937 Depth=3
	s_mov_b32 s43, exec_lo
                                        ; implicit-def: $vgpr24
	v_cmpx_ne_u64_e32 0, v[0:1]
	s_xor_b32 s43, exec_lo, s43
; %bb.14253:                            ;   in Loop: Header=BB6_12937 Depth=3
	v_lshrrev_b32_e32 v0, 24, v2
                                        ; implicit-def: $vgpr2
	s_delay_alu instid0(VALU_DEP_1)
	v_or_b32_e32 v24, 0x7f, v0
; %bb.14254:                            ;   in Loop: Header=BB6_12937 Depth=3
	s_and_not1_saveexec_b32 s43, s43
; %bb.14255:                            ;   in Loop: Header=BB6_12937 Depth=3
	v_cmp_lt_i32_e32 vcc_lo, -1, v2
	v_cndmask_b32_e64 v24, -4, 0x7c, vcc_lo
; %bb.14256:                            ;   in Loop: Header=BB6_12937 Depth=3
	s_or_b32 exec_lo, exec_lo, s43
.LBB6_14257:                            ;   in Loop: Header=BB6_12937 Depth=3
	s_delay_alu instid0(SALU_CYCLE_1)
	s_or_b32 exec_lo, exec_lo, s13
	scratch_load_b64 v[2:3], off, s33 offset:220 ; 8-byte Folded Reload
	v_dual_mov_b32 v0, 0 :: v_dual_mov_b32 v1, 0
	s_mov_b32 s13, exec_lo
	s_wait_loadcnt 0x0
	s_wait_xcnt 0x0
	v_cmpx_ne_u16_e32 0, v2
	s_cbranch_execz .LBB6_14267
; %bb.14258:                            ;   in Loop: Header=BB6_12937 Depth=3
	v_bfrev_b32_e32 v1, 1
	s_mov_b32 s43, exec_lo
	v_cmpx_ne_u16_e32 0xff80, v2
	s_cbranch_execz .LBB6_14266
; %bb.14259:                            ;   in Loop: Header=BB6_12937 Depth=3
	v_and_b32_e32 v1, 0x7c, v2
	v_and_b32_e32 v2, 3, v2
	s_delay_alu instid0(VALU_DEP_2) | instskip(SKIP_1) | instid1(SALU_CYCLE_1)
	v_cmp_ne_u32_e32 vcc_lo, 0x7c, v1
                                        ; implicit-def: $vgpr1
	s_and_saveexec_b32 s72, vcc_lo
	s_xor_b32 s72, exec_lo, s72
	s_cbranch_execz .LBB6_14263
; %bb.14260:                            ;   in Loop: Header=BB6_12937 Depth=3
	scratch_load_b64 v[32:33], off, s33 offset:220 ; 8-byte Folded Reload
	s_mov_b32 s73, exec_lo
	s_wait_loadcnt 0x0
	v_and_b32_e32 v1, 0xff, v32
	s_delay_alu instid0(VALU_DEP_1) | instskip(SKIP_1) | instid1(VALU_DEP_1)
	v_bfe_u32 v1, v1, 2, 5
	s_wait_xcnt 0x0
	v_cmpx_eq_u32_e32 0, v1
	s_cbranch_execz .LBB6_14262
; %bb.14261:                            ;   in Loop: Header=BB6_12937 Depth=3
	v_clz_i32_u32_e32 v1, v2
	s_delay_alu instid0(VALU_DEP_1) | instskip(SKIP_1) | instid1(VALU_DEP_2)
	v_min_u32_e32 v1, 32, v1
	v_mov_b32_e32 v33, v21
	v_subrev_nc_u32_e32 v2, 29, v1
	v_sub_nc_u32_e32 v1, 30, v1
	s_delay_alu instid0(VALU_DEP_2) | instskip(NEXT) | instid1(VALU_DEP_1)
	v_lshlrev_b64_e32 v[2:3], v2, v[32:33]
	v_and_b32_e32 v2, 3, v2
.LBB6_14262:                            ;   in Loop: Header=BB6_12937 Depth=3
	s_or_b32 exec_lo, exec_lo, s73
	v_bfe_i32 v3, v32, 0, 16
                                        ; implicit-def: $vgpr32
	scratch_store_b64 off, v[32:33], s33 offset:220 ; 8-byte Folded Spill
	v_and_b32_e32 v3, 0x80000000, v3
	s_delay_alu instid0(VALU_DEP_1) | instskip(NEXT) | instid1(VALU_DEP_1)
	v_lshl_add_u32 v1, v1, 23, v3
	v_lshl_or_b32 v1, v2, 21, v1
                                        ; implicit-def: $vgpr2
	s_delay_alu instid0(VALU_DEP_1)
	v_add_nc_u32_e32 v1, 0x38000000, v1
.LBB6_14263:                            ;   in Loop: Header=BB6_12937 Depth=3
	s_wait_xcnt 0x0
	s_and_not1_saveexec_b32 s72, s72
	s_cbranch_execz .LBB6_14265
; %bb.14264:                            ;   in Loop: Header=BB6_12937 Depth=3
	scratch_load_b64 v[32:33], off, s33 offset:220 th:TH_LOAD_LU ; 8-byte Folded Reload
	v_mov_b32_e32 v1, 0x7f800000
	s_wait_loadcnt 0x0
	v_cmp_lt_i16_e32 vcc_lo, -1, v32
	s_delay_alu instid0(VALU_DEP_2) | instskip(SKIP_1) | instid1(VALU_DEP_2)
	v_cndmask_b32_e32 v1, 0xff800000, v1, vcc_lo
	v_cmp_eq_u32_e32 vcc_lo, 0, v2
	v_cndmask_b32_e32 v1, 0x7f800001, v1, vcc_lo
.LBB6_14265:                            ;   in Loop: Header=BB6_12937 Depth=3
	s_wait_xcnt 0x0
	s_or_b32 exec_lo, exec_lo, s72
.LBB6_14266:                            ;   in Loop: Header=BB6_12937 Depth=3
	s_delay_alu instid0(SALU_CYCLE_1)
	s_or_b32 exec_lo, exec_lo, s43
.LBB6_14267:                            ;   in Loop: Header=BB6_12937 Depth=3
	s_delay_alu instid0(SALU_CYCLE_1)
	s_or_b32 exec_lo, exec_lo, s13
	scratch_load_b64 v[2:3], off, s33 offset:212 ; 8-byte Folded Reload
	s_mov_b32 s13, exec_lo
	s_wait_loadcnt 0x0
	s_wait_xcnt 0x0
	v_cmpx_ne_u16_e32 0, v2
	s_cbranch_execz .LBB6_14277
; %bb.14268:                            ;   in Loop: Header=BB6_12937 Depth=3
	v_bfrev_b32_e32 v0, 1
	s_mov_b32 s43, exec_lo
	v_cmpx_ne_u16_e32 0xff80, v2
	s_cbranch_execz .LBB6_14276
; %bb.14269:                            ;   in Loop: Header=BB6_12937 Depth=3
	v_and_b32_e32 v0, 0x7c, v2
	v_and_b32_e32 v2, 3, v2
	s_delay_alu instid0(VALU_DEP_2) | instskip(SKIP_1) | instid1(SALU_CYCLE_1)
	v_cmp_ne_u32_e32 vcc_lo, 0x7c, v0
                                        ; implicit-def: $vgpr0
	s_and_saveexec_b32 s72, vcc_lo
	s_xor_b32 s72, exec_lo, s72
	s_cbranch_execz .LBB6_14273
; %bb.14270:                            ;   in Loop: Header=BB6_12937 Depth=3
	scratch_load_b64 v[32:33], off, s33 offset:212 ; 8-byte Folded Reload
	s_mov_b32 s73, exec_lo
	s_wait_loadcnt 0x0
	v_and_b32_e32 v0, 0xff, v32
	s_delay_alu instid0(VALU_DEP_1) | instskip(SKIP_1) | instid1(VALU_DEP_1)
	v_bfe_u32 v0, v0, 2, 5
	s_wait_xcnt 0x0
	v_cmpx_eq_u32_e32 0, v0
	s_cbranch_execz .LBB6_14272
; %bb.14271:                            ;   in Loop: Header=BB6_12937 Depth=3
	v_clz_i32_u32_e32 v0, v2
	s_delay_alu instid0(VALU_DEP_1) | instskip(SKIP_1) | instid1(VALU_DEP_2)
	v_min_u32_e32 v0, 32, v0
	v_mov_b32_e32 v33, v21
	v_subrev_nc_u32_e32 v2, 29, v0
	v_sub_nc_u32_e32 v0, 30, v0
	s_delay_alu instid0(VALU_DEP_2) | instskip(NEXT) | instid1(VALU_DEP_1)
	v_lshlrev_b64_e32 v[2:3], v2, v[32:33]
	v_and_b32_e32 v2, 3, v2
.LBB6_14272:                            ;   in Loop: Header=BB6_12937 Depth=3
	s_or_b32 exec_lo, exec_lo, s73
	v_bfe_i32 v3, v32, 0, 16
                                        ; implicit-def: $vgpr32
	scratch_store_b64 off, v[32:33], s33 offset:212 ; 8-byte Folded Spill
	v_and_b32_e32 v3, 0x80000000, v3
	s_delay_alu instid0(VALU_DEP_1) | instskip(NEXT) | instid1(VALU_DEP_1)
	v_lshl_add_u32 v0, v0, 23, v3
	v_lshl_or_b32 v0, v2, 21, v0
                                        ; implicit-def: $vgpr2
	s_delay_alu instid0(VALU_DEP_1)
	v_add_nc_u32_e32 v0, 0x38000000, v0
.LBB6_14273:                            ;   in Loop: Header=BB6_12937 Depth=3
	s_wait_xcnt 0x0
	s_and_not1_saveexec_b32 s72, s72
	s_cbranch_execz .LBB6_14275
; %bb.14274:                            ;   in Loop: Header=BB6_12937 Depth=3
	scratch_load_b64 v[32:33], off, s33 offset:212 th:TH_LOAD_LU ; 8-byte Folded Reload
	v_mov_b32_e32 v0, 0x7f800000
	s_wait_loadcnt 0x0
	v_cmp_lt_i16_e32 vcc_lo, -1, v32
	s_delay_alu instid0(VALU_DEP_2) | instskip(SKIP_1) | instid1(VALU_DEP_2)
	v_cndmask_b32_e32 v0, 0xff800000, v0, vcc_lo
	v_cmp_eq_u32_e32 vcc_lo, 0, v2
	v_cndmask_b32_e32 v0, 0x7f800001, v0, vcc_lo
.LBB6_14275:                            ;   in Loop: Header=BB6_12937 Depth=3
	s_wait_xcnt 0x0
	s_or_b32 exec_lo, exec_lo, s72
.LBB6_14276:                            ;   in Loop: Header=BB6_12937 Depth=3
	s_delay_alu instid0(SALU_CYCLE_1)
	s_or_b32 exec_lo, exec_lo, s43
.LBB6_14277:                            ;   in Loop: Header=BB6_12937 Depth=3
	s_delay_alu instid0(SALU_CYCLE_1) | instskip(SKIP_2) | instid1(VALU_DEP_2)
	s_or_b32 exec_lo, exec_lo, s13
	v_mul_f32_e32 v2, v1, v0
	v_mov_b32_e32 v1, v21
                                        ; implicit-def: $vgpr25
	v_and_b32_e32 v0, 0x7f800000, v2
	s_delay_alu instid0(VALU_DEP_1) | instskip(SKIP_2) | instid1(SALU_CYCLE_1)
	v_cmp_ne_u64_e32 vcc_lo, 0x7f800000, v[0:1]
	v_and_b32_e32 v0, 0x7fffff, v2
	s_and_saveexec_b32 s13, vcc_lo
	s_xor_b32 s43, exec_lo, s13
	s_cbranch_execz .LBB6_14295
; %bb.14278:                            ;   in Loop: Header=BB6_12937 Depth=3
	v_dual_mov_b32 v33, v21 :: v_dual_lshrrev_b32 v3, 24, v2
	v_and_b32_e32 v32, 0x7fffffff, v2
                                        ; implicit-def: $vgpr25
	s_mov_b32 s13, exec_lo
	s_delay_alu instid0(VALU_DEP_2) | instskip(NEXT) | instid1(VALU_DEP_2)
	v_and_b32_e32 v27, 0x80, v3
	v_cmpx_gt_u64_e32 0x47600001, v[32:33]
	s_xor_b32 s72, exec_lo, s13
	s_cbranch_execz .LBB6_14292
; %bb.14279:                            ;   in Loop: Header=BB6_12937 Depth=3
	v_mov_b32_e32 v25, 0
	s_mov_b32 s73, exec_lo
	v_cmpx_ne_u32_e32 0, v2
	s_cbranch_execz .LBB6_14291
; %bb.14280:                            ;   in Loop: Header=BB6_12937 Depth=3
	v_bfe_u32 v25, v2, 23, 8
	v_or_b32_e32 v3, 0x800000, v0
	s_delay_alu instid0(VALU_DEP_2) | instskip(SKIP_2) | instid1(VALU_DEP_2)
	v_cmp_gt_u32_e64 s13, 0x72, v25
	v_sub_nc_u32_e32 v2, 0x71, v25
	v_cmp_eq_u32_e32 vcc_lo, 0, v25
	v_dual_cndmask_b32 v2, 0, v2, s13 :: v_dual_cndmask_b32 v0, v3, v0, vcc_lo
	s_delay_alu instid0(VALU_DEP_1) | instskip(NEXT) | instid1(VALU_DEP_1)
	v_cndmask_b32_e64 v32, v2, 0x70, vcc_lo
	v_dual_add_nc_u32 v2, 21, v32 :: v_dual_add_nc_u32 v33, 20, v32
	s_delay_alu instid0(VALU_DEP_1) | instskip(NEXT) | instid1(VALU_DEP_2)
	v_lshlrev_b64_e64 v[2:3], v2, -1
	v_lshlrev_b64_e64 v[36:37], v33, 1
	s_delay_alu instid0(VALU_DEP_2) | instskip(SKIP_1) | instid1(VALU_DEP_4)
	v_bfi_b32 v2, v2, 0, v0
	v_lshrrev_b64 v[0:1], v32, v[0:1]
	v_bfi_b32 v3, v3, 0, 0
	s_delay_alu instid0(VALU_DEP_1) | instskip(NEXT) | instid1(VALU_DEP_3)
	v_cmp_eq_u64_e64 s13, v[2:3], v[36:37]
	v_mov_b64_e32 v[2:3], v[0:1]
	s_and_saveexec_b32 s74, s13
; %bb.14281:                            ;   in Loop: Header=BB6_12937 Depth=3
	v_bfe_u32 v2, v0, 21, 1
	v_mov_b32_e32 v3, v21
	s_delay_alu instid0(VALU_DEP_1) | instskip(NEXT) | instid1(VALU_DEP_1)
	v_add_nc_u64_e32 v[2:3], v[0:1], v[2:3]
	v_add_nc_u64_e32 v[2:3], -1, v[2:3]
; %bb.14282:                            ;   in Loop: Header=BB6_12937 Depth=3
	s_or_b32 exec_lo, exec_lo, s74
	v_add_nc_u32_e32 v1, 0xffffff81, v25
	v_lshrrev_b32_e32 v3, 23, v0
	s_mov_b32 s13, exec_lo
	s_delay_alu instid0(VALU_DEP_2) | instskip(NEXT) | instid1(VALU_DEP_1)
	v_cndmask_b32_e64 v1, v1, 0xffffff82, vcc_lo
	v_add3_u32 v25, v32, v1, v3
	v_and_b32_e32 v1, 0x1fffff, v2
                                        ; implicit-def: $vgpr2
	s_delay_alu instid0(VALU_DEP_1) | instskip(SKIP_1) | instid1(VALU_DEP_2)
	v_dual_add_nc_u32 v3, 14, v25 :: v_dual_add_nc_u32 v0, v1, v0
	v_mov_b32_e32 v1, v21
	v_cmpx_ne_u32_e32 0, v3
	s_xor_b32 s13, exec_lo, s13
; %bb.14283:                            ;   in Loop: Header=BB6_12937 Depth=3
	s_delay_alu instid0(VALU_DEP_2) | instskip(SKIP_1) | instid1(VALU_DEP_1)
	v_cmp_lt_u64_e32 vcc_lo, 0xffffff, v[0:1]
	v_add_nc_u32_e32 v2, 15, v25
	v_cndmask_b32_e32 v2, v3, v2, vcc_lo
	v_cndmask_b32_e64 v3, 0, 1, vcc_lo
	s_delay_alu instid0(VALU_DEP_1)
	v_lshrrev_b64 v[0:1], v3, v[0:1]
; %bb.14284:                            ;   in Loop: Header=BB6_12937 Depth=3
	s_and_not1_saveexec_b32 s13, s13
; %bb.14285:                            ;   in Loop: Header=BB6_12937 Depth=3
	s_delay_alu instid0(VALU_DEP_1)
	v_bfe_u32 v2, v0, 23, 1
; %bb.14286:                            ;   in Loop: Header=BB6_12937 Depth=3
	s_or_b32 exec_lo, exec_lo, s13
	s_delay_alu instid0(VALU_DEP_2) | instskip(NEXT) | instid1(VALU_DEP_2)
	v_lshrrev_b64 v[0:1], 21, v[0:1]
	v_cmp_gt_i32_e32 vcc_lo, 32, v2
	v_cmp_ne_u32_e64 s13, 0, v2
                                        ; implicit-def: $vgpr25
	s_delay_alu instid0(VALU_DEP_3) | instskip(NEXT) | instid1(VALU_DEP_1)
	v_dual_cndmask_b32 v1, 0, v1 :: v_dual_cndmask_b32 v0, 3, v0
	v_cmp_ne_u64_e32 vcc_lo, 0, v[0:1]
	s_or_b32 s13, s13, vcc_lo
	s_delay_alu instid0(SALU_CYCLE_1) | instskip(NEXT) | instid1(SALU_CYCLE_1)
	s_and_saveexec_b32 s74, s13
	s_xor_b32 s13, exec_lo, s74
; %bb.14287:                            ;   in Loop: Header=BB6_12937 Depth=3
	v_min_i32_e32 v1, 31, v2
	s_delay_alu instid0(VALU_DEP_1) | instskip(NEXT) | instid1(VALU_DEP_1)
	v_lshl_or_b32 v1, v1, 2, v27
                                        ; implicit-def: $vgpr27
	v_and_or_b32 v25, v0, 3, v1
; %bb.14288:                            ;   in Loop: Header=BB6_12937 Depth=3
	s_and_not1_saveexec_b32 s13, s13
; %bb.14289:                            ;   in Loop: Header=BB6_12937 Depth=3
	v_mov_b32_e32 v25, v27
; %bb.14290:                            ;   in Loop: Header=BB6_12937 Depth=3
	s_or_b32 exec_lo, exec_lo, s13
.LBB6_14291:                            ;   in Loop: Header=BB6_12937 Depth=3
	s_delay_alu instid0(SALU_CYCLE_1)
	s_or_b32 exec_lo, exec_lo, s73
                                        ; implicit-def: $vgpr27
.LBB6_14292:                            ;   in Loop: Header=BB6_12937 Depth=3
	s_and_not1_saveexec_b32 s13, s72
; %bb.14293:                            ;   in Loop: Header=BB6_12937 Depth=3
	v_or_b32_e32 v25, 0x7b, v27
; %bb.14294:                            ;   in Loop: Header=BB6_12937 Depth=3
	s_or_b32 exec_lo, exec_lo, s13
                                        ; implicit-def: $vgpr2
                                        ; implicit-def: $vgpr0_vgpr1
.LBB6_14295:                            ;   in Loop: Header=BB6_12937 Depth=3
	s_and_not1_saveexec_b32 s13, s43
	s_cbranch_execz .LBB6_14301
; %bb.14296:                            ;   in Loop: Header=BB6_12937 Depth=3
	s_mov_b32 s43, exec_lo
                                        ; implicit-def: $vgpr25
	v_cmpx_ne_u64_e32 0, v[0:1]
	s_xor_b32 s43, exec_lo, s43
; %bb.14297:                            ;   in Loop: Header=BB6_12937 Depth=3
	v_lshrrev_b32_e32 v0, 24, v2
                                        ; implicit-def: $vgpr2
	s_delay_alu instid0(VALU_DEP_1)
	v_or_b32_e32 v25, 0x7f, v0
; %bb.14298:                            ;   in Loop: Header=BB6_12937 Depth=3
	s_and_not1_saveexec_b32 s43, s43
; %bb.14299:                            ;   in Loop: Header=BB6_12937 Depth=3
	v_cmp_lt_i32_e32 vcc_lo, -1, v2
	v_cndmask_b32_e64 v25, -4, 0x7c, vcc_lo
; %bb.14300:                            ;   in Loop: Header=BB6_12937 Depth=3
	s_or_b32 exec_lo, exec_lo, s43
.LBB6_14301:                            ;   in Loop: Header=BB6_12937 Depth=3
	s_delay_alu instid0(SALU_CYCLE_1)
	s_or_b32 exec_lo, exec_lo, s13
	scratch_load_b64 v[2:3], off, s33 offset:204 ; 8-byte Folded Reload
	v_dual_mov_b32 v0, 0 :: v_dual_mov_b32 v1, 0
	s_mov_b32 s13, exec_lo
	s_wait_loadcnt 0x0
	s_wait_xcnt 0x0
	v_cmpx_ne_u16_e32 0, v2
	s_cbranch_execz .LBB6_14311
; %bb.14302:                            ;   in Loop: Header=BB6_12937 Depth=3
	v_bfrev_b32_e32 v1, 1
	s_mov_b32 s43, exec_lo
	v_cmpx_ne_u16_e32 0xff80, v2
	s_cbranch_execz .LBB6_14310
; %bb.14303:                            ;   in Loop: Header=BB6_12937 Depth=3
	v_and_b32_e32 v1, 0x7c, v2
	v_and_b32_e32 v2, 3, v2
	s_delay_alu instid0(VALU_DEP_2) | instskip(SKIP_1) | instid1(SALU_CYCLE_1)
	v_cmp_ne_u32_e32 vcc_lo, 0x7c, v1
                                        ; implicit-def: $vgpr1
	s_and_saveexec_b32 s72, vcc_lo
	s_xor_b32 s72, exec_lo, s72
	s_cbranch_execz .LBB6_14307
; %bb.14304:                            ;   in Loop: Header=BB6_12937 Depth=3
	scratch_load_b64 v[32:33], off, s33 offset:204 ; 8-byte Folded Reload
	s_mov_b32 s73, exec_lo
	s_wait_loadcnt 0x0
	v_and_b32_e32 v1, 0xff, v32
	s_delay_alu instid0(VALU_DEP_1) | instskip(SKIP_1) | instid1(VALU_DEP_1)
	v_bfe_u32 v1, v1, 2, 5
	s_wait_xcnt 0x0
	v_cmpx_eq_u32_e32 0, v1
	s_cbranch_execz .LBB6_14306
; %bb.14305:                            ;   in Loop: Header=BB6_12937 Depth=3
	v_clz_i32_u32_e32 v1, v2
	s_delay_alu instid0(VALU_DEP_1) | instskip(SKIP_1) | instid1(VALU_DEP_2)
	v_min_u32_e32 v1, 32, v1
	v_mov_b32_e32 v33, v21
	v_subrev_nc_u32_e32 v2, 29, v1
	v_sub_nc_u32_e32 v1, 30, v1
	s_delay_alu instid0(VALU_DEP_2) | instskip(NEXT) | instid1(VALU_DEP_1)
	v_lshlrev_b64_e32 v[2:3], v2, v[32:33]
	v_and_b32_e32 v2, 3, v2
.LBB6_14306:                            ;   in Loop: Header=BB6_12937 Depth=3
	s_or_b32 exec_lo, exec_lo, s73
	v_bfe_i32 v3, v32, 0, 16
                                        ; implicit-def: $vgpr32
	scratch_store_b64 off, v[32:33], s33 offset:204 ; 8-byte Folded Spill
	v_and_b32_e32 v3, 0x80000000, v3
	s_delay_alu instid0(VALU_DEP_1) | instskip(NEXT) | instid1(VALU_DEP_1)
	v_lshl_add_u32 v1, v1, 23, v3
	v_lshl_or_b32 v1, v2, 21, v1
                                        ; implicit-def: $vgpr2
	s_delay_alu instid0(VALU_DEP_1)
	v_add_nc_u32_e32 v1, 0x38000000, v1
.LBB6_14307:                            ;   in Loop: Header=BB6_12937 Depth=3
	s_wait_xcnt 0x0
	s_and_not1_saveexec_b32 s72, s72
	s_cbranch_execz .LBB6_14309
; %bb.14308:                            ;   in Loop: Header=BB6_12937 Depth=3
	scratch_load_b64 v[32:33], off, s33 offset:204 th:TH_LOAD_LU ; 8-byte Folded Reload
	v_mov_b32_e32 v1, 0x7f800000
	s_wait_loadcnt 0x0
	v_cmp_lt_i16_e32 vcc_lo, -1, v32
	s_delay_alu instid0(VALU_DEP_2) | instskip(SKIP_1) | instid1(VALU_DEP_2)
	v_cndmask_b32_e32 v1, 0xff800000, v1, vcc_lo
	v_cmp_eq_u32_e32 vcc_lo, 0, v2
	v_cndmask_b32_e32 v1, 0x7f800001, v1, vcc_lo
.LBB6_14309:                            ;   in Loop: Header=BB6_12937 Depth=3
	s_wait_xcnt 0x0
	s_or_b32 exec_lo, exec_lo, s72
.LBB6_14310:                            ;   in Loop: Header=BB6_12937 Depth=3
	s_delay_alu instid0(SALU_CYCLE_1)
	s_or_b32 exec_lo, exec_lo, s43
.LBB6_14311:                            ;   in Loop: Header=BB6_12937 Depth=3
	s_delay_alu instid0(SALU_CYCLE_1)
	s_or_b32 exec_lo, exec_lo, s13
	scratch_load_b64 v[2:3], off, s33 offset:196 ; 8-byte Folded Reload
	s_mov_b32 s13, exec_lo
	s_wait_loadcnt 0x0
	s_wait_xcnt 0x0
	v_cmpx_ne_u16_e32 0, v2
	s_cbranch_execz .LBB6_14321
; %bb.14312:                            ;   in Loop: Header=BB6_12937 Depth=3
	v_bfrev_b32_e32 v0, 1
	s_mov_b32 s43, exec_lo
	v_cmpx_ne_u16_e32 0xff80, v2
	s_cbranch_execz .LBB6_14320
; %bb.14313:                            ;   in Loop: Header=BB6_12937 Depth=3
	v_and_b32_e32 v0, 0x7c, v2
	v_and_b32_e32 v2, 3, v2
	s_delay_alu instid0(VALU_DEP_2) | instskip(SKIP_1) | instid1(SALU_CYCLE_1)
	v_cmp_ne_u32_e32 vcc_lo, 0x7c, v0
                                        ; implicit-def: $vgpr0
	s_and_saveexec_b32 s72, vcc_lo
	s_xor_b32 s72, exec_lo, s72
	s_cbranch_execz .LBB6_14317
; %bb.14314:                            ;   in Loop: Header=BB6_12937 Depth=3
	scratch_load_b64 v[32:33], off, s33 offset:196 ; 8-byte Folded Reload
	s_mov_b32 s73, exec_lo
	s_wait_loadcnt 0x0
	v_and_b32_e32 v0, 0xff, v32
	s_delay_alu instid0(VALU_DEP_1) | instskip(SKIP_1) | instid1(VALU_DEP_1)
	v_bfe_u32 v0, v0, 2, 5
	s_wait_xcnt 0x0
	v_cmpx_eq_u32_e32 0, v0
	s_cbranch_execz .LBB6_14316
; %bb.14315:                            ;   in Loop: Header=BB6_12937 Depth=3
	v_clz_i32_u32_e32 v0, v2
	s_delay_alu instid0(VALU_DEP_1) | instskip(SKIP_1) | instid1(VALU_DEP_2)
	v_min_u32_e32 v0, 32, v0
	v_mov_b32_e32 v33, v21
	v_subrev_nc_u32_e32 v2, 29, v0
	v_sub_nc_u32_e32 v0, 30, v0
	s_delay_alu instid0(VALU_DEP_2) | instskip(NEXT) | instid1(VALU_DEP_1)
	v_lshlrev_b64_e32 v[2:3], v2, v[32:33]
	v_and_b32_e32 v2, 3, v2
.LBB6_14316:                            ;   in Loop: Header=BB6_12937 Depth=3
	s_or_b32 exec_lo, exec_lo, s73
	v_bfe_i32 v3, v32, 0, 16
                                        ; implicit-def: $vgpr32
	scratch_store_b64 off, v[32:33], s33 offset:196 ; 8-byte Folded Spill
	v_and_b32_e32 v3, 0x80000000, v3
	s_delay_alu instid0(VALU_DEP_1) | instskip(NEXT) | instid1(VALU_DEP_1)
	v_lshl_add_u32 v0, v0, 23, v3
	v_lshl_or_b32 v0, v2, 21, v0
                                        ; implicit-def: $vgpr2
	s_delay_alu instid0(VALU_DEP_1)
	v_add_nc_u32_e32 v0, 0x38000000, v0
.LBB6_14317:                            ;   in Loop: Header=BB6_12937 Depth=3
	s_wait_xcnt 0x0
	s_and_not1_saveexec_b32 s72, s72
	s_cbranch_execz .LBB6_14319
; %bb.14318:                            ;   in Loop: Header=BB6_12937 Depth=3
	scratch_load_b64 v[32:33], off, s33 offset:196 th:TH_LOAD_LU ; 8-byte Folded Reload
	v_mov_b32_e32 v0, 0x7f800000
	s_wait_loadcnt 0x0
	v_cmp_lt_i16_e32 vcc_lo, -1, v32
	s_delay_alu instid0(VALU_DEP_2) | instskip(SKIP_1) | instid1(VALU_DEP_2)
	v_cndmask_b32_e32 v0, 0xff800000, v0, vcc_lo
	v_cmp_eq_u32_e32 vcc_lo, 0, v2
	v_cndmask_b32_e32 v0, 0x7f800001, v0, vcc_lo
.LBB6_14319:                            ;   in Loop: Header=BB6_12937 Depth=3
	s_wait_xcnt 0x0
	s_or_b32 exec_lo, exec_lo, s72
.LBB6_14320:                            ;   in Loop: Header=BB6_12937 Depth=3
	s_delay_alu instid0(SALU_CYCLE_1)
	s_or_b32 exec_lo, exec_lo, s43
.LBB6_14321:                            ;   in Loop: Header=BB6_12937 Depth=3
	s_delay_alu instid0(SALU_CYCLE_1) | instskip(SKIP_2) | instid1(VALU_DEP_2)
	s_or_b32 exec_lo, exec_lo, s13
	v_mul_f32_e32 v3, v1, v0
	v_mov_b32_e32 v1, v21
                                        ; implicit-def: $vgpr2
	v_and_b32_e32 v0, 0x7f800000, v3
	s_delay_alu instid0(VALU_DEP_1) | instskip(SKIP_2) | instid1(SALU_CYCLE_1)
	v_cmp_ne_u64_e32 vcc_lo, 0x7f800000, v[0:1]
	v_and_b32_e32 v0, 0x7fffff, v3
	s_and_saveexec_b32 s13, vcc_lo
	s_xor_b32 s43, exec_lo, s13
	s_cbranch_execz .LBB6_14339
; %bb.14322:                            ;   in Loop: Header=BB6_12937 Depth=3
	v_dual_mov_b32 v33, v21 :: v_dual_lshrrev_b32 v2, 24, v3
	v_and_b32_e32 v32, 0x7fffffff, v3
	s_mov_b32 s13, exec_lo
	s_delay_alu instid0(VALU_DEP_2) | instskip(NEXT) | instid1(VALU_DEP_2)
	v_and_b32_e32 v27, 0x80, v2
                                        ; implicit-def: $vgpr2
	v_cmpx_gt_u64_e32 0x47600001, v[32:33]
	s_xor_b32 s72, exec_lo, s13
	s_cbranch_execz .LBB6_14336
; %bb.14323:                            ;   in Loop: Header=BB6_12937 Depth=3
	v_mov_b32_e32 v2, 0
	s_mov_b32 s73, exec_lo
	v_cmpx_ne_u32_e32 0, v3
	s_cbranch_execz .LBB6_14335
; %bb.14324:                            ;   in Loop: Header=BB6_12937 Depth=3
	v_bfe_u32 v32, v3, 23, 8
	v_or_b32_e32 v3, 0x800000, v0
	s_delay_alu instid0(VALU_DEP_2) | instskip(SKIP_2) | instid1(VALU_DEP_2)
	v_cmp_gt_u32_e64 s13, 0x72, v32
	v_sub_nc_u32_e32 v2, 0x71, v32
	v_cmp_eq_u32_e32 vcc_lo, 0, v32
	v_dual_cndmask_b32 v2, 0, v2, s13 :: v_dual_cndmask_b32 v0, v3, v0, vcc_lo
	s_delay_alu instid0(VALU_DEP_1) | instskip(NEXT) | instid1(VALU_DEP_1)
	v_cndmask_b32_e64 v33, v2, 0x70, vcc_lo
	v_dual_add_nc_u32 v2, 21, v33 :: v_dual_add_nc_u32 v35, 20, v33
	s_delay_alu instid0(VALU_DEP_1) | instskip(NEXT) | instid1(VALU_DEP_2)
	v_lshlrev_b64_e64 v[2:3], v2, -1
	v_lshlrev_b64_e64 v[36:37], v35, 1
	s_delay_alu instid0(VALU_DEP_2) | instskip(SKIP_1) | instid1(VALU_DEP_4)
	v_bfi_b32 v2, v2, 0, v0
	v_lshrrev_b64 v[0:1], v33, v[0:1]
	v_bfi_b32 v3, v3, 0, 0
	s_delay_alu instid0(VALU_DEP_1) | instskip(NEXT) | instid1(VALU_DEP_3)
	v_cmp_eq_u64_e64 s13, v[2:3], v[36:37]
	v_mov_b64_e32 v[2:3], v[0:1]
	s_and_saveexec_b32 s74, s13
; %bb.14325:                            ;   in Loop: Header=BB6_12937 Depth=3
	v_bfe_u32 v2, v0, 21, 1
	v_mov_b32_e32 v3, v21
	s_delay_alu instid0(VALU_DEP_1) | instskip(NEXT) | instid1(VALU_DEP_1)
	v_add_nc_u64_e32 v[2:3], v[0:1], v[2:3]
	v_add_nc_u64_e32 v[2:3], -1, v[2:3]
; %bb.14326:                            ;   in Loop: Header=BB6_12937 Depth=3
	s_or_b32 exec_lo, exec_lo, s74
	v_add_nc_u32_e32 v1, 0xffffff81, v32
	v_lshrrev_b32_e32 v3, 23, v0
	s_mov_b32 s13, exec_lo
	s_delay_alu instid0(VALU_DEP_2) | instskip(NEXT) | instid1(VALU_DEP_1)
	v_cndmask_b32_e64 v1, v1, 0xffffff82, vcc_lo
	v_add3_u32 v32, v33, v1, v3
	v_and_b32_e32 v1, 0x1fffff, v2
                                        ; implicit-def: $vgpr3
	s_delay_alu instid0(VALU_DEP_2) | instskip(NEXT) | instid1(VALU_DEP_2)
	v_add_nc_u32_e32 v2, 14, v32
	v_add_nc_u32_e32 v0, v1, v0
	v_mov_b32_e32 v1, v21
	s_delay_alu instid0(VALU_DEP_3)
	v_cmpx_ne_u32_e32 0, v2
	s_xor_b32 s13, exec_lo, s13
; %bb.14327:                            ;   in Loop: Header=BB6_12937 Depth=3
	s_delay_alu instid0(VALU_DEP_2) | instskip(SKIP_1) | instid1(VALU_DEP_1)
	v_cmp_lt_u64_e32 vcc_lo, 0xffffff, v[0:1]
	v_add_nc_u32_e32 v3, 15, v32
	v_cndmask_b32_e32 v3, v2, v3, vcc_lo
	v_cndmask_b32_e64 v2, 0, 1, vcc_lo
	s_delay_alu instid0(VALU_DEP_1)
	v_lshrrev_b64 v[0:1], v2, v[0:1]
; %bb.14328:                            ;   in Loop: Header=BB6_12937 Depth=3
	s_and_not1_saveexec_b32 s13, s13
; %bb.14329:                            ;   in Loop: Header=BB6_12937 Depth=3
	s_delay_alu instid0(VALU_DEP_1)
	v_bfe_u32 v3, v0, 23, 1
; %bb.14330:                            ;   in Loop: Header=BB6_12937 Depth=3
	s_or_b32 exec_lo, exec_lo, s13
	s_delay_alu instid0(VALU_DEP_2) | instskip(NEXT) | instid1(VALU_DEP_2)
	v_lshrrev_b64 v[0:1], 21, v[0:1]
	v_cmp_gt_i32_e32 vcc_lo, 32, v3
	v_cmp_ne_u32_e64 s13, 0, v3
                                        ; implicit-def: $vgpr2
	s_delay_alu instid0(VALU_DEP_3) | instskip(NEXT) | instid1(VALU_DEP_1)
	v_dual_cndmask_b32 v1, 0, v1 :: v_dual_cndmask_b32 v0, 3, v0
	v_cmp_ne_u64_e32 vcc_lo, 0, v[0:1]
	s_or_b32 s13, s13, vcc_lo
	s_delay_alu instid0(SALU_CYCLE_1) | instskip(NEXT) | instid1(SALU_CYCLE_1)
	s_and_saveexec_b32 s74, s13
	s_xor_b32 s13, exec_lo, s74
; %bb.14331:                            ;   in Loop: Header=BB6_12937 Depth=3
	v_min_i32_e32 v1, 31, v3
	s_delay_alu instid0(VALU_DEP_1) | instskip(NEXT) | instid1(VALU_DEP_1)
	v_lshl_or_b32 v1, v1, 2, v27
                                        ; implicit-def: $vgpr27
	v_and_or_b32 v2, v0, 3, v1
; %bb.14332:                            ;   in Loop: Header=BB6_12937 Depth=3
	s_and_not1_saveexec_b32 s13, s13
; %bb.14333:                            ;   in Loop: Header=BB6_12937 Depth=3
	v_mov_b32_e32 v2, v27
; %bb.14334:                            ;   in Loop: Header=BB6_12937 Depth=3
	s_or_b32 exec_lo, exec_lo, s13
.LBB6_14335:                            ;   in Loop: Header=BB6_12937 Depth=3
	s_delay_alu instid0(SALU_CYCLE_1)
	s_or_b32 exec_lo, exec_lo, s73
                                        ; implicit-def: $vgpr27
.LBB6_14336:                            ;   in Loop: Header=BB6_12937 Depth=3
	s_and_not1_saveexec_b32 s13, s72
; %bb.14337:                            ;   in Loop: Header=BB6_12937 Depth=3
	v_or_b32_e32 v2, 0x7b, v27
; %bb.14338:                            ;   in Loop: Header=BB6_12937 Depth=3
	s_or_b32 exec_lo, exec_lo, s13
                                        ; implicit-def: $vgpr3
                                        ; implicit-def: $vgpr0_vgpr1
.LBB6_14339:                            ;   in Loop: Header=BB6_12937 Depth=3
	s_and_not1_saveexec_b32 s13, s43
	s_cbranch_execz .LBB6_12936
; %bb.14340:                            ;   in Loop: Header=BB6_12937 Depth=3
	s_mov_b32 s43, exec_lo
                                        ; implicit-def: $vgpr2
	v_cmpx_ne_u64_e32 0, v[0:1]
	s_xor_b32 s43, exec_lo, s43
; %bb.14341:                            ;   in Loop: Header=BB6_12937 Depth=3
	v_lshrrev_b32_e32 v0, 24, v3
                                        ; implicit-def: $vgpr3
	s_delay_alu instid0(VALU_DEP_1)
	v_or_b32_e32 v2, 0x7f, v0
; %bb.14342:                            ;   in Loop: Header=BB6_12937 Depth=3
	s_and_not1_saveexec_b32 s43, s43
	s_cbranch_execz .LBB6_12935
; %bb.14343:                            ;   in Loop: Header=BB6_12937 Depth=3
	v_cmp_lt_i32_e32 vcc_lo, -1, v3
	v_cndmask_b32_e64 v2, -4, 0x7c, vcc_lo
	s_branch .LBB6_12935
.LBB6_14344:                            ;   in Loop: Header=BB6_5083 Depth=2
	s_or_b32 exec_lo, exec_lo, s42
	s_clause 0x6
	scratch_load_b32 v80, off, s33 offset:364
	scratch_load_b32 v81, off, s33 offset:268
	scratch_load_b128 v[82:85], off, s33 offset:368
	scratch_load_b64 v[86:87], off, s33 offset:384
	scratch_load_b64 v[96:97], off, s33 offset:392
	;; [unrolled: 1-line block ×4, first 2 shown]
	s_wait_loadcnt 0x4
	s_clause 0x17
	scratch_load_b64 v[84:85], off, s33 offset:272
	scratch_load_b64 v[102:103], off, s33 offset:280
	;; [unrolled: 1-line block ×11, first 2 shown]
	scratch_load_b32 v41, off, s33 offset:464
	scratch_load_b64 v[74:75], off, s33 offset:468
	scratch_load_b64 v[76:77], off, s33 offset:476
	;; [unrolled: 1-line block ×5, first 2 shown]
	scratch_load_b32 v88, off, s33 offset:336
	scratch_load_b64 v[90:91], off, s33 offset:320
	scratch_load_b64 v[106:107], off, s33 offset:328
	;; [unrolled: 1-line block ×3, first 2 shown]
	scratch_load_b32 v8, off, s33 offset:260
	scratch_load_b32 v4, off, s33 offset:312
	;; [unrolled: 1-line block ×3, first 2 shown]
	v_mov_b64_e32 v[116:117], 0
	v_dual_mov_b32 v118, 1 :: v_dual_mov_b32 v119, 0x90
	v_mov_b32_e32 v40, 0x88
.LBB6_14345:                            ;   in Loop: Header=BB6_5083 Depth=2
	s_wait_xcnt 0x0
	s_or_b32 exec_lo, exec_lo, s15
	s_wait_loadcnt 0x0
	v_lshlrev_b32_e32 v0, 10, v1
	s_delay_alu instid0(VALU_DEP_1)
	v_cmp_ne_u32_e32 vcc_lo, v126, v0
	s_and_b32 exec_lo, exec_lo, vcc_lo
	s_cbranch_execz .LBB6_14393
; %bb.14346:                            ;   in Loop: Header=BB6_5083 Depth=2
	v_ashrrev_i32_e32 v1, 31, v4
	s_delay_alu instid0(VALU_DEP_1) | instskip(NEXT) | instid1(VALU_DEP_1)
	v_dual_lshlrev_b32 v2, 5, v20 :: v_dual_lshrrev_b32 v1, 27, v1
	v_add_nc_u32_e32 v1, v4, v1
	s_delay_alu instid0(VALU_DEP_1) | instskip(NEXT) | instid1(VALU_DEP_1)
	v_and_b32_e32 v1, 0xffffffe0, v1
	v_sub_nc_u32_e32 v1, v4, v1
	s_delay_alu instid0(VALU_DEP_1) | instskip(NEXT) | instid1(VALU_DEP_1)
	v_sub_nc_u32_e32 v1, v1, v2
	v_add_nc_u32_e32 v0, v0, v1
	s_delay_alu instid0(VALU_DEP_1) | instskip(NEXT) | instid1(VALU_DEP_1)
	v_sub_nc_u32_e32 v10, v126, v0
	v_cmp_lt_i32_e32 vcc_lo, 0, v10
	s_and_b32 exec_lo, exec_lo, vcc_lo
	s_cbranch_execz .LBB6_14393
; %bb.14347:                            ;   in Loop: Header=BB6_5083 Depth=2
	s_trap 2
	ds_load_b128 v[2:5], v0
	ds_load_b64 v[6:7], v0
	v_add_nc_u32_e32 v8, v0, v8
	s_mov_b32 s15, 0
	s_delay_alu instid0(VALU_DEP_1) | instskip(SKIP_1) | instid1(VALU_DEP_1)
	v_ashrrev_i32_e32 v9, 31, v8
	s_wait_dscnt 0x1
	v_add_nc_u64_e32 v[0:1], v[2:3], v[8:9]
	v_add_nc_u64_e32 v[2:3], v[4:5], v[8:9]
	s_wait_dscnt 0x0
	v_add_nc_u64_e32 v[4:5], v[6:7], v[8:9]
	s_branch .LBB6_14350
.LBB6_14348:                            ;   in Loop: Header=BB6_14350 Depth=3
	s_or_b32 exec_lo, exec_lo, s42
.LBB6_14349:                            ;   in Loop: Header=BB6_14350 Depth=3
	s_delay_alu instid0(SALU_CYCLE_1)
	s_or_b32 exec_lo, exec_lo, s13
	v_sub_nc_u32_e32 v10, v10, v114
	flat_store_b8 v[4:5], v8 th:TH_STORE_NT
	v_add_nc_u64_e32 v[0:1], v[0:1], v[114:115]
	v_add_nc_u64_e32 v[2:3], v[2:3], v[114:115]
	s_wait_xcnt 0x0
	v_add_nc_u64_e32 v[4:5], v[4:5], v[114:115]
	v_cmp_gt_i32_e32 vcc_lo, 1, v10
	s_or_b32 s15, vcc_lo, s15
	s_delay_alu instid0(SALU_CYCLE_1)
	s_and_not1_b32 exec_lo, exec_lo, s15
	s_cbranch_execz .LBB6_14393
.LBB6_14350:                            ;   Parent Loop BB6_47 Depth=1
                                        ;     Parent Loop BB6_5083 Depth=2
                                        ; =>    This Inner Loop Header: Depth=3
	flat_load_i8 v8, v[0:1] th:TH_LOAD_NT
	flat_load_i8 v6, v[2:3] th:TH_LOAD_NT
	v_dual_mov_b32 v7, 0 :: v_dual_mov_b32 v9, 0
	s_mov_b32 s13, exec_lo
	s_wait_loadcnt_dscnt 0x101
	s_wait_xcnt 0x0
	v_cmpx_ne_u16_e32 0, v8
	s_cbranch_execz .LBB6_14360
; %bb.14351:                            ;   in Loop: Header=BB6_14350 Depth=3
	v_bfrev_b32_e32 v9, 1
	s_mov_b32 s42, exec_lo
	v_cmpx_ne_u16_e32 0xff80, v8
	s_cbranch_execz .LBB6_14359
; %bb.14352:                            ;   in Loop: Header=BB6_14350 Depth=3
	v_and_b32_e32 v9, 0x7c, v8
	v_and_b32_e32 v11, 3, v8
	s_delay_alu instid0(VALU_DEP_2) | instskip(SKIP_1) | instid1(SALU_CYCLE_1)
	v_cmp_ne_u32_e32 vcc_lo, 0x7c, v9
                                        ; implicit-def: $vgpr9
	s_and_saveexec_b32 s43, vcc_lo
	s_xor_b32 s43, exec_lo, s43
	s_cbranch_execz .LBB6_14356
; %bb.14353:                            ;   in Loop: Header=BB6_14350 Depth=3
	v_and_b32_e32 v9, 0xff, v8
	s_mov_b32 s72, exec_lo
	s_delay_alu instid0(VALU_DEP_1) | instskip(NEXT) | instid1(VALU_DEP_1)
	v_bfe_u32 v9, v9, 2, 5
	v_cmpx_eq_u32_e32 0, v9
; %bb.14354:                            ;   in Loop: Header=BB6_14350 Depth=3
	v_clz_i32_u32_e32 v9, v11
	s_delay_alu instid0(VALU_DEP_1) | instskip(SKIP_1) | instid1(VALU_DEP_2)
	v_min_u32_e32 v11, 32, v9
	v_mov_b32_e32 v9, v21
	v_subrev_nc_u32_e32 v12, 29, v11
	s_delay_alu instid0(VALU_DEP_1) | instskip(NEXT) | instid1(VALU_DEP_1)
	v_lshlrev_b64_e32 v[12:13], v12, v[8:9]
	v_dual_sub_nc_u32 v9, 30, v11 :: v_dual_bitop2_b32 v11, 3, v12 bitop3:0x40
; %bb.14355:                            ;   in Loop: Header=BB6_14350 Depth=3
	s_or_b32 exec_lo, exec_lo, s72
	v_bfe_i32 v8, v8, 0, 16
	s_delay_alu instid0(VALU_DEP_1) | instskip(NEXT) | instid1(VALU_DEP_1)
	v_and_b32_e32 v8, 0x80000000, v8
	v_lshl_add_u32 v8, v9, 23, v8
	s_delay_alu instid0(VALU_DEP_1) | instskip(NEXT) | instid1(VALU_DEP_1)
	v_lshl_or_b32 v8, v11, 21, v8
                                        ; implicit-def: $vgpr11
	v_add_nc_u32_e32 v9, 0x38000000, v8
                                        ; implicit-def: $vgpr8
.LBB6_14356:                            ;   in Loop: Header=BB6_14350 Depth=3
	s_and_not1_saveexec_b32 s43, s43
; %bb.14357:                            ;   in Loop: Header=BB6_14350 Depth=3
	v_cmp_lt_i16_e32 vcc_lo, -1, v8
	v_mov_b32_e32 v8, 0x7f800000
	s_delay_alu instid0(VALU_DEP_1) | instskip(SKIP_1) | instid1(VALU_DEP_2)
	v_cndmask_b32_e32 v8, 0xff800000, v8, vcc_lo
	v_cmp_eq_u32_e32 vcc_lo, 0, v11
	v_cndmask_b32_e32 v9, 0x7f800001, v8, vcc_lo
; %bb.14358:                            ;   in Loop: Header=BB6_14350 Depth=3
	s_or_b32 exec_lo, exec_lo, s43
.LBB6_14359:                            ;   in Loop: Header=BB6_14350 Depth=3
	s_delay_alu instid0(SALU_CYCLE_1)
	s_or_b32 exec_lo, exec_lo, s42
.LBB6_14360:                            ;   in Loop: Header=BB6_14350 Depth=3
	s_delay_alu instid0(SALU_CYCLE_1) | instskip(NEXT) | instid1(SALU_CYCLE_1)
	s_or_b32 exec_lo, exec_lo, s13
	s_mov_b32 s13, exec_lo
	s_wait_loadcnt_dscnt 0x0
	v_cmpx_ne_u16_e32 0, v6
	s_cbranch_execz .LBB6_14370
; %bb.14361:                            ;   in Loop: Header=BB6_14350 Depth=3
	v_bfrev_b32_e32 v7, 1
	s_mov_b32 s42, exec_lo
	v_cmpx_ne_u16_e32 0xff80, v6
	s_cbranch_execz .LBB6_14369
; %bb.14362:                            ;   in Loop: Header=BB6_14350 Depth=3
	v_and_b32_e32 v7, 0x7c, v6
	v_and_b32_e32 v8, 3, v6
	s_delay_alu instid0(VALU_DEP_2) | instskip(SKIP_1) | instid1(SALU_CYCLE_1)
	v_cmp_ne_u32_e32 vcc_lo, 0x7c, v7
                                        ; implicit-def: $vgpr7
	s_and_saveexec_b32 s43, vcc_lo
	s_xor_b32 s43, exec_lo, s43
	s_cbranch_execz .LBB6_14366
; %bb.14363:                            ;   in Loop: Header=BB6_14350 Depth=3
	v_and_b32_e32 v7, 0xff, v6
	s_mov_b32 s72, exec_lo
	s_delay_alu instid0(VALU_DEP_1) | instskip(NEXT) | instid1(VALU_DEP_1)
	v_bfe_u32 v7, v7, 2, 5
	v_cmpx_eq_u32_e32 0, v7
	s_cbranch_execz .LBB6_14365
; %bb.14364:                            ;   in Loop: Header=BB6_14350 Depth=3
	v_clz_i32_u32_e32 v7, v8
	s_delay_alu instid0(VALU_DEP_1) | instskip(SKIP_1) | instid1(VALU_DEP_2)
	v_min_u32_e32 v8, 32, v7
	v_mov_b32_e32 v7, v21
	v_subrev_nc_u32_e32 v11, 29, v8
	s_delay_alu instid0(VALU_DEP_1) | instskip(SKIP_1) | instid1(VALU_DEP_2)
	v_lshlrev_b64_e32 v[12:13], v11, v[6:7]
	v_sub_nc_u32_e32 v7, 30, v8
	v_and_b32_e32 v8, 3, v12
.LBB6_14365:                            ;   in Loop: Header=BB6_14350 Depth=3
	s_or_b32 exec_lo, exec_lo, s72
	v_bfe_i32 v6, v6, 0, 16
	s_delay_alu instid0(VALU_DEP_1) | instskip(NEXT) | instid1(VALU_DEP_1)
	v_and_b32_e32 v6, 0x80000000, v6
	v_lshl_add_u32 v6, v7, 23, v6
	s_delay_alu instid0(VALU_DEP_1) | instskip(NEXT) | instid1(VALU_DEP_1)
	v_lshl_or_b32 v6, v8, 21, v6
                                        ; implicit-def: $vgpr8
	v_add_nc_u32_e32 v7, 0x38000000, v6
                                        ; implicit-def: $vgpr6
.LBB6_14366:                            ;   in Loop: Header=BB6_14350 Depth=3
	s_and_not1_saveexec_b32 s43, s43
; %bb.14367:                            ;   in Loop: Header=BB6_14350 Depth=3
	v_cmp_lt_i16_e32 vcc_lo, -1, v6
	v_mov_b32_e32 v6, 0x7f800000
	s_delay_alu instid0(VALU_DEP_1) | instskip(SKIP_1) | instid1(VALU_DEP_2)
	v_cndmask_b32_e32 v6, 0xff800000, v6, vcc_lo
	v_cmp_eq_u32_e32 vcc_lo, 0, v8
	v_cndmask_b32_e32 v7, 0x7f800001, v6, vcc_lo
; %bb.14368:                            ;   in Loop: Header=BB6_14350 Depth=3
	s_or_b32 exec_lo, exec_lo, s43
.LBB6_14369:                            ;   in Loop: Header=BB6_14350 Depth=3
	s_delay_alu instid0(SALU_CYCLE_1)
	s_or_b32 exec_lo, exec_lo, s42
.LBB6_14370:                            ;   in Loop: Header=BB6_14350 Depth=3
	s_delay_alu instid0(SALU_CYCLE_1) | instskip(NEXT) | instid1(VALU_DEP_1)
	s_or_b32 exec_lo, exec_lo, s13
	v_mul_f32_e32 v9, v9, v7
	v_mov_b32_e32 v7, v21
                                        ; implicit-def: $vgpr8
	s_delay_alu instid0(VALU_DEP_2) | instskip(NEXT) | instid1(VALU_DEP_1)
	v_and_b32_e32 v6, 0x7f800000, v9
	v_cmp_ne_u64_e32 vcc_lo, 0x7f800000, v[6:7]
	v_and_b32_e32 v6, 0x7fffff, v9
	s_and_saveexec_b32 s13, vcc_lo
	s_delay_alu instid0(SALU_CYCLE_1)
	s_xor_b32 s42, exec_lo, s13
	s_cbranch_execz .LBB6_14388
; %bb.14371:                            ;   in Loop: Header=BB6_14350 Depth=3
	v_dual_mov_b32 v13, v21 :: v_dual_lshrrev_b32 v8, 24, v9
	v_and_b32_e32 v12, 0x7fffffff, v9
	s_mov_b32 s13, exec_lo
	s_delay_alu instid0(VALU_DEP_2) | instskip(NEXT) | instid1(VALU_DEP_2)
	v_and_b32_e32 v11, 0x80, v8
                                        ; implicit-def: $vgpr8
	v_cmpx_gt_u64_e32 0x47600001, v[12:13]
	s_xor_b32 s43, exec_lo, s13
	s_cbranch_execz .LBB6_14385
; %bb.14372:                            ;   in Loop: Header=BB6_14350 Depth=3
	v_mov_b32_e32 v8, 0
	s_mov_b32 s72, exec_lo
	v_cmpx_ne_u32_e32 0, v9
	s_cbranch_execz .LBB6_14384
; %bb.14373:                            ;   in Loop: Header=BB6_14350 Depth=3
	v_bfe_u32 v12, v9, 23, 8
	v_or_b32_e32 v14, 0x800000, v6
	s_delay_alu instid0(VALU_DEP_2) | instskip(SKIP_1) | instid1(VALU_DEP_2)
	v_sub_nc_u32_e32 v8, 0x71, v12
	v_cmp_gt_u32_e32 vcc_lo, 0x72, v12
	v_cndmask_b32_e32 v8, 0, v8, vcc_lo
	v_cmp_eq_u32_e32 vcc_lo, 0, v12
	s_delay_alu instid0(VALU_DEP_2) | instskip(NEXT) | instid1(VALU_DEP_1)
	v_cndmask_b32_e64 v13, v8, 0x70, vcc_lo
	v_dual_cndmask_b32 v6, v14, v6, vcc_lo :: v_dual_add_nc_u32 v8, 21, v13
	v_add_nc_u32_e32 v15, 20, v13
	s_delay_alu instid0(VALU_DEP_2) | instskip(NEXT) | instid1(VALU_DEP_2)
	v_lshlrev_b64_e64 v[8:9], v8, -1
	v_lshlrev_b64_e64 v[14:15], v15, 1
	s_delay_alu instid0(VALU_DEP_2) | instskip(SKIP_1) | instid1(VALU_DEP_4)
	v_bfi_b32 v8, v8, 0, v6
	v_lshrrev_b64 v[6:7], v13, v[6:7]
	v_bfi_b32 v9, v9, 0, 0
	s_delay_alu instid0(VALU_DEP_1) | instskip(NEXT) | instid1(VALU_DEP_3)
	v_cmp_eq_u64_e64 s13, v[8:9], v[14:15]
	v_mov_b64_e32 v[8:9], v[6:7]
	s_and_saveexec_b32 s73, s13
; %bb.14374:                            ;   in Loop: Header=BB6_14350 Depth=3
	v_bfe_u32 v8, v6, 21, 1
	v_mov_b32_e32 v9, v21
	s_delay_alu instid0(VALU_DEP_1) | instskip(NEXT) | instid1(VALU_DEP_1)
	v_add_nc_u64_e32 v[8:9], v[6:7], v[8:9]
	v_add_nc_u64_e32 v[8:9], -1, v[8:9]
; %bb.14375:                            ;   in Loop: Header=BB6_14350 Depth=3
	s_or_b32 exec_lo, exec_lo, s73
	v_add_nc_u32_e32 v7, 0xffffff81, v12
	v_lshrrev_b32_e32 v9, 23, v6
	s_mov_b32 s13, exec_lo
	s_delay_alu instid0(VALU_DEP_2) | instskip(NEXT) | instid1(VALU_DEP_1)
	v_cndmask_b32_e64 v7, v7, 0xffffff82, vcc_lo
	v_add3_u32 v12, v13, v7, v9
	v_and_b32_e32 v7, 0x1fffff, v8
                                        ; implicit-def: $vgpr9
	s_delay_alu instid0(VALU_DEP_1) | instskip(SKIP_1) | instid1(VALU_DEP_2)
	v_dual_add_nc_u32 v8, 14, v12 :: v_dual_add_nc_u32 v6, v7, v6
	v_mov_b32_e32 v7, v21
	v_cmpx_ne_u32_e32 0, v8
	s_xor_b32 s13, exec_lo, s13
; %bb.14376:                            ;   in Loop: Header=BB6_14350 Depth=3
	s_delay_alu instid0(VALU_DEP_2) | instskip(SKIP_1) | instid1(VALU_DEP_1)
	v_cmp_lt_u64_e32 vcc_lo, 0xffffff, v[6:7]
	v_add_nc_u32_e32 v9, 15, v12
	v_cndmask_b32_e32 v9, v8, v9, vcc_lo
	v_cndmask_b32_e64 v8, 0, 1, vcc_lo
	s_delay_alu instid0(VALU_DEP_1)
	v_lshrrev_b64 v[6:7], v8, v[6:7]
; %bb.14377:                            ;   in Loop: Header=BB6_14350 Depth=3
	s_and_not1_saveexec_b32 s13, s13
; %bb.14378:                            ;   in Loop: Header=BB6_14350 Depth=3
	s_delay_alu instid0(VALU_DEP_1)
	v_bfe_u32 v9, v6, 23, 1
; %bb.14379:                            ;   in Loop: Header=BB6_14350 Depth=3
	s_or_b32 exec_lo, exec_lo, s13
	s_delay_alu instid0(VALU_DEP_2) | instskip(NEXT) | instid1(VALU_DEP_2)
	v_lshrrev_b64 v[6:7], 21, v[6:7]
	v_cmp_gt_i32_e32 vcc_lo, 32, v9
	v_cmp_ne_u32_e64 s13, 0, v9
                                        ; implicit-def: $vgpr8
	s_delay_alu instid0(VALU_DEP_3) | instskip(NEXT) | instid1(VALU_DEP_1)
	v_dual_cndmask_b32 v7, 0, v7 :: v_dual_cndmask_b32 v6, 3, v6
	v_cmp_ne_u64_e32 vcc_lo, 0, v[6:7]
	s_or_b32 s13, s13, vcc_lo
	s_delay_alu instid0(SALU_CYCLE_1) | instskip(NEXT) | instid1(SALU_CYCLE_1)
	s_and_saveexec_b32 s73, s13
	s_xor_b32 s13, exec_lo, s73
; %bb.14380:                            ;   in Loop: Header=BB6_14350 Depth=3
	v_min_i32_e32 v7, 31, v9
	s_delay_alu instid0(VALU_DEP_1) | instskip(NEXT) | instid1(VALU_DEP_1)
	v_lshl_or_b32 v7, v7, 2, v11
                                        ; implicit-def: $vgpr11
	v_and_or_b32 v8, v6, 3, v7
; %bb.14381:                            ;   in Loop: Header=BB6_14350 Depth=3
	s_and_not1_saveexec_b32 s13, s13
; %bb.14382:                            ;   in Loop: Header=BB6_14350 Depth=3
	v_mov_b32_e32 v8, v11
; %bb.14383:                            ;   in Loop: Header=BB6_14350 Depth=3
	s_or_b32 exec_lo, exec_lo, s13
.LBB6_14384:                            ;   in Loop: Header=BB6_14350 Depth=3
	s_delay_alu instid0(SALU_CYCLE_1)
	s_or_b32 exec_lo, exec_lo, s72
                                        ; implicit-def: $vgpr11
.LBB6_14385:                            ;   in Loop: Header=BB6_14350 Depth=3
	s_and_not1_saveexec_b32 s13, s43
; %bb.14386:                            ;   in Loop: Header=BB6_14350 Depth=3
	v_or_b32_e32 v8, 0x7b, v11
; %bb.14387:                            ;   in Loop: Header=BB6_14350 Depth=3
	s_or_b32 exec_lo, exec_lo, s13
                                        ; implicit-def: $vgpr9
                                        ; implicit-def: $vgpr6_vgpr7
.LBB6_14388:                            ;   in Loop: Header=BB6_14350 Depth=3
	s_and_not1_saveexec_b32 s13, s42
	s_cbranch_execz .LBB6_14349
; %bb.14389:                            ;   in Loop: Header=BB6_14350 Depth=3
	s_mov_b32 s42, exec_lo
                                        ; implicit-def: $vgpr8
	v_cmpx_ne_u64_e32 0, v[6:7]
	s_xor_b32 s42, exec_lo, s42
; %bb.14390:                            ;   in Loop: Header=BB6_14350 Depth=3
	v_lshrrev_b32_e32 v6, 24, v9
                                        ; implicit-def: $vgpr9
	s_delay_alu instid0(VALU_DEP_1)
	v_or_b32_e32 v8, 0x7f, v6
; %bb.14391:                            ;   in Loop: Header=BB6_14350 Depth=3
	s_and_not1_saveexec_b32 s42, s42
	s_cbranch_execz .LBB6_14348
; %bb.14392:                            ;   in Loop: Header=BB6_14350 Depth=3
	v_cmp_lt_i32_e32 vcc_lo, -1, v9
	v_cndmask_b32_e64 v8, -4, 0x7c, vcc_lo
	s_branch .LBB6_14348
.LBB6_14393:                            ;   in Loop: Header=BB6_5083 Depth=2
	s_or_b32 exec_lo, exec_lo, s14
.LBB6_14394:                            ;   in Loop: Header=BB6_5083 Depth=2
	scratch_load_b32 v0, off, s33 offset:296 th:TH_LOAD_LU ; 4-byte Folded Reload
	s_wait_loadcnt 0x0
	v_cmp_lt_i32_e64 s13, 0, v0
	s_wait_xcnt 0x0
	s_and_saveexec_b32 s14, s2
	s_cbranch_execnz .LBB6_14395
; %bb.15079:                            ;   in Loop: Header=BB6_5083 Depth=2
	s_add_pc_i64 .LBB6_5159-.Lpost_addpc49
.Lpost_addpc49:
.LBB6_14395:                            ;   in Loop: Header=BB6_5083 Depth=2
	s_and_saveexec_b32 s15, s3
	s_delay_alu instid0(SALU_CYCLE_1)
	s_xor_b32 s15, exec_lo, s15
	s_cbranch_execz .LBB6_14410
; %bb.14396:                            ;   in Loop: Header=BB6_5083 Depth=2
	s_and_saveexec_b32 s42, s6
	s_cbranch_execz .LBB6_14409
; %bb.14397:                            ;   in Loop: Header=BB6_5083 Depth=2
	s_mov_b32 s72, exec_lo
	s_mov_b32 s43, exec_lo
	v_mbcnt_lo_u32_b32 v0, s72, 0
	global_wb scope:SCOPE_DEV
	s_wait_storecnt 0x0
	s_wait_loadcnt_dscnt 0x0
	global_inv scope:SCOPE_DEV
	v_cmpx_eq_u32_e32 0, v0
	s_cbranch_execz .LBB6_14399
; %bb.14398:                            ;   in Loop: Header=BB6_5083 Depth=2
	s_bcnt1_i32_b32 s72, s72
	s_delay_alu instid0(SALU_CYCLE_1)
	v_dual_mov_b32 v1, v21 :: v_dual_mov_b32 v0, s72
	s_wait_loadcnt 0x0
	ds_add_u64 v0, v[0:1]
	s_trap 2
.LBB6_14399:                            ;   in Loop: Header=BB6_5083 Depth=2
	s_or_b32 exec_lo, exec_lo, s43
	s_trap 2
	ds_load_b64 v[0:1], v0
	s_wait_dscnt 0x0
	v_add_nc_u64_e32 v[84:85], v[84:85], v[26:27]
	s_mov_b32 s43, exec_lo
	s_delay_alu instid0(VALU_DEP_1)
	v_cmpx_lt_u64_e64 v[0:1], v[84:85]
	s_cbranch_execz .LBB6_14408
; %bb.14400:                            ;   in Loop: Header=BB6_5083 Depth=2
	s_mov_b32 s72, 0
	s_mov_b32 s75, 0
                                        ; implicit-def: $sgpr73
                                        ; implicit-def: $sgpr74
	s_branch .LBB6_14402
.LBB6_14401:                            ;   in Loop: Header=BB6_14402 Depth=3
	s_or_b32 exec_lo, exec_lo, s77
	s_delay_alu instid0(SALU_CYCLE_1) | instskip(NEXT) | instid1(SALU_CYCLE_1)
	s_and_b32 s76, exec_lo, s78
	s_or_b32 s72, s76, s72
	s_and_not1_b32 s73, s73, exec_lo
	s_and_b32 s76, s74, exec_lo
	s_delay_alu instid0(SALU_CYCLE_1)
	s_or_b32 s73, s73, s76
	s_and_not1_b32 exec_lo, exec_lo, s72
	s_cbranch_execz .LBB6_14406
.LBB6_14402:                            ;   Parent Loop BB6_47 Depth=1
                                        ;     Parent Loop BB6_5083 Depth=2
                                        ; =>    This Inner Loop Header: Depth=3
	s_add_co_i32 s75, s75, 1
	s_delay_alu instid0(SALU_CYCLE_1) | instskip(SKIP_1) | instid1(SALU_CYCLE_1)
	s_cmp_lg_u32 s75, 0x2710
	s_cselect_b32 s76, -1, 0
	s_and_b32 vcc_lo, exec_lo, s76
	s_cbranch_vccz .LBB6_14404
; %bb.14403:                            ;   in Loop: Header=BB6_14402 Depth=3
	s_mov_b32 s78, -1
	s_or_b32 s74, s74, exec_lo
	s_and_saveexec_b32 s77, s76
	s_cbranch_execz .LBB6_14401
	s_branch .LBB6_14405
.LBB6_14404:                            ;   in Loop: Header=BB6_14402 Depth=3
	s_trap 2
	ds_load_b64 v[0:1], v0
	s_and_not1_b32 s76, s76, exec_lo
	s_mov_b32 s75, 0
	s_wait_loadcnt_dscnt 0x0
	flat_load_b32 v0, v[0:1] scope:SCOPE_SYS
	s_wait_loadcnt_dscnt 0x0
	global_inv scope:SCOPE_SYS
	v_cmp_eq_u32_e32 vcc_lo, 0, v0
	s_and_b32 s77, vcc_lo, exec_lo
	s_delay_alu instid0(SALU_CYCLE_1)
	s_or_b32 s76, s76, s77
	s_mov_b32 s78, -1
	s_or_b32 s74, s74, exec_lo
	s_wait_xcnt 0x0
	s_and_saveexec_b32 s77, s76
	s_cbranch_execz .LBB6_14401
.LBB6_14405:                            ;   in Loop: Header=BB6_14402 Depth=3
	s_sleep 1
	s_trap 2
	ds_load_b64 v[0:1], v0
	s_wait_dscnt 0x0
	s_and_not1_b32 s74, s74, exec_lo
	v_cmp_ge_u64_e32 vcc_lo, v[0:1], v[84:85]
	s_or_not1_b32 s78, vcc_lo, exec_lo
	s_branch .LBB6_14401
.LBB6_14406:                            ;   in Loop: Header=BB6_5083 Depth=2
	s_or_b32 exec_lo, exec_lo, s72
	s_and_saveexec_b32 s72, s73
	s_delay_alu instid0(SALU_CYCLE_1)
	s_xor_b32 s72, exec_lo, s72
	s_cbranch_execz .LBB6_14408
; %bb.14407:                            ;   in Loop: Header=BB6_5083 Depth=2
	ds_store_b32 v0, v118
	s_trap 2
.LBB6_14408:                            ;   in Loop: Header=BB6_5083 Depth=2
	s_or_b32 exec_lo, exec_lo, s43
	;;#ASMSTART
	s_wakeup
	;;#ASMEND
.LBB6_14409:                            ;   in Loop: Header=BB6_5083 Depth=2
	s_or_b32 exec_lo, exec_lo, s42
.LBB6_14410:                            ;   in Loop: Header=BB6_5083 Depth=2
	s_and_not1_saveexec_b32 s15, s15
	s_cbranch_execz .LBB6_14412
; %bb.14411:                            ;   in Loop: Header=BB6_5083 Depth=2
	global_wb scope:SCOPE_DEV
	s_wait_storecnt 0x0
	s_wait_loadcnt_dscnt 0x0
	global_inv scope:SCOPE_DEV
	s_barrier_signal -1
	s_barrier_wait -1
.LBB6_14412:                            ;   in Loop: Header=BB6_5083 Depth=2
	s_or_b32 exec_lo, exec_lo, s15
	s_delay_alu instid0(SALU_CYCLE_1) | instskip(SKIP_1) | instid1(SALU_CYCLE_1)
	s_or_b32 exec_lo, exec_lo, s14
                                        ; implicit-def: $vgpr0
	s_and_saveexec_b32 s14, s10
	s_xor_b32 s14, exec_lo, s14
	s_cbranch_execz .LBB6_14413
; %bb.15081:                            ;   in Loop: Header=BB6_5083 Depth=2
	s_add_pc_i64 .LBB6_5160-.Lpost_addpc50
.Lpost_addpc50:
.LBB6_14413:                            ;   in Loop: Header=BB6_5083 Depth=2
	s_and_not1_saveexec_b32 s13, s14
	s_cbranch_execz .LBB6_14432
.LBB6_14414:                            ;   in Loop: Header=BB6_5083 Depth=2
	s_and_saveexec_b32 s14, s3
	s_delay_alu instid0(SALU_CYCLE_1)
	s_xor_b32 s14, exec_lo, s14
	s_cbranch_execz .LBB6_14429
; %bb.14415:                            ;   in Loop: Header=BB6_5083 Depth=2
	s_and_saveexec_b32 s15, s6
	s_cbranch_execz .LBB6_14428
; %bb.14416:                            ;   in Loop: Header=BB6_5083 Depth=2
	s_mov_b32 s43, exec_lo
	s_mov_b32 s42, exec_lo
	v_mbcnt_lo_u32_b32 v0, s43, 0
	;;#ASMSTART
	s_waitcnt lgkmcnt(0) vmcnt(0)
	;;#ASMEND
	s_delay_alu instid0(VALU_DEP_1)
	v_cmpx_eq_u32_e32 0, v0
	s_cbranch_execz .LBB6_14418
; %bb.14417:                            ;   in Loop: Header=BB6_5083 Depth=2
	s_bcnt1_i32_b32 s43, s43
	s_delay_alu instid0(SALU_CYCLE_1)
	v_dual_mov_b32 v1, v21 :: v_dual_mov_b32 v0, s43
	s_wait_storecnt 0x0
	s_wait_loadcnt_dscnt 0x0
	ds_add_u64 v0, v[0:1]
	s_trap 2
.LBB6_14418:                            ;   in Loop: Header=BB6_5083 Depth=2
	s_or_b32 exec_lo, exec_lo, s42
	s_trap 2
	ds_load_b64 v[0:1], v0
	s_wait_dscnt 0x0
	v_add_nc_u64_e32 v[84:85], v[84:85], v[26:27]
	s_mov_b32 s42, exec_lo
	s_delay_alu instid0(VALU_DEP_1)
	v_cmpx_lt_u64_e64 v[0:1], v[84:85]
	s_cbranch_execz .LBB6_14427
; %bb.14419:                            ;   in Loop: Header=BB6_5083 Depth=2
	s_mov_b32 s43, 0
	s_mov_b32 s74, 0
                                        ; implicit-def: $sgpr72
                                        ; implicit-def: $sgpr73
	s_branch .LBB6_14421
.LBB6_14420:                            ;   in Loop: Header=BB6_14421 Depth=3
	s_or_b32 exec_lo, exec_lo, s76
	s_delay_alu instid0(SALU_CYCLE_1) | instskip(NEXT) | instid1(SALU_CYCLE_1)
	s_and_b32 s75, exec_lo, s77
	s_or_b32 s43, s75, s43
	s_and_not1_b32 s72, s72, exec_lo
	s_and_b32 s75, s73, exec_lo
	s_delay_alu instid0(SALU_CYCLE_1)
	s_or_b32 s72, s72, s75
	s_and_not1_b32 exec_lo, exec_lo, s43
	s_cbranch_execz .LBB6_14425
.LBB6_14421:                            ;   Parent Loop BB6_47 Depth=1
                                        ;     Parent Loop BB6_5083 Depth=2
                                        ; =>    This Inner Loop Header: Depth=3
	s_add_co_i32 s74, s74, 1
	s_delay_alu instid0(SALU_CYCLE_1) | instskip(SKIP_1) | instid1(SALU_CYCLE_1)
	s_cmp_lg_u32 s74, 0x2710
	s_cselect_b32 s75, -1, 0
	s_and_b32 vcc_lo, exec_lo, s75
	s_cbranch_vccz .LBB6_14423
; %bb.14422:                            ;   in Loop: Header=BB6_14421 Depth=3
	s_mov_b32 s77, -1
	s_or_b32 s73, s73, exec_lo
	s_and_saveexec_b32 s76, s75
	s_cbranch_execz .LBB6_14420
	s_branch .LBB6_14424
.LBB6_14423:                            ;   in Loop: Header=BB6_14421 Depth=3
	s_trap 2
	ds_load_b64 v[0:1], v0
	s_and_not1_b32 s75, s75, exec_lo
	s_mov_b32 s74, 0
	s_wait_storecnt 0x0
	s_wait_loadcnt_dscnt 0x0
	flat_load_b32 v0, v[0:1] scope:SCOPE_SYS
	s_wait_loadcnt_dscnt 0x0
	global_inv scope:SCOPE_SYS
	v_cmp_eq_u32_e32 vcc_lo, 0, v0
	s_and_b32 s76, vcc_lo, exec_lo
	s_delay_alu instid0(SALU_CYCLE_1)
	s_or_b32 s75, s75, s76
	s_mov_b32 s77, -1
	s_or_b32 s73, s73, exec_lo
	s_wait_xcnt 0x0
	s_and_saveexec_b32 s76, s75
	s_cbranch_execz .LBB6_14420
.LBB6_14424:                            ;   in Loop: Header=BB6_14421 Depth=3
	s_sleep 1
	s_trap 2
	ds_load_b64 v[0:1], v0
	s_wait_dscnt 0x0
	s_and_not1_b32 s73, s73, exec_lo
	v_cmp_ge_u64_e32 vcc_lo, v[0:1], v[84:85]
	s_or_not1_b32 s77, vcc_lo, exec_lo
	s_branch .LBB6_14420
.LBB6_14425:                            ;   in Loop: Header=BB6_5083 Depth=2
	s_or_b32 exec_lo, exec_lo, s43
	s_and_saveexec_b32 s43, s72
	s_delay_alu instid0(SALU_CYCLE_1)
	s_xor_b32 s43, exec_lo, s43
	s_cbranch_execz .LBB6_14427
; %bb.14426:                            ;   in Loop: Header=BB6_5083 Depth=2
	ds_store_b32 v0, v118
	s_trap 2
.LBB6_14427:                            ;   in Loop: Header=BB6_5083 Depth=2
	s_or_b32 exec_lo, exec_lo, s42
	;;#ASMSTART
	s_wakeup
	;;#ASMEND
.LBB6_14428:                            ;   in Loop: Header=BB6_5083 Depth=2
	s_or_b32 exec_lo, exec_lo, s15
.LBB6_14429:                            ;   in Loop: Header=BB6_5083 Depth=2
	s_and_not1_saveexec_b32 s14, s14
	s_cbranch_execz .LBB6_14431
; %bb.14430:                            ;   in Loop: Header=BB6_5083 Depth=2
	;;#ASMSTART
	s_waitcnt lgkmcnt(0) vmcnt(0)
	;;#ASMEND
	s_barrier_signal -1
	s_barrier_wait -1
.LBB6_14431:                            ;   in Loop: Header=BB6_5083 Depth=2
	s_or_b32 exec_lo, exec_lo, s14
	v_and_b32_e32 v0, 16, v81
.LBB6_14432:                            ;   in Loop: Header=BB6_5083 Depth=2
	s_or_b32 exec_lo, exec_lo, s13
	s_delay_alu instid0(VALU_DEP_1) | instskip(SKIP_1) | instid1(SALU_CYCLE_1)
	v_cmp_ne_u32_e32 vcc_lo, 0, v0
	s_xor_b32 s13, s4, -1
	s_and_b32 s14, vcc_lo, s13
	s_delay_alu instid0(SALU_CYCLE_1)
	s_and_saveexec_b32 s13, s14
	s_cbranch_execz .LBB6_14434
; %bb.14433:                            ;   in Loop: Header=BB6_5083 Depth=2
	global_wb scope:SCOPE_SYS
	s_wait_storecnt 0x0
	s_wait_loadcnt_dscnt 0x0
	flat_store_b32 v[100:101], v118 scope:SCOPE_SYS
.LBB6_14434:                            ;   in Loop: Header=BB6_5083 Depth=2
	s_wait_xcnt 0x0
	s_or_b32 exec_lo, exec_lo, s13
	v_and_b32_e32 v0, 48, v81
	s_mov_b32 s13, exec_lo
	s_delay_alu instid0(VALU_DEP_1)
	v_cmpx_ne_u32_e32 0, v0
	s_cbranch_execnz .LBB6_14435
; %bb.15083:                            ;   in Loop: Header=BB6_5083 Depth=2
	s_add_pc_i64 .LBB6_5082-.Lpost_addpc51
.Lpost_addpc51:
.LBB6_14435:                            ;   in Loop: Header=BB6_5083 Depth=2
	v_add_nc_u64_e32 v[94:95], 2, v[94:95]
	global_wb scope:SCOPE_SYS
	s_wait_storecnt 0x0
	s_wait_loadcnt_dscnt 0x0
	flat_store_b64 v[86:87], v[94:95] scope:SCOPE_SYS
; %bb.15031:                            ;   in Loop: Header=BB6_5083 Depth=2
	s_add_pc_i64 .LBB6_5082-.Lpost_addpc25
.Lpost_addpc25:
.LBB6_14436:                            ;   in Loop: Header=BB6_47 Depth=1
	s_or_b32 exec_lo, exec_lo, s29
.LBB6_14437:                            ;   in Loop: Header=BB6_47 Depth=1
	s_delay_alu instid0(SALU_CYCLE_1) | instskip(NEXT) | instid1(SALU_CYCLE_1)
	s_or_b32 exec_lo, exec_lo, s18
	s_mov_b32 s14, exec_lo
	v_cmpx_gt_i32_e32 2, v2
	s_cbranch_execz .LBB6_14513
; %bb.14438:                            ;   in Loop: Header=BB6_47 Depth=1
	v_cmp_eq_u32_e64 s18, 0, v2
	s_mov_b32 s15, 0
	s_branch .LBB6_14440
.LBB6_14439:                            ;   in Loop: Header=BB6_14440 Depth=2
	s_wait_xcnt 0x0
	s_or_b32 exec_lo, exec_lo, s13
	v_add_nc_u32_e32 v106, v90, v106
	s_mov_b32 s18, 0
	s_and_not1_b32 exec_lo, exec_lo, s15
	s_cbranch_execz .LBB6_14512
.LBB6_14440:                            ;   Parent Loop BB6_47 Depth=1
                                        ; =>  This Loop Header: Depth=2
                                        ;       Child Loop BB6_14446 Depth 3
                                        ;       Child Loop BB6_14474 Depth 3
	;; [unrolled: 1-line block ×3, first 2 shown]
	s_delay_alu instid0(VALU_DEP_1) | instskip(SKIP_1) | instid1(VALU_DEP_1)
	v_dual_sub_nc_u32 v0, v88, v106 :: v_dual_bitop2_b32 v1, 12, v81 bitop3:0x40
	s_mov_b32 s29, exec_lo
	v_min_i32_e32 v90, v90, v0
	s_delay_alu instid0(VALU_DEP_2)
	v_cmpx_ne_u32_e32 0, v1
	s_cbranch_execz .LBB6_14466
; %bb.14441:                            ;   in Loop: Header=BB6_14440 Depth=2
	v_dual_mov_b32 v3, v21 :: v_dual_bitop2_b32 v2, 8, v81 bitop3:0x40
	v_add_nc_u64_e32 v[0:1], 2, v[94:95]
	s_mov_b32 s42, exec_lo
	s_wait_loadcnt_dscnt 0x1
	s_delay_alu instid0(VALU_DEP_2) | instskip(NEXT) | instid1(VALU_DEP_1)
	v_add_nc_u64_e32 v[4:5], v[102:103], v[2:3]
	v_cmpx_lt_u64_e64 v[4:5], v[0:1]
	s_cbranch_execz .LBB6_14453
; %bb.14442:                            ;   in Loop: Header=BB6_14440 Depth=2
	v_and_b32_e32 v4, 64, v81
	s_mov_b32 s43, 0
	s_mov_b32 s73, 0
                                        ; implicit-def: $sgpr62
                                        ; implicit-def: $sgpr63
                                        ; implicit-def: $sgpr72
	s_delay_alu instid0(VALU_DEP_1)
	v_cmp_eq_u32_e32 vcc_lo, 0, v4
	s_branch .LBB6_14446
.LBB6_14443:                            ;   in Loop: Header=BB6_14446 Depth=3
	s_wait_loadcnt_dscnt 0x0
	v_add_nc_u64_e32 v[6:7], v[102:103], v[2:3]
	s_or_b32 s76, s76, exec_lo
	s_delay_alu instid0(VALU_DEP_1)
	v_cmp_ge_u64_e64 s13, v[6:7], v[0:1]
	s_or_not1_b32 s75, s13, exec_lo
.LBB6_14444:                            ;   in Loop: Header=BB6_14446 Depth=3
	s_or_b32 exec_lo, exec_lo, s78
	s_delay_alu instid0(SALU_CYCLE_1)
	s_and_not1_b32 s13, s72, exec_lo
	s_and_b32 s72, s76, exec_lo
	s_and_not1_b32 s63, s63, exec_lo
	s_and_b32 s75, s75, exec_lo
	s_or_b32 s72, s13, s72
	s_or_b32 s63, s63, s75
.LBB6_14445:                            ;   in Loop: Header=BB6_14446 Depth=3
	s_or_b32 exec_lo, exec_lo, s74
	s_delay_alu instid0(SALU_CYCLE_1) | instskip(NEXT) | instid1(SALU_CYCLE_1)
	s_and_b32 s13, exec_lo, s63
	s_or_b32 s43, s13, s43
	s_and_not1_b32 s13, s62, exec_lo
	s_and_b32 s62, s72, exec_lo
	s_delay_alu instid0(SALU_CYCLE_1)
	s_or_b32 s62, s13, s62
	s_and_not1_b32 exec_lo, exec_lo, s43
	s_cbranch_execz .LBB6_14450
.LBB6_14446:                            ;   Parent Loop BB6_47 Depth=1
                                        ;     Parent Loop BB6_14440 Depth=2
                                        ; =>    This Inner Loop Header: Depth=3
	s_sleep 1
	s_wait_loadcnt_dscnt 0x0
	flat_load_b64 v[102:103], v[86:87] scope:SCOPE_SYS
	s_or_b32 s72, s72, exec_lo
	s_or_b32 s63, s63, exec_lo
                                        ; implicit-def: $vgpr4
	s_wait_xcnt 0x0
	s_and_saveexec_b32 s74, vcc_lo
	s_cbranch_execz .LBB6_14445
; %bb.14447:                            ;   in Loop: Header=BB6_14446 Depth=3
	s_cmp_lt_i32 s73, 0x270f
	s_mov_b32 s75, -1
	s_cselect_b32 s77, -1, 0
	s_cmp_gt_i32 s73, 0x270e
	s_cbranch_scc0 .LBB6_14449
; %bb.14448:                            ;   in Loop: Header=BB6_14446 Depth=3
	s_trap 2
	ds_load_b64 v[4:5], v0
	s_and_not1_b32 s73, s77, exec_lo
	s_mov_b32 s76, 0
	s_wait_storecnt 0x0
	s_wait_loadcnt_dscnt 0x0
	flat_load_b32 v4, v[4:5] scope:SCOPE_SYS
	s_wait_loadcnt_dscnt 0x0
	global_inv scope:SCOPE_SYS
	v_cmp_eq_u32_e64 s13, 0, v4
	s_and_b32 s13, s13, exec_lo
	s_delay_alu instid0(SALU_CYCLE_1)
	s_or_b32 s77, s73, s13
	s_mov_b32 s73, 0
	s_wait_xcnt 0x0
	s_and_saveexec_b32 s78, s77
	s_cbranch_execz .LBB6_14444
	s_branch .LBB6_14443
.LBB6_14449:                            ;   in Loop: Header=BB6_14446 Depth=3
	s_add_co_i32 s73, s73, 1
	s_mov_b32 s76, -1
                                        ; implicit-def: $vgpr4
	s_and_saveexec_b32 s78, s77
	s_cbranch_execz .LBB6_14444
	s_branch .LBB6_14443
.LBB6_14450:                            ;   in Loop: Header=BB6_14440 Depth=2
	s_or_b32 exec_lo, exec_lo, s43
	s_xor_b32 s13, s62, -1
	s_delay_alu instid0(SALU_CYCLE_1) | instskip(NEXT) | instid1(SALU_CYCLE_1)
	s_and_saveexec_b32 s43, s13
	s_xor_b32 s13, exec_lo, s43
	s_cbranch_execz .LBB6_14452
; %bb.14451:                            ;   in Loop: Header=BB6_14440 Depth=2
	v_or_b32_e32 v81, 64, v81
	s_wait_storecnt 0x0
	s_wait_loadcnt_dscnt 0x0
	ds_store_b32 v0, v4
	s_trap 2
.LBB6_14452:                            ;   in Loop: Header=BB6_14440 Depth=2
	s_or_b32 exec_lo, exec_lo, s13
.LBB6_14453:                            ;   in Loop: Header=BB6_14440 Depth=2
	s_delay_alu instid0(SALU_CYCLE_1) | instskip(SKIP_3) | instid1(VALU_DEP_1)
	s_or_b32 exec_lo, exec_lo, s42
	v_and_b32_e32 v3, 0x108, v81
	s_mov_b32 s13, exec_lo
	;;#ASMSTART
	s_wakeup
	;;#ASMEND
                                        ; implicit-def: $vgpr4_vgpr5
	v_cmpx_ne_u32_e32 0x108, v3
	s_xor_b32 s13, exec_lo, s13
; %bb.14454:                            ;   in Loop: Header=BB6_14440 Depth=2
	v_dual_mov_b32 v5, v21 :: v_dual_bitop2_b32 v4, 7, v94 bitop3:0x40
                                        ; implicit-def: $vgpr94_vgpr95
; %bb.14455:                            ;   in Loop: Header=BB6_14440 Depth=2
	s_and_not1_saveexec_b32 s13, s13
	s_cbranch_execz .LBB6_14457
; %bb.14456:                            ;   in Loop: Header=BB6_14440 Depth=2
	v_dual_mov_b32 v5, v21 :: v_dual_bitop2_b32 v4, 7, v94 bitop3:0x40
	v_ashrrev_i32_e32 v91, 31, v90
	s_delay_alu instid0(VALU_DEP_2)
	v_mad_nc_u64_u32 v[6:7], v4, 24, v[82:83]
	flat_store_b64 v[6:7], v[90:91] offset:8
.LBB6_14457:                            ;   in Loop: Header=BB6_14440 Depth=2
	s_wait_xcnt 0x0
	s_or_b32 exec_lo, exec_lo, s13
	v_and_b32_e32 v3, 0x100, v81
	s_mov_b32 s13, -1
	s_mov_b32 s42, exec_lo
                                        ; implicit-def: $vgpr6_vgpr7
	s_delay_alu instid0(VALU_DEP_1)
	v_cmpx_ne_u32_e32 0, v3
	s_cbranch_execz .LBB6_14461
; %bb.14458:                            ;   in Loop: Header=BB6_14440 Depth=2
	v_mad_nc_u64_u32 v[8:9], v4, 24, v[82:83]
	s_mov_b32 s43, exec_lo
                                        ; implicit-def: $vgpr6_vgpr7
	s_delay_alu instid0(VALU_DEP_1)
	v_mad_u32 v9, v5, 24, v9
	flat_load_b32 v3, v[8:9]
	s_wait_loadcnt_dscnt 0x0
	v_cmp_ne_u32_e32 vcc_lo, 1, v3
	s_wait_xcnt 0x0
	v_cmpx_eq_u32_e32 1, v3
	s_cbranch_execz .LBB6_14460
; %bb.14459:                            ;   in Loop: Header=BB6_14440 Depth=2
	flat_load_b32 v6, v[8:9] offset:4 scope:SCOPE_SYS
	s_wait_loadcnt_dscnt 0x0
	v_ashrrev_i32_e32 v7, 31, v6
.LBB6_14460:                            ;   in Loop: Header=BB6_14440 Depth=2
	s_wait_xcnt 0x0
	s_or_b32 exec_lo, exec_lo, s43
	s_delay_alu instid0(SALU_CYCLE_1)
	s_or_not1_b32 s13, vcc_lo, exec_lo
.LBB6_14461:                            ;   in Loop: Header=BB6_14440 Depth=2
	s_or_b32 exec_lo, exec_lo, s42
	s_and_saveexec_b32 s42, s13
; %bb.14462:                            ;   in Loop: Header=BB6_14440 Depth=2
	v_mul_u64_e32 v[6:7], v[4:5], v[96:97]
; %bb.14463:                            ;   in Loop: Header=BB6_14440 Depth=2
	s_or_b32 exec_lo, exec_lo, s42
	v_cmp_eq_u32_e32 vcc_lo, 0, v2
	s_delay_alu instid0(VALU_DEP_2) | instskip(SKIP_3) | instid1(VALU_DEP_1)
	v_add_nc_u64_e32 v[2:3], v[98:99], v[6:7]
	v_and_b32_e32 v5, 0x2000, v81
	s_mov_b32 s13, exec_lo
	v_cndmask_b32_e32 v4, 0xd0, v119, vcc_lo
	v_add_nc_u32_e32 v4, v0, v4
	ds_store_b64 v4, v[2:3] offset:584
	v_cmpx_ne_u32_e32 0, v5
	s_cbranch_execz .LBB6_14465
; %bb.14464:                            ;   in Loop: Header=BB6_14440 Depth=2
	ds_load_b64 v[2:3], v0 offset:872
	s_wait_dscnt 0x0
	v_add_nc_u64_e32 v[2:3], 1, v[2:3]
	ds_store_b64 v0, v[2:3] offset:872
.LBB6_14465:                            ;   in Loop: Header=BB6_14440 Depth=2
	s_or_b32 exec_lo, exec_lo, s13
	v_mov_b64_e32 v[94:95], v[0:1]
.LBB6_14466:                            ;   in Loop: Header=BB6_14440 Depth=2
	s_or_b32 exec_lo, exec_lo, s29
	s_xor_b32 s13, s18, -1
	s_delay_alu instid0(SALU_CYCLE_1) | instskip(NEXT) | instid1(SALU_CYCLE_1)
	s_and_b32 s13, exec_lo, s13
	s_or_b32 s15, s13, s15
	s_and_saveexec_b32 s13, s2
	s_cbranch_execz .LBB6_14485
; %bb.14467:                            ;   in Loop: Header=BB6_14440 Depth=2
	s_and_saveexec_b32 s18, s3
	s_delay_alu instid0(SALU_CYCLE_1)
	s_xor_b32 s18, exec_lo, s18
	s_cbranch_execz .LBB6_14482
; %bb.14468:                            ;   in Loop: Header=BB6_14440 Depth=2
	s_and_saveexec_b32 s29, s6
	s_cbranch_execz .LBB6_14481
; %bb.14469:                            ;   in Loop: Header=BB6_14440 Depth=2
	s_mov_b32 s43, exec_lo
	s_mov_b32 s42, exec_lo
	v_mbcnt_lo_u32_b32 v0, s43, 0
	global_wb scope:SCOPE_DEV
	s_wait_storecnt 0x0
	s_wait_loadcnt_dscnt 0x0
	global_inv scope:SCOPE_DEV
	v_cmpx_eq_u32_e32 0, v0
	s_cbranch_execz .LBB6_14471
; %bb.14470:                            ;   in Loop: Header=BB6_14440 Depth=2
	s_bcnt1_i32_b32 s43, s43
	s_delay_alu instid0(SALU_CYCLE_1)
	v_dual_mov_b32 v1, v21 :: v_dual_mov_b32 v0, s43
	s_wait_loadcnt 0x0
	ds_add_u64 v0, v[0:1]
	s_trap 2
.LBB6_14471:                            ;   in Loop: Header=BB6_14440 Depth=2
	s_or_b32 exec_lo, exec_lo, s42
	s_trap 2
	ds_load_b64 v[0:1], v0
	s_wait_dscnt 0x0
	v_add_nc_u64_e32 v[84:85], v[84:85], v[26:27]
	s_mov_b32 s42, exec_lo
	s_delay_alu instid0(VALU_DEP_1)
	v_cmpx_lt_u64_e64 v[0:1], v[84:85]
	s_cbranch_execz .LBB6_14480
; %bb.14472:                            ;   in Loop: Header=BB6_14440 Depth=2
	s_mov_b32 s43, 0
	s_mov_b32 s72, 0
                                        ; implicit-def: $sgpr62
                                        ; implicit-def: $sgpr63
	s_branch .LBB6_14474
.LBB6_14473:                            ;   in Loop: Header=BB6_14474 Depth=3
	s_or_b32 exec_lo, exec_lo, s74
	s_delay_alu instid0(SALU_CYCLE_1) | instskip(NEXT) | instid1(SALU_CYCLE_1)
	s_and_b32 s73, exec_lo, s75
	s_or_b32 s43, s73, s43
	s_and_not1_b32 s62, s62, exec_lo
	s_and_b32 s73, s63, exec_lo
	s_delay_alu instid0(SALU_CYCLE_1)
	s_or_b32 s62, s62, s73
	s_and_not1_b32 exec_lo, exec_lo, s43
	s_cbranch_execz .LBB6_14478
.LBB6_14474:                            ;   Parent Loop BB6_47 Depth=1
                                        ;     Parent Loop BB6_14440 Depth=2
                                        ; =>    This Inner Loop Header: Depth=3
	s_add_co_i32 s72, s72, 1
	s_delay_alu instid0(SALU_CYCLE_1) | instskip(SKIP_1) | instid1(SALU_CYCLE_1)
	s_cmp_lg_u32 s72, 0x2710
	s_cselect_b32 s73, -1, 0
	s_and_b32 vcc_lo, exec_lo, s73
	s_cbranch_vccz .LBB6_14476
; %bb.14475:                            ;   in Loop: Header=BB6_14474 Depth=3
	s_mov_b32 s75, -1
	s_or_b32 s63, s63, exec_lo
	s_and_saveexec_b32 s74, s73
	s_cbranch_execz .LBB6_14473
	s_branch .LBB6_14477
.LBB6_14476:                            ;   in Loop: Header=BB6_14474 Depth=3
	s_trap 2
	ds_load_b64 v[0:1], v0
	s_and_not1_b32 s73, s73, exec_lo
	s_mov_b32 s72, 0
	s_wait_loadcnt_dscnt 0x0
	flat_load_b32 v0, v[0:1] scope:SCOPE_SYS
	s_wait_loadcnt_dscnt 0x0
	global_inv scope:SCOPE_SYS
	v_cmp_eq_u32_e32 vcc_lo, 0, v0
	s_and_b32 s74, vcc_lo, exec_lo
	s_delay_alu instid0(SALU_CYCLE_1)
	s_or_b32 s73, s73, s74
	s_mov_b32 s75, -1
	s_or_b32 s63, s63, exec_lo
	s_wait_xcnt 0x0
	s_and_saveexec_b32 s74, s73
	s_cbranch_execz .LBB6_14473
.LBB6_14477:                            ;   in Loop: Header=BB6_14474 Depth=3
	s_sleep 1
	s_trap 2
	ds_load_b64 v[0:1], v0
	s_wait_dscnt 0x0
	s_and_not1_b32 s63, s63, exec_lo
	v_cmp_ge_u64_e32 vcc_lo, v[0:1], v[84:85]
	s_or_not1_b32 s75, vcc_lo, exec_lo
	s_branch .LBB6_14473
.LBB6_14478:                            ;   in Loop: Header=BB6_14440 Depth=2
	s_or_b32 exec_lo, exec_lo, s43
	s_and_saveexec_b32 s43, s62
	s_delay_alu instid0(SALU_CYCLE_1)
	s_xor_b32 s43, exec_lo, s43
	s_cbranch_execz .LBB6_14480
; %bb.14479:                            ;   in Loop: Header=BB6_14440 Depth=2
	ds_store_b32 v0, v118
	s_trap 2
.LBB6_14480:                            ;   in Loop: Header=BB6_14440 Depth=2
	s_or_b32 exec_lo, exec_lo, s42
	;;#ASMSTART
	s_wakeup
	;;#ASMEND
.LBB6_14481:                            ;   in Loop: Header=BB6_14440 Depth=2
	s_or_b32 exec_lo, exec_lo, s29
.LBB6_14482:                            ;   in Loop: Header=BB6_14440 Depth=2
	s_and_not1_saveexec_b32 s18, s18
	s_cbranch_execz .LBB6_14484
; %bb.14483:                            ;   in Loop: Header=BB6_14440 Depth=2
	global_wb scope:SCOPE_DEV
	s_wait_storecnt 0x0
	s_wait_loadcnt_dscnt 0x0
	global_inv scope:SCOPE_DEV
	s_barrier_signal -1
	s_barrier_wait -1
.LBB6_14484:                            ;   in Loop: Header=BB6_14440 Depth=2
	s_or_b32 exec_lo, exec_lo, s18
.LBB6_14485:                            ;   in Loop: Header=BB6_14440 Depth=2
	s_delay_alu instid0(SALU_CYCLE_1) | instskip(SKIP_1) | instid1(SALU_CYCLE_1)
	s_or_b32 exec_lo, exec_lo, s13
                                        ; implicit-def: $vgpr0
	s_and_saveexec_b32 s13, s10
	s_xor_b32 s18, exec_lo, s13
	s_cbranch_execz .LBB6_14489
; %bb.14486:                            ;   in Loop: Header=BB6_14440 Depth=2
	s_trap 2
	ds_load_b32 v0, v0
	v_cmp_lt_i32_e32 vcc_lo, 0, v90
	s_wait_dscnt 0x0
	v_readfirstlane_b32 s13, v0
	v_and_b32_e32 v0, 16, v81
	s_cmp_eq_u32 s13, 0
	s_delay_alu instid0(VALU_DEP_1) | instskip(SKIP_3) | instid1(SALU_CYCLE_1)
	v_cmp_ne_u32_e64 s13, 0, v0
	s_cselect_b32 s29, -1, 0
	v_and_b32_e32 v0, 16, v81
	s_and_b32 s29, vcc_lo, s29
	s_and_b32 s29, s13, s29
	s_delay_alu instid0(SALU_CYCLE_1)
	s_and_saveexec_b32 s13, s29
	s_cbranch_execz .LBB6_14488
; %bb.14487:                            ;   in Loop: Header=BB6_14440 Depth=2
	v_mov_b32_e32 v0, 1
	global_wb scope:SCOPE_SYS
	s_wait_loadcnt 0x0
	s_wait_storecnt 0x0
	global_inv scope:SCOPE_SYS
.LBB6_14488:                            ;   in Loop: Header=BB6_14440 Depth=2
	s_or_b32 exec_lo, exec_lo, s13
	s_and_not1_saveexec_b32 s13, s18
	s_cbranch_execz .LBB6_14508
	s_branch .LBB6_14490
.LBB6_14489:                            ;   in Loop: Header=BB6_14440 Depth=2
	s_and_not1_saveexec_b32 s13, s18
	s_cbranch_execz .LBB6_14508
.LBB6_14490:                            ;   in Loop: Header=BB6_14440 Depth=2
	s_and_saveexec_b32 s18, s3
	s_delay_alu instid0(SALU_CYCLE_1)
	s_xor_b32 s18, exec_lo, s18
	s_cbranch_execz .LBB6_14505
; %bb.14491:                            ;   in Loop: Header=BB6_14440 Depth=2
	s_and_saveexec_b32 s29, s6
	s_cbranch_execz .LBB6_14504
; %bb.14492:                            ;   in Loop: Header=BB6_14440 Depth=2
	s_mov_b32 s43, exec_lo
	s_mov_b32 s42, exec_lo
	v_mbcnt_lo_u32_b32 v0, s43, 0
	;;#ASMSTART
	s_waitcnt lgkmcnt(0) vmcnt(0)
	;;#ASMEND
	s_delay_alu instid0(VALU_DEP_1)
	v_cmpx_eq_u32_e32 0, v0
	s_cbranch_execz .LBB6_14494
; %bb.14493:                            ;   in Loop: Header=BB6_14440 Depth=2
	s_bcnt1_i32_b32 s43, s43
	s_delay_alu instid0(SALU_CYCLE_1)
	v_dual_mov_b32 v1, v21 :: v_dual_mov_b32 v0, s43
	s_wait_storecnt 0x0
	s_wait_loadcnt_dscnt 0x0
	ds_add_u64 v0, v[0:1]
	s_trap 2
.LBB6_14494:                            ;   in Loop: Header=BB6_14440 Depth=2
	s_or_b32 exec_lo, exec_lo, s42
	s_trap 2
	ds_load_b64 v[0:1], v0
	s_wait_dscnt 0x0
	v_add_nc_u64_e32 v[84:85], v[84:85], v[26:27]
	s_mov_b32 s42, exec_lo
	s_delay_alu instid0(VALU_DEP_1)
	v_cmpx_lt_u64_e64 v[0:1], v[84:85]
	s_cbranch_execz .LBB6_14503
; %bb.14495:                            ;   in Loop: Header=BB6_14440 Depth=2
	s_mov_b32 s43, 0
	s_mov_b32 s72, 0
                                        ; implicit-def: $sgpr62
                                        ; implicit-def: $sgpr63
	s_branch .LBB6_14497
.LBB6_14496:                            ;   in Loop: Header=BB6_14497 Depth=3
	s_or_b32 exec_lo, exec_lo, s74
	s_delay_alu instid0(SALU_CYCLE_1) | instskip(NEXT) | instid1(SALU_CYCLE_1)
	s_and_b32 s73, exec_lo, s75
	s_or_b32 s43, s73, s43
	s_and_not1_b32 s62, s62, exec_lo
	s_and_b32 s73, s63, exec_lo
	s_delay_alu instid0(SALU_CYCLE_1)
	s_or_b32 s62, s62, s73
	s_and_not1_b32 exec_lo, exec_lo, s43
	s_cbranch_execz .LBB6_14501
.LBB6_14497:                            ;   Parent Loop BB6_47 Depth=1
                                        ;     Parent Loop BB6_14440 Depth=2
                                        ; =>    This Inner Loop Header: Depth=3
	s_add_co_i32 s72, s72, 1
	s_delay_alu instid0(SALU_CYCLE_1) | instskip(SKIP_1) | instid1(SALU_CYCLE_1)
	s_cmp_lg_u32 s72, 0x2710
	s_cselect_b32 s73, -1, 0
	s_and_b32 vcc_lo, exec_lo, s73
	s_cbranch_vccz .LBB6_14499
; %bb.14498:                            ;   in Loop: Header=BB6_14497 Depth=3
	s_mov_b32 s75, -1
	s_or_b32 s63, s63, exec_lo
	s_and_saveexec_b32 s74, s73
	s_cbranch_execz .LBB6_14496
	s_branch .LBB6_14500
.LBB6_14499:                            ;   in Loop: Header=BB6_14497 Depth=3
	s_trap 2
	ds_load_b64 v[0:1], v0
	s_and_not1_b32 s73, s73, exec_lo
	s_mov_b32 s72, 0
	s_wait_storecnt 0x0
	s_wait_loadcnt_dscnt 0x0
	flat_load_b32 v0, v[0:1] scope:SCOPE_SYS
	s_wait_loadcnt_dscnt 0x0
	global_inv scope:SCOPE_SYS
	v_cmp_eq_u32_e32 vcc_lo, 0, v0
	s_and_b32 s74, vcc_lo, exec_lo
	s_delay_alu instid0(SALU_CYCLE_1)
	s_or_b32 s73, s73, s74
	s_mov_b32 s75, -1
	s_or_b32 s63, s63, exec_lo
	s_wait_xcnt 0x0
	s_and_saveexec_b32 s74, s73
	s_cbranch_execz .LBB6_14496
.LBB6_14500:                            ;   in Loop: Header=BB6_14497 Depth=3
	s_sleep 1
	s_trap 2
	ds_load_b64 v[0:1], v0
	s_wait_dscnt 0x0
	s_and_not1_b32 s63, s63, exec_lo
	v_cmp_ge_u64_e32 vcc_lo, v[0:1], v[84:85]
	s_or_not1_b32 s75, vcc_lo, exec_lo
	s_branch .LBB6_14496
.LBB6_14501:                            ;   in Loop: Header=BB6_14440 Depth=2
	s_or_b32 exec_lo, exec_lo, s43
	s_and_saveexec_b32 s43, s62
	s_delay_alu instid0(SALU_CYCLE_1)
	s_xor_b32 s43, exec_lo, s43
	s_cbranch_execz .LBB6_14503
; %bb.14502:                            ;   in Loop: Header=BB6_14440 Depth=2
	ds_store_b32 v0, v118
	s_trap 2
.LBB6_14503:                            ;   in Loop: Header=BB6_14440 Depth=2
	s_or_b32 exec_lo, exec_lo, s42
	;;#ASMSTART
	s_wakeup
	;;#ASMEND
.LBB6_14504:                            ;   in Loop: Header=BB6_14440 Depth=2
	s_or_b32 exec_lo, exec_lo, s29
.LBB6_14505:                            ;   in Loop: Header=BB6_14440 Depth=2
	s_and_not1_saveexec_b32 s18, s18
	s_cbranch_execz .LBB6_14507
; %bb.14506:                            ;   in Loop: Header=BB6_14440 Depth=2
	;;#ASMSTART
	s_waitcnt lgkmcnt(0) vmcnt(0)
	;;#ASMEND
	s_barrier_signal -1
	s_barrier_wait -1
.LBB6_14507:                            ;   in Loop: Header=BB6_14440 Depth=2
	s_or_b32 exec_lo, exec_lo, s18
	v_and_b32_e32 v0, 16, v81
.LBB6_14508:                            ;   in Loop: Header=BB6_14440 Depth=2
	s_or_b32 exec_lo, exec_lo, s13
	s_delay_alu instid0(VALU_DEP_1) | instskip(SKIP_1) | instid1(SALU_CYCLE_1)
	v_cmp_ne_u32_e32 vcc_lo, 0, v0
	s_xor_b32 s13, s4, -1
	s_and_b32 s18, vcc_lo, s13
	s_delay_alu instid0(SALU_CYCLE_1)
	s_and_saveexec_b32 s13, s18
	s_cbranch_execz .LBB6_14510
; %bb.14509:                            ;   in Loop: Header=BB6_14440 Depth=2
	global_wb scope:SCOPE_SYS
	s_wait_storecnt 0x0
	s_wait_loadcnt_dscnt 0x0
	flat_store_b32 v[100:101], v118 scope:SCOPE_SYS
.LBB6_14510:                            ;   in Loop: Header=BB6_14440 Depth=2
	s_wait_xcnt 0x0
	s_or_b32 exec_lo, exec_lo, s13
	v_and_b32_e32 v0, 48, v81
	s_mov_b32 s13, exec_lo
	s_delay_alu instid0(VALU_DEP_1)
	v_cmpx_ne_u32_e32 0, v0
	s_cbranch_execz .LBB6_14439
; %bb.14511:                            ;   in Loop: Header=BB6_14440 Depth=2
	v_add_nc_u64_e32 v[94:95], 2, v[94:95]
	global_wb scope:SCOPE_SYS
	s_wait_storecnt 0x0
	s_wait_loadcnt_dscnt 0x0
	flat_store_b64 v[86:87], v[94:95] scope:SCOPE_SYS
	s_branch .LBB6_14439
.LBB6_14512:                            ;   in Loop: Header=BB6_47 Depth=1
	s_or_b32 exec_lo, exec_lo, s15
.LBB6_14513:                            ;   in Loop: Header=BB6_47 Depth=1
	s_delay_alu instid0(SALU_CYCLE_1) | instskip(NEXT) | instid1(SALU_CYCLE_1)
	s_or_b32 exec_lo, exec_lo, s14
	s_and_not1_b32 vcc_lo, exec_lo, s56
	s_cbranch_vccnz .LBB6_14774
; %bb.14514:                            ;   in Loop: Header=BB6_47 Depth=1
	s_mov_b32 s18, 1
.LBB6_14515:                            ;   Parent Loop BB6_47 Depth=1
                                        ; =>  This Loop Header: Depth=2
                                        ;       Child Loop BB6_14518 Depth 3
                                        ;         Child Loop BB6_14526 Depth 4
                                        ;         Child Loop BB6_14554 Depth 4
	;; [unrolled: 1-line block ×5, first 2 shown]
                                        ;           Child Loop BB6_14606 Depth 5
                                        ;         Child Loop BB6_14615 Depth 4
                                        ;         Child Loop BB6_14620 Depth 4
                                        ;           Child Loop BB6_14621 Depth 5
                                        ;         Child Loop BB6_14633 Depth 4
                                        ;         Child Loop BB6_14638 Depth 4
	;; [unrolled: 1-line block ×6, first 2 shown]
                                        ;       Child Loop BB6_14699 Depth 3
                                        ;         Child Loop BB6_14705 Depth 4
                                        ;         Child Loop BB6_14733 Depth 4
	;; [unrolled: 1-line block ×3, first 2 shown]
	s_clause 0x1
	scratch_load_b64 v[4:5], off, s33 offset:504
	scratch_load_b64 v[0:1], off, s33 offset:496
	s_sub_co_i32 s13, s46, s18
	s_mov_b32 s62, 0
	s_cmp_ge_i32 s13, s16
	s_cselect_b32 s14, s16, 0
	s_delay_alu instid0(SALU_CYCLE_1) | instskip(NEXT) | instid1(SALU_CYCLE_1)
	s_sub_co_i32 s14, s13, s14
	s_ashr_i32 s15, s14, 31
	s_wait_loadcnt 0x1
	v_mul_u64_e32 v[2:3], s[14:15], v[4:5]
	s_wait_loadcnt 0x0
	s_delay_alu instid0(VALU_DEP_1) | instskip(NEXT) | instid1(VALU_DEP_1)
	v_sub_nc_u64_e32 v[0:1], v[0:1], v[2:3]
	v_min_i64 v[0:1], v[4:5], v[0:1]
	s_delay_alu instid0(VALU_DEP_1) | instskip(SKIP_1) | instid1(VALU_DEP_2)
	v_max_i32_e32 v20, 0, v0
	v_cmp_lt_i32_e32 vcc_lo, 0, v0
	v_add_nc_u32_e32 v1, 31, v20
	s_and_b32 s13, s59, vcc_lo
	s_delay_alu instid0(VALU_DEP_1) | instskip(NEXT) | instid1(VALU_DEP_1)
	v_lshrrev_b32_e32 v1, 1, v1
	v_and_b32_e32 v4, 0x3ffffff0, v1
	s_delay_alu instid0(VALU_DEP_1)
	v_dual_mov_b32 v1, 0 :: v_dual_max_i32 v0, s47, v4
	v_mov_b32_e32 v4, 0
	s_wait_xcnt 0x0
	s_and_saveexec_b32 s29, s13
	s_cbranch_execz .LBB6_14696
; %bb.14516:                            ;   in Loop: Header=BB6_14515 Depth=2
	v_add_nc_u64_e32 v[6:7], v[2:3], v[104:105]
	v_mov_b32_e32 v4, 0
	s_mov_b32 s72, 1
	s_mov_b32 s63, -1
	s_branch .LBB6_14518
.LBB6_14517:                            ;   in Loop: Header=BB6_14518 Depth=3
	s_wait_xcnt 0x0
	s_or_b32 exec_lo, exec_lo, s13
	v_dual_mov_b32 v1, s72 :: v_dual_add_nc_u32 v4, v0, v4
	s_xor_b32 s13, s63, -1
	s_mov_b32 s63, 0
	s_mov_b32 s72, 2
	s_delay_alu instid0(VALU_DEP_1) | instskip(SKIP_1) | instid1(SALU_CYCLE_1)
	v_cmp_ge_i32_e32 vcc_lo, v4, v20
	s_or_b32 s13, s13, vcc_lo
	s_and_b32 s13, exec_lo, s13
	s_delay_alu instid0(SALU_CYCLE_1) | instskip(NEXT) | instid1(SALU_CYCLE_1)
	s_or_b32 s62, s13, s62
	s_and_not1_b32 exec_lo, exec_lo, s62
	s_cbranch_execz .LBB6_14695
.LBB6_14518:                            ;   Parent Loop BB6_47 Depth=1
                                        ;     Parent Loop BB6_14515 Depth=2
                                        ; =>    This Loop Header: Depth=3
                                        ;         Child Loop BB6_14526 Depth 4
                                        ;         Child Loop BB6_14554 Depth 4
                                        ;         Child Loop BB6_14573 Depth 4
                                        ;         Child Loop BB6_14600 Depth 4
                                        ;         Child Loop BB6_14605 Depth 4
                                        ;           Child Loop BB6_14606 Depth 5
                                        ;         Child Loop BB6_14615 Depth 4
                                        ;         Child Loop BB6_14620 Depth 4
                                        ;           Child Loop BB6_14621 Depth 5
                                        ;         Child Loop BB6_14633 Depth 4
                                        ;         Child Loop BB6_14638 Depth 4
	;; [unrolled: 1-line block ×6, first 2 shown]
	s_and_saveexec_b32 s13, s0
	s_cbranch_execz .LBB6_14520
; %bb.14519:                            ;   in Loop: Header=BB6_14518 Depth=3
	s_trap 2
	ds_load_b128 v[8:11], v0
	s_wait_dscnt 0x0
	v_add_nc_u64_e32 v[2:3], v[10:11], v[6:7]
	v_cmp_ne_u64_e32 vcc_lo, 0, v[10:11]
	v_ashrrev_i32_e32 v5, 31, v4
	v_add_nc_u64_e32 v[8:9], v[8:9], v[6:7]
	s_delay_alu instid0(VALU_DEP_2) | instskip(NEXT) | instid1(VALU_DEP_1)
	v_add_nc_u64_e32 v[2:3], v[2:3], v[4:5]
	v_cndmask_b32_e32 v3, 0, v3, vcc_lo
	s_delay_alu instid0(VALU_DEP_3) | instskip(NEXT) | instid1(VALU_DEP_3)
	v_add_nc_u64_e32 v[8:9], v[8:9], v[4:5]
	v_cndmask_b32_e32 v2, 0, v2, vcc_lo
	ds_store_b64 v0, v[8:9]
	ds_store_b64 v0, v[2:3]
.LBB6_14520:                            ;   in Loop: Header=BB6_14518 Depth=3
	s_or_b32 exec_lo, exec_lo, s13
	v_dual_sub_nc_u32 v1, v20, v4 :: v_dual_bitop2_b32 v2, 12, v81 bitop3:0x40
	s_mov_b32 s14, exec_lo
	s_delay_alu instid0(VALU_DEP_1) | instskip(NEXT) | instid1(VALU_DEP_2)
	v_min_i32_e32 v0, v0, v1
	v_cmpx_ne_u32_e32 0, v2
	s_cbranch_execz .LBB6_14546
; %bb.14521:                            ;   in Loop: Header=BB6_14518 Depth=3
	v_dual_mov_b32 v9, v21 :: v_dual_bitop2_b32 v8, 8, v81 bitop3:0x40
	v_add_nc_u64_e32 v[2:3], 2, v[94:95]
	s_mov_b32 s15, exec_lo
	s_wait_loadcnt_dscnt 0x1
	s_delay_alu instid0(VALU_DEP_2) | instskip(NEXT) | instid1(VALU_DEP_1)
	v_add_nc_u64_e32 v[10:11], v[102:103], v[8:9]
	v_cmpx_lt_u64_e64 v[10:11], v[2:3]
	s_cbranch_execz .LBB6_14533
; %bb.14522:                            ;   in Loop: Header=BB6_14518 Depth=3
	v_and_b32_e32 v1, 64, v81
	s_mov_b32 s42, 0
	s_mov_b32 s75, 0
                                        ; implicit-def: $sgpr43
                                        ; implicit-def: $sgpr73
                                        ; implicit-def: $sgpr74
	s_delay_alu instid0(VALU_DEP_1)
	v_cmp_eq_u32_e32 vcc_lo, 0, v1
	s_branch .LBB6_14526
.LBB6_14523:                            ;   in Loop: Header=BB6_14526 Depth=4
	s_wait_loadcnt_dscnt 0x0
	v_add_nc_u64_e32 v[10:11], v[102:103], v[8:9]
	s_or_b32 s78, s78, exec_lo
	s_delay_alu instid0(VALU_DEP_1)
	v_cmp_ge_u64_e64 s13, v[10:11], v[2:3]
	s_or_not1_b32 s77, s13, exec_lo
.LBB6_14524:                            ;   in Loop: Header=BB6_14526 Depth=4
	s_or_b32 exec_lo, exec_lo, s88
	s_delay_alu instid0(SALU_CYCLE_1)
	s_and_not1_b32 s13, s74, exec_lo
	s_and_b32 s74, s78, exec_lo
	s_and_not1_b32 s73, s73, exec_lo
	s_and_b32 s77, s77, exec_lo
	s_or_b32 s74, s13, s74
	s_or_b32 s73, s73, s77
.LBB6_14525:                            ;   in Loop: Header=BB6_14526 Depth=4
	s_or_b32 exec_lo, exec_lo, s76
	s_delay_alu instid0(SALU_CYCLE_1) | instskip(NEXT) | instid1(SALU_CYCLE_1)
	s_and_b32 s13, exec_lo, s73
	s_or_b32 s42, s13, s42
	s_and_not1_b32 s13, s43, exec_lo
	s_and_b32 s43, s74, exec_lo
	s_delay_alu instid0(SALU_CYCLE_1)
	s_or_b32 s43, s13, s43
	s_and_not1_b32 exec_lo, exec_lo, s42
	s_cbranch_execz .LBB6_14530
.LBB6_14526:                            ;   Parent Loop BB6_47 Depth=1
                                        ;     Parent Loop BB6_14515 Depth=2
                                        ;       Parent Loop BB6_14518 Depth=3
                                        ; =>      This Inner Loop Header: Depth=4
	s_sleep 1
	s_wait_loadcnt_dscnt 0x0
	flat_load_b64 v[102:103], v[86:87] scope:SCOPE_SYS
	s_or_b32 s74, s74, exec_lo
	s_or_b32 s73, s73, exec_lo
                                        ; implicit-def: $vgpr1
	s_wait_xcnt 0x0
	s_and_saveexec_b32 s76, vcc_lo
	s_cbranch_execz .LBB6_14525
; %bb.14527:                            ;   in Loop: Header=BB6_14526 Depth=4
	s_cmp_lt_i32 s75, 0x270f
	s_mov_b32 s77, -1
	s_cselect_b32 s79, -1, 0
	s_cmp_gt_i32 s75, 0x270e
	s_cbranch_scc0 .LBB6_14529
; %bb.14528:                            ;   in Loop: Header=BB6_14526 Depth=4
	s_trap 2
	ds_load_b64 v[10:11], v0
	s_and_not1_b32 s75, s79, exec_lo
	s_mov_b32 s78, 0
	s_wait_storecnt 0x0
	s_wait_loadcnt_dscnt 0x0
	flat_load_b32 v1, v[10:11] scope:SCOPE_SYS
	s_wait_loadcnt_dscnt 0x0
	global_inv scope:SCOPE_SYS
	v_cmp_eq_u32_e64 s13, 0, v1
	s_and_b32 s13, s13, exec_lo
	s_delay_alu instid0(SALU_CYCLE_1)
	s_or_b32 s79, s75, s13
	s_mov_b32 s75, 0
	s_wait_xcnt 0x0
	s_and_saveexec_b32 s88, s79
	s_cbranch_execz .LBB6_14524
	s_branch .LBB6_14523
.LBB6_14529:                            ;   in Loop: Header=BB6_14526 Depth=4
	s_add_co_i32 s75, s75, 1
	s_mov_b32 s78, -1
                                        ; implicit-def: $vgpr1
	s_and_saveexec_b32 s88, s79
	s_cbranch_execz .LBB6_14524
	s_branch .LBB6_14523
.LBB6_14530:                            ;   in Loop: Header=BB6_14518 Depth=3
	s_or_b32 exec_lo, exec_lo, s42
	s_xor_b32 s13, s43, -1
	s_delay_alu instid0(SALU_CYCLE_1) | instskip(NEXT) | instid1(SALU_CYCLE_1)
	s_and_saveexec_b32 s42, s13
	s_xor_b32 s13, exec_lo, s42
	s_cbranch_execz .LBB6_14532
; %bb.14531:                            ;   in Loop: Header=BB6_14518 Depth=3
	v_or_b32_e32 v81, 64, v81
	s_wait_storecnt 0x0
	s_wait_loadcnt_dscnt 0x0
	ds_store_b32 v0, v1
	s_trap 2
.LBB6_14532:                            ;   in Loop: Header=BB6_14518 Depth=3
	s_or_b32 exec_lo, exec_lo, s13
.LBB6_14533:                            ;   in Loop: Header=BB6_14518 Depth=3
	s_delay_alu instid0(SALU_CYCLE_1) | instskip(SKIP_3) | instid1(VALU_DEP_1)
	s_or_b32 exec_lo, exec_lo, s15
	v_and_b32_e32 v1, 0x108, v81
	s_mov_b32 s13, exec_lo
	;;#ASMSTART
	s_wakeup
	;;#ASMEND
                                        ; implicit-def: $vgpr10_vgpr11
	v_cmpx_ne_u32_e32 0x108, v1
	s_xor_b32 s13, exec_lo, s13
; %bb.14534:                            ;   in Loop: Header=BB6_14518 Depth=3
	v_dual_mov_b32 v11, v21 :: v_dual_bitop2_b32 v10, 7, v94 bitop3:0x40
                                        ; implicit-def: $vgpr94_vgpr95
; %bb.14535:                            ;   in Loop: Header=BB6_14518 Depth=3
	s_and_not1_saveexec_b32 s13, s13
	s_cbranch_execz .LBB6_14537
; %bb.14536:                            ;   in Loop: Header=BB6_14518 Depth=3
	v_dual_ashrrev_i32 v1, 31, v0 :: v_dual_bitop2_b32 v10, 7, v94 bitop3:0x40
	v_mov_b32_e32 v11, v21
	s_delay_alu instid0(VALU_DEP_2)
	v_mad_nc_u64_u32 v[12:13], v10, 24, v[82:83]
	flat_store_b64 v[12:13], v[0:1] offset:8
.LBB6_14537:                            ;   in Loop: Header=BB6_14518 Depth=3
	s_wait_xcnt 0x0
	s_or_b32 exec_lo, exec_lo, s13
	v_and_b32_e32 v1, 0x100, v81
	s_mov_b32 s13, -1
	s_mov_b32 s15, exec_lo
                                        ; implicit-def: $vgpr12_vgpr13
	s_delay_alu instid0(VALU_DEP_1)
	v_cmpx_ne_u32_e32 0, v1
	s_cbranch_execz .LBB6_14541
; %bb.14538:                            ;   in Loop: Header=BB6_14518 Depth=3
	v_mad_nc_u64_u32 v[14:15], v10, 24, v[82:83]
	s_mov_b32 s42, exec_lo
                                        ; implicit-def: $vgpr12_vgpr13
	s_delay_alu instid0(VALU_DEP_1)
	v_mad_u32 v15, v11, 24, v15
	flat_load_b32 v1, v[14:15]
	s_wait_loadcnt_dscnt 0x0
	v_cmp_ne_u32_e32 vcc_lo, 1, v1
	s_wait_xcnt 0x0
	v_cmpx_eq_u32_e32 1, v1
	s_cbranch_execz .LBB6_14540
; %bb.14539:                            ;   in Loop: Header=BB6_14518 Depth=3
	flat_load_b32 v12, v[14:15] offset:4 scope:SCOPE_SYS
	s_wait_loadcnt_dscnt 0x0
	v_ashrrev_i32_e32 v13, 31, v12
.LBB6_14540:                            ;   in Loop: Header=BB6_14518 Depth=3
	s_wait_xcnt 0x0
	s_or_b32 exec_lo, exec_lo, s42
	s_delay_alu instid0(SALU_CYCLE_1)
	s_or_not1_b32 s13, vcc_lo, exec_lo
.LBB6_14541:                            ;   in Loop: Header=BB6_14518 Depth=3
	s_or_b32 exec_lo, exec_lo, s15
	s_and_saveexec_b32 s15, s13
; %bb.14542:                            ;   in Loop: Header=BB6_14518 Depth=3
	v_mul_u64_e32 v[12:13], v[10:11], v[96:97]
; %bb.14543:                            ;   in Loop: Header=BB6_14518 Depth=3
	s_or_b32 exec_lo, exec_lo, s15
	v_cmp_eq_u32_e32 vcc_lo, 0, v8
	s_delay_alu instid0(VALU_DEP_2) | instskip(SKIP_3) | instid1(VALU_DEP_1)
	v_add_nc_u64_e32 v[8:9], v[98:99], v[12:13]
	v_and_b32_e32 v5, 0x2000, v81
	s_mov_b32 s13, exec_lo
	v_cndmask_b32_e32 v1, 0xd0, v40, vcc_lo
	v_add_nc_u32_e32 v1, v0, v1
	ds_store_b64 v1, v[8:9] offset:584
	v_cmpx_ne_u32_e32 0, v5
	s_cbranch_execz .LBB6_14545
; %bb.14544:                            ;   in Loop: Header=BB6_14518 Depth=3
	ds_load_b64 v[8:9], v0 offset:872
	s_wait_dscnt 0x0
	v_add_nc_u64_e32 v[8:9], 1, v[8:9]
	ds_store_b64 v0, v[8:9] offset:872
.LBB6_14545:                            ;   in Loop: Header=BB6_14518 Depth=3
	s_or_b32 exec_lo, exec_lo, s13
	v_mov_b64_e32 v[94:95], v[2:3]
.LBB6_14546:                            ;   in Loop: Header=BB6_14518 Depth=3
	s_or_b32 exec_lo, exec_lo, s14
	s_and_saveexec_b32 s13, s2
	s_cbranch_execz .LBB6_14565
; %bb.14547:                            ;   in Loop: Header=BB6_14518 Depth=3
	s_and_saveexec_b32 s14, s3
	s_delay_alu instid0(SALU_CYCLE_1)
	s_xor_b32 s14, exec_lo, s14
	s_cbranch_execz .LBB6_14562
; %bb.14548:                            ;   in Loop: Header=BB6_14518 Depth=3
	s_and_saveexec_b32 s15, s6
	s_cbranch_execz .LBB6_14561
; %bb.14549:                            ;   in Loop: Header=BB6_14518 Depth=3
	s_mov_b32 s43, exec_lo
	s_mov_b32 s42, exec_lo
	v_mbcnt_lo_u32_b32 v1, s43, 0
	global_wb scope:SCOPE_DEV
	s_wait_storecnt 0x0
	s_wait_loadcnt_dscnt 0x0
	global_inv scope:SCOPE_DEV
	v_cmpx_eq_u32_e32 0, v1
	s_cbranch_execz .LBB6_14551
; %bb.14550:                            ;   in Loop: Header=BB6_14518 Depth=3
	s_bcnt1_i32_b32 s43, s43
	s_delay_alu instid0(SALU_CYCLE_1)
	v_dual_mov_b32 v3, v21 :: v_dual_mov_b32 v2, s43
	s_wait_loadcnt 0x0
	ds_add_u64 v0, v[2:3]
	s_trap 2
.LBB6_14551:                            ;   in Loop: Header=BB6_14518 Depth=3
	s_or_b32 exec_lo, exec_lo, s42
	s_trap 2
	ds_load_b64 v[2:3], v0
	s_wait_dscnt 0x0
	v_add_nc_u64_e32 v[84:85], v[84:85], v[26:27]
	s_mov_b32 s42, exec_lo
	s_delay_alu instid0(VALU_DEP_1)
	v_cmpx_lt_u64_e64 v[2:3], v[84:85]
	s_cbranch_execz .LBB6_14560
; %bb.14552:                            ;   in Loop: Header=BB6_14518 Depth=3
	s_mov_b32 s43, 0
	s_mov_b32 s75, 0
                                        ; implicit-def: $sgpr73
                                        ; implicit-def: $sgpr74
	s_branch .LBB6_14554
.LBB6_14553:                            ;   in Loop: Header=BB6_14554 Depth=4
	s_or_b32 exec_lo, exec_lo, s77
	s_delay_alu instid0(SALU_CYCLE_1) | instskip(NEXT) | instid1(SALU_CYCLE_1)
	s_and_b32 s76, exec_lo, s78
	s_or_b32 s43, s76, s43
	s_and_not1_b32 s73, s73, exec_lo
	s_and_b32 s76, s74, exec_lo
	s_delay_alu instid0(SALU_CYCLE_1)
	s_or_b32 s73, s73, s76
	s_and_not1_b32 exec_lo, exec_lo, s43
	s_cbranch_execz .LBB6_14558
.LBB6_14554:                            ;   Parent Loop BB6_47 Depth=1
                                        ;     Parent Loop BB6_14515 Depth=2
                                        ;       Parent Loop BB6_14518 Depth=3
                                        ; =>      This Inner Loop Header: Depth=4
	s_add_co_i32 s75, s75, 1
	s_delay_alu instid0(SALU_CYCLE_1) | instskip(SKIP_1) | instid1(SALU_CYCLE_1)
	s_cmp_lg_u32 s75, 0x2710
	s_cselect_b32 s76, -1, 0
	s_and_b32 vcc_lo, exec_lo, s76
	s_cbranch_vccz .LBB6_14556
; %bb.14555:                            ;   in Loop: Header=BB6_14554 Depth=4
	s_mov_b32 s78, -1
	s_or_b32 s74, s74, exec_lo
	s_and_saveexec_b32 s77, s76
	s_cbranch_execz .LBB6_14553
	s_branch .LBB6_14557
.LBB6_14556:                            ;   in Loop: Header=BB6_14554 Depth=4
	s_trap 2
	ds_load_b64 v[2:3], v0
	s_and_not1_b32 s76, s76, exec_lo
	s_mov_b32 s75, 0
	s_wait_loadcnt_dscnt 0x0
	flat_load_b32 v1, v[2:3] scope:SCOPE_SYS
	s_wait_loadcnt_dscnt 0x0
	global_inv scope:SCOPE_SYS
	v_cmp_eq_u32_e32 vcc_lo, 0, v1
	s_and_b32 s77, vcc_lo, exec_lo
	s_delay_alu instid0(SALU_CYCLE_1)
	s_or_b32 s76, s76, s77
	s_mov_b32 s78, -1
	s_or_b32 s74, s74, exec_lo
	s_wait_xcnt 0x0
	s_and_saveexec_b32 s77, s76
	s_cbranch_execz .LBB6_14553
.LBB6_14557:                            ;   in Loop: Header=BB6_14554 Depth=4
	s_sleep 1
	s_trap 2
	ds_load_b64 v[2:3], v0
	s_wait_dscnt 0x0
	s_and_not1_b32 s74, s74, exec_lo
	v_cmp_ge_u64_e32 vcc_lo, v[2:3], v[84:85]
	s_or_not1_b32 s78, vcc_lo, exec_lo
	s_branch .LBB6_14553
.LBB6_14558:                            ;   in Loop: Header=BB6_14518 Depth=3
	s_or_b32 exec_lo, exec_lo, s43
	s_and_saveexec_b32 s43, s73
	s_delay_alu instid0(SALU_CYCLE_1)
	s_xor_b32 s43, exec_lo, s43
	s_cbranch_execz .LBB6_14560
; %bb.14559:                            ;   in Loop: Header=BB6_14518 Depth=3
	ds_store_b32 v0, v118
	s_trap 2
.LBB6_14560:                            ;   in Loop: Header=BB6_14518 Depth=3
	s_or_b32 exec_lo, exec_lo, s42
	;;#ASMSTART
	s_wakeup
	;;#ASMEND
.LBB6_14561:                            ;   in Loop: Header=BB6_14518 Depth=3
	s_or_b32 exec_lo, exec_lo, s15
.LBB6_14562:                            ;   in Loop: Header=BB6_14518 Depth=3
	s_and_not1_saveexec_b32 s14, s14
	s_cbranch_execz .LBB6_14564
; %bb.14563:                            ;   in Loop: Header=BB6_14518 Depth=3
	global_wb scope:SCOPE_DEV
	s_wait_storecnt 0x0
	s_wait_loadcnt_dscnt 0x0
	global_inv scope:SCOPE_DEV
	s_barrier_signal -1
	s_barrier_wait -1
.LBB6_14564:                            ;   in Loop: Header=BB6_14518 Depth=3
	s_or_b32 exec_lo, exec_lo, s14
.LBB6_14565:                            ;   in Loop: Header=BB6_14518 Depth=3
	s_delay_alu instid0(SALU_CYCLE_1) | instskip(SKIP_4) | instid1(VALU_DEP_1)
	s_or_b32 exec_lo, exec_lo, s13
	s_trap 2
	ds_load_b32 v1, v0
	v_and_b32_e32 v2, 0x4000, v81
	s_xor_b32 s13, s1, -1
	v_cmp_ne_u32_e32 vcc_lo, 0, v2
	s_and_b32 s14, s13, vcc_lo
	s_delay_alu instid0(SALU_CYCLE_1)
	s_and_saveexec_b32 s13, s14
	s_cbranch_execz .LBB6_14584
; %bb.14566:                            ;   in Loop: Header=BB6_14518 Depth=3
	s_and_saveexec_b32 s14, s3
	s_delay_alu instid0(SALU_CYCLE_1)
	s_xor_b32 s14, exec_lo, s14
	s_cbranch_execz .LBB6_14581
; %bb.14567:                            ;   in Loop: Header=BB6_14518 Depth=3
	s_and_saveexec_b32 s15, s6
	s_cbranch_execz .LBB6_14580
; %bb.14568:                            ;   in Loop: Header=BB6_14518 Depth=3
	s_mov_b32 s43, exec_lo
	s_mov_b32 s42, exec_lo
	v_mbcnt_lo_u32_b32 v2, s43, 0
	global_wb scope:SCOPE_DEV
	s_wait_storecnt 0x0
	s_wait_loadcnt_dscnt 0x0
	global_inv scope:SCOPE_DEV
	v_cmpx_eq_u32_e32 0, v2
	s_cbranch_execz .LBB6_14570
; %bb.14569:                            ;   in Loop: Header=BB6_14518 Depth=3
	s_bcnt1_i32_b32 s43, s43
	s_delay_alu instid0(SALU_CYCLE_1)
	v_dual_mov_b32 v3, v21 :: v_dual_mov_b32 v2, s43
	s_wait_loadcnt 0x0
	ds_add_u64 v0, v[2:3]
	s_trap 2
.LBB6_14570:                            ;   in Loop: Header=BB6_14518 Depth=3
	s_or_b32 exec_lo, exec_lo, s42
	s_trap 2
	ds_load_b64 v[2:3], v0
	s_wait_dscnt 0x0
	v_add_nc_u64_e32 v[84:85], v[84:85], v[26:27]
	s_mov_b32 s42, exec_lo
	s_delay_alu instid0(VALU_DEP_1)
	v_cmpx_lt_u64_e64 v[2:3], v[84:85]
	s_cbranch_execz .LBB6_14579
; %bb.14571:                            ;   in Loop: Header=BB6_14518 Depth=3
	s_mov_b32 s43, 0
	s_mov_b32 s75, 0
                                        ; implicit-def: $sgpr73
                                        ; implicit-def: $sgpr74
	s_branch .LBB6_14573
.LBB6_14572:                            ;   in Loop: Header=BB6_14573 Depth=4
	s_or_b32 exec_lo, exec_lo, s77
	s_delay_alu instid0(SALU_CYCLE_1) | instskip(NEXT) | instid1(SALU_CYCLE_1)
	s_and_b32 s76, exec_lo, s78
	s_or_b32 s43, s76, s43
	s_and_not1_b32 s73, s73, exec_lo
	s_and_b32 s76, s74, exec_lo
	s_delay_alu instid0(SALU_CYCLE_1)
	s_or_b32 s73, s73, s76
	s_and_not1_b32 exec_lo, exec_lo, s43
	s_cbranch_execz .LBB6_14577
.LBB6_14573:                            ;   Parent Loop BB6_47 Depth=1
                                        ;     Parent Loop BB6_14515 Depth=2
                                        ;       Parent Loop BB6_14518 Depth=3
                                        ; =>      This Inner Loop Header: Depth=4
	s_add_co_i32 s75, s75, 1
	s_delay_alu instid0(SALU_CYCLE_1) | instskip(SKIP_1) | instid1(SALU_CYCLE_1)
	s_cmp_lg_u32 s75, 0x2710
	s_cselect_b32 s76, -1, 0
	s_and_b32 vcc_lo, exec_lo, s76
	s_cbranch_vccz .LBB6_14575
; %bb.14574:                            ;   in Loop: Header=BB6_14573 Depth=4
	s_mov_b32 s78, -1
	s_or_b32 s74, s74, exec_lo
	s_and_saveexec_b32 s77, s76
	s_cbranch_execz .LBB6_14572
	s_branch .LBB6_14576
.LBB6_14575:                            ;   in Loop: Header=BB6_14573 Depth=4
	s_trap 2
	ds_load_b64 v[2:3], v0
	s_and_not1_b32 s76, s76, exec_lo
	s_mov_b32 s75, 0
	s_wait_loadcnt_dscnt 0x0
	flat_load_b32 v2, v[2:3] scope:SCOPE_SYS
	s_wait_loadcnt_dscnt 0x0
	global_inv scope:SCOPE_SYS
	v_cmp_eq_u32_e32 vcc_lo, 0, v2
	s_and_b32 s77, vcc_lo, exec_lo
	s_delay_alu instid0(SALU_CYCLE_1)
	s_or_b32 s76, s76, s77
	s_mov_b32 s78, -1
	s_or_b32 s74, s74, exec_lo
	s_wait_xcnt 0x0
	s_and_saveexec_b32 s77, s76
	s_cbranch_execz .LBB6_14572
.LBB6_14576:                            ;   in Loop: Header=BB6_14573 Depth=4
	s_sleep 1
	s_trap 2
	ds_load_b64 v[2:3], v0
	s_wait_dscnt 0x0
	s_and_not1_b32 s74, s74, exec_lo
	v_cmp_ge_u64_e32 vcc_lo, v[2:3], v[84:85]
	s_or_not1_b32 s78, vcc_lo, exec_lo
	s_branch .LBB6_14572
.LBB6_14577:                            ;   in Loop: Header=BB6_14518 Depth=3
	s_or_b32 exec_lo, exec_lo, s43
	s_and_saveexec_b32 s43, s73
	s_delay_alu instid0(SALU_CYCLE_1)
	s_xor_b32 s43, exec_lo, s43
	s_cbranch_execz .LBB6_14579
; %bb.14578:                            ;   in Loop: Header=BB6_14518 Depth=3
	ds_store_b32 v0, v118
	s_trap 2
.LBB6_14579:                            ;   in Loop: Header=BB6_14518 Depth=3
	s_or_b32 exec_lo, exec_lo, s42
	;;#ASMSTART
	s_wakeup
	;;#ASMEND
.LBB6_14580:                            ;   in Loop: Header=BB6_14518 Depth=3
	s_or_b32 exec_lo, exec_lo, s15
.LBB6_14581:                            ;   in Loop: Header=BB6_14518 Depth=3
	s_and_not1_saveexec_b32 s14, s14
	s_cbranch_execz .LBB6_14583
; %bb.14582:                            ;   in Loop: Header=BB6_14518 Depth=3
	global_wb scope:SCOPE_DEV
	s_wait_storecnt 0x0
	s_wait_loadcnt_dscnt 0x0
	global_inv scope:SCOPE_DEV
	s_barrier_signal -1
	s_barrier_wait -1
.LBB6_14583:                            ;   in Loop: Header=BB6_14518 Depth=3
	s_or_b32 exec_lo, exec_lo, s14
.LBB6_14584:                            ;   in Loop: Header=BB6_14518 Depth=3
	s_delay_alu instid0(SALU_CYCLE_1)
	s_or_b32 exec_lo, exec_lo, s13
	s_trap 2
	ds_load_b64 v[2:3], v0
	s_wait_dscnt 0x0
	v_cmp_eq_u64_e32 vcc_lo, 0, v[2:3]
	s_cbranch_vccnz .LBB6_14593
; %bb.14585:                            ;   in Loop: Header=BB6_14518 Depth=3
	s_trap 2
	ds_load_b64 v[12:13], v0
	s_wait_dscnt 0x0
	v_cmp_eq_u64_e32 vcc_lo, 0, v[12:13]
	s_cbranch_vccnz .LBB6_14593
; %bb.14586:                            ;   in Loop: Header=BB6_14518 Depth=3
	s_trap 2
	ds_load_b64 v[14:15], v0
	v_cmp_eq_u32_e64 s13, 0, v1
	s_delay_alu instid0(VALU_DEP_1)
	v_cndmask_b32_e64 v1, 0, v0, s13
	s_mov_b32 s13, -1
	s_wait_dscnt 0x0
	v_cmp_ne_u64_e32 vcc_lo, 0, v[14:15]
	s_cbranch_vccz .LBB6_14624
; %bb.14587:                            ;   in Loop: Header=BB6_14518 Depth=3
	s_and_saveexec_b32 s14, s11
	s_cbranch_execz .LBB6_14589
; %bb.14588:                            ;   in Loop: Header=BB6_14518 Depth=3
	ds_load_b32 v5, v0 offset:720
	s_wait_dscnt 0x0
	v_and_b32_e32 v5, 15, v5
	s_delay_alu instid0(VALU_DEP_1)
	v_cmp_eq_u32_e32 vcc_lo, 0, v5
	s_or_not1_b32 s13, vcc_lo, exec_lo
.LBB6_14589:                            ;   in Loop: Header=BB6_14518 Depth=3
	s_or_b32 exec_lo, exec_lo, s14
	s_and_saveexec_b32 s14, s12
	s_cbranch_execz .LBB6_14591
; %bb.14590:                            ;   in Loop: Header=BB6_14518 Depth=3
	ds_load_b32 v5, v0 offset:784
	s_wait_dscnt 0x0
	v_and_b32_e32 v5, 15, v5
	s_delay_alu instid0(VALU_DEP_1) | instskip(SKIP_3) | instid1(SALU_CYCLE_1)
	v_cmp_eq_u32_e32 vcc_lo, 0, v5
	s_and_b32 s15, s13, vcc_lo
	s_and_not1_b32 s13, s13, exec_lo
	s_and_b32 s15, s15, exec_lo
	s_or_b32 s13, s13, s15
.LBB6_14591:                            ;   in Loop: Header=BB6_14518 Depth=3
	s_or_b32 exec_lo, exec_lo, s14
	s_xor_b32 s13, s13, -1
	v_dual_mov_b32 v5, 0 :: v_dual_mov_b32 v16, v1
	v_cndmask_b32_e64 v8, 0, 1, s13
	v_mov_b32_e32 v17, v80
	s_mov_b32 s13, -1
	s_delay_alu instid0(VALU_DEP_2)
	v_cmp_ne_u32_e32 vcc_lo, 0, v8
	v_mov_b32_e32 v8, v41
	s_cbranch_vccz .LBB6_14598
; %bb.14592:                            ;   in Loop: Header=BB6_14518 Depth=3
	s_and_saveexec_b32 s15, s13
	s_cbranch_execnz .LBB6_14613
	s_branch .LBB6_14623
.LBB6_14593:                            ;   in Loop: Header=BB6_14518 Depth=3
	s_mov_b32 s13, 0
	s_and_saveexec_b32 s14, s2
	s_cbranch_execnz .LBB6_14654
.LBB6_14594:                            ;   in Loop: Header=BB6_14518 Depth=3
	s_or_b32 exec_lo, exec_lo, s14
                                        ; implicit-def: $vgpr1
	s_and_saveexec_b32 s14, s10
	s_delay_alu instid0(SALU_CYCLE_1)
	s_xor_b32 s14, exec_lo, s14
	s_cbranch_execz .LBB6_14672
.LBB6_14595:                            ;   in Loop: Header=BB6_14518 Depth=3
	v_and_b32_e32 v1, 16, v81
	s_delay_alu instid0(VALU_DEP_1) | instskip(SKIP_2) | instid1(SALU_CYCLE_1)
	v_cmp_ne_u32_e32 vcc_lo, 0, v1
	v_and_b32_e32 v1, 16, v81
	s_and_b32 s15, vcc_lo, s13
	s_and_saveexec_b32 s13, s15
	s_cbranch_execz .LBB6_14597
; %bb.14596:                            ;   in Loop: Header=BB6_14518 Depth=3
	v_mov_b32_e32 v1, 1
	global_wb scope:SCOPE_SYS
	s_wait_storecnt 0x0
	s_wait_loadcnt_dscnt 0x0
	global_inv scope:SCOPE_SYS
.LBB6_14597:                            ;   in Loop: Header=BB6_14518 Depth=3
	s_or_b32 exec_lo, exec_lo, s13
	s_and_not1_saveexec_b32 s13, s14
	s_cbranch_execz .LBB6_14691
	s_branch .LBB6_14673
.LBB6_14598:                            ;   in Loop: Header=BB6_14518 Depth=3
	v_ashrrev_i32_e32 v5, 31, v1
	s_mov_b32 s13, exec_lo
	s_delay_alu instid0(VALU_DEP_1) | instskip(NEXT) | instid1(VALU_DEP_1)
	v_lshrrev_b32_e32 v5, 21, v5
	v_add_nc_u32_e32 v5, v1, v5
	s_delay_alu instid0(VALU_DEP_1) | instskip(NEXT) | instid1(VALU_DEP_1)
	v_ashrrev_i32_e32 v5, 11, v5
	v_sub_nc_u32_e32 v18, v5, v41
	s_delay_alu instid0(VALU_DEP_1)
	v_cmpx_lt_i32_e32 0, v18
	s_cbranch_execz .LBB6_14602
; %bb.14599:                            ;   in Loop: Header=BB6_14518 Depth=3
	s_clause 0x1
	scratch_load_b64 v[16:17], off, s33 offset:524
	scratch_load_b64 v[38:39], off, s33 offset:188
	s_mov_b32 s14, 0
	s_wait_loadcnt 0x1
	v_add_nc_u64_e32 v[8:9], v[2:3], v[16:17]
	v_add_nc_u64_e32 v[10:11], v[12:13], v[16:17]
	;; [unrolled: 1-line block ×3, first 2 shown]
.LBB6_14600:                            ;   Parent Loop BB6_47 Depth=1
                                        ;     Parent Loop BB6_14515 Depth=2
                                        ;       Parent Loop BB6_14518 Depth=3
                                        ; =>      This Inner Loop Header: Depth=4
	s_clause 0x3
	global_load_b128 v[22:25], v[8:9], off th:TH_LOAD_NT
	global_load_b128 v[26:29], v[8:9], off offset:512 th:TH_LOAD_NT
	global_load_b128 v[30:33], v[8:9], off offset:1024 th:TH_LOAD_NT
	;; [unrolled: 1-line block ×3, first 2 shown]
	s_wait_loadcnt 0x4
	v_sub_nc_u32_e32 v18, v18, v38
	s_wait_xcnt 0x0
	v_add_nc_u64_e32 v[8:9], v[8:9], v[58:59]
	s_wait_loadcnt 0x3
	global_store_b128 v[10:11], v[22:25], off th:TH_STORE_NT
	s_wait_loadcnt 0x2
	global_store_b128 v[10:11], v[26:29], off offset:512 th:TH_STORE_NT
	s_wait_loadcnt 0x1
	global_store_b128 v[10:11], v[30:33], off offset:1024 th:TH_STORE_NT
	;; [unrolled: 2-line block ×3, first 2 shown]
	s_clause 0x3
	global_store_b128 v[16:17], v[22:25], off th:TH_STORE_NT
	global_store_b128 v[16:17], v[26:29], off offset:512 th:TH_STORE_NT
	global_store_b128 v[16:17], v[30:33], off offset:1024 th:TH_STORE_NT
	;; [unrolled: 1-line block ×3, first 2 shown]
	v_cmp_gt_i32_e32 vcc_lo, 1, v18
	s_wait_xcnt 0x4
	v_add_nc_u64_e32 v[10:11], v[10:11], v[58:59]
	s_wait_xcnt 0x0
	v_add_nc_u64_e32 v[16:17], v[16:17], v[58:59]
	s_or_b32 s14, vcc_lo, s14
	s_delay_alu instid0(SALU_CYCLE_1)
	s_and_not1_b32 exec_lo, exec_lo, s14
	s_cbranch_execnz .LBB6_14600
; %bb.14601:                            ;   in Loop: Header=BB6_14518 Depth=3
	s_or_b32 exec_lo, exec_lo, s14
.LBB6_14602:                            ;   in Loop: Header=BB6_14518 Depth=3
	s_delay_alu instid0(SALU_CYCLE_1) | instskip(SKIP_3) | instid1(VALU_DEP_1)
	s_or_b32 exec_lo, exec_lo, s13
	v_dual_mov_b32 v5, 0 :: v_dual_lshlrev_b32 v24, 11, v5
	s_mov_b32 s13, 0
	s_mov_b32 s73, exec_lo
                                        ; implicit-def: $vgpr16
                                        ; implicit-def: $vgpr17
                                        ; implicit-def: $vgpr8
	v_cmpx_ne_u32_e64 v1, v24
	s_cbranch_execz .LBB6_14612
; %bb.14603:                            ;   in Loop: Header=BB6_14518 Depth=3
	scratch_load_b32 v8, off, s33 offset:492 ; 4-byte Folded Reload
	v_dual_lshlrev_b32 v5, 5, v18 :: v_dual_sub_nc_u32 v9, v1, v24
	s_mov_b32 s74, exec_lo
	s_wait_loadcnt 0x0
	s_delay_alu instid0(VALU_DEP_1) | instskip(NEXT) | instid1(VALU_DEP_2)
	v_sub_nc_u32_e32 v5, v8, v5
	v_ashrrev_i32_e32 v10, 31, v9
	s_delay_alu instid0(VALU_DEP_1) | instskip(NEXT) | instid1(VALU_DEP_1)
	v_dual_ashrrev_i32 v8, 31, v5 :: v_dual_lshrrev_b32 v10, 23, v10
	v_lshrrev_b32_e32 v8, 27, v8
	s_delay_alu instid0(VALU_DEP_1) | instskip(NEXT) | instid1(VALU_DEP_3)
	v_add_nc_u32_e32 v8, v5, v8
	v_add_nc_u32_e32 v10, v9, v10
	s_delay_alu instid0(VALU_DEP_2) | instskip(NEXT) | instid1(VALU_DEP_1)
	v_and_b32_e32 v11, 0xffffffe0, v8
	v_dual_sub_nc_u32 v26, v5, v11 :: v_dual_ashrrev_i32 v11, 5, v8
	s_delay_alu instid0(VALU_DEP_3) | instskip(SKIP_1) | instid1(VALU_DEP_2)
	v_and_b32_e32 v25, 0xfffffe00, v10
	v_ashrrev_i32_e32 v10, 9, v10
	v_dual_lshlrev_b32 v5, 4, v26 :: v_dual_sub_nc_u32 v27, v9, v25
	s_delay_alu instid0(VALU_DEP_1) | instskip(NEXT) | instid1(VALU_DEP_2)
	v_lshl_add_u32 v8, v11, 9, v5
	v_cmp_lt_i32_e64 s13, 15, v27
	s_delay_alu instid0(VALU_DEP_1) | instskip(NEXT) | instid1(VALU_DEP_1)
	v_add_co_ci_u32_e64 v10, null, 0, v10, s13
	v_dual_sub_nc_u32 v5, v9, v8 :: v_dual_sub_nc_u32 v28, v10, v11
	s_wait_xcnt 0x0
	s_delay_alu instid0(VALU_DEP_1)
	v_cmpx_lt_i32_e32 15, v5
	s_cbranch_execz .LBB6_14609
; %bb.14604:                            ;   in Loop: Header=BB6_14518 Depth=3
	v_add_nc_u32_e32 v8, v8, v24
	s_mov_b32 s75, 0
	s_delay_alu instid0(VALU_DEP_1) | instskip(NEXT) | instid1(VALU_DEP_1)
	v_ashrrev_i32_e32 v9, 31, v8
	v_add_nc_u64_e32 v[16:17], v[8:9], v[2:3]
	v_add_nc_u64_e32 v[18:19], v[8:9], v[12:13]
	;; [unrolled: 1-line block ×3, first 2 shown]
.LBB6_14605:                            ;   Parent Loop BB6_47 Depth=1
                                        ;     Parent Loop BB6_14515 Depth=2
                                        ;       Parent Loop BB6_14518 Depth=3
                                        ; =>      This Loop Header: Depth=4
                                        ;           Child Loop BB6_14606 Depth 5
	global_load_b128 v[8:11], v[16:17], off th:TH_LOAD_NT
	s_mov_b64 s[42:43], 0
	s_mov_b32 s76, -1
.LBB6_14606:                            ;   Parent Loop BB6_47 Depth=1
                                        ;     Parent Loop BB6_14515 Depth=2
                                        ;       Parent Loop BB6_14518 Depth=3
                                        ;         Parent Loop BB6_14605 Depth=4
                                        ; =>        This Inner Loop Header: Depth=5
	s_cmp_eq_u32 s42, 1
	s_cselect_b32 vcc_lo, -1, 0
	s_cmp_eq_u32 s42, 0
	s_wait_xcnt 0x0
	v_dual_cndmask_b32 v31, v19, v23 :: v_dual_cndmask_b32 v30, v18, v22
	s_cselect_b32 s14, -1, 0
	s_and_b32 s15, exec_lo, s76
	s_mov_b64 s[42:43], 1
	s_mov_b32 s76, 0
	v_add_nc_u64_e32 v[32:33], 0x200, v[30:31]
	s_wait_loadcnt 0x0
	global_store_b128 v[30:31], v[8:11], off th:TH_STORE_NT
	v_dual_cndmask_b32 v23, v23, v33 :: v_dual_cndmask_b32 v22, v22, v32
	v_dual_cndmask_b32 v19, v19, v33, s14 :: v_dual_cndmask_b32 v18, v18, v32, s14
	s_mov_b32 vcc_lo, s15
	s_cbranch_vccnz .LBB6_14606
; %bb.14607:                            ;   in Loop: Header=BB6_14605 Depth=4
	scratch_load_b64 v[8:9], off, s33 offset:188 ; 8-byte Folded Reload
	v_sub_nc_u32_e32 v5, v5, v46
	v_add_nc_u64_e32 v[18:19], v[18:19], v[72:73]
	v_add_nc_u64_e32 v[22:23], v[22:23], v[72:73]
	;; [unrolled: 1-line block ×3, first 2 shown]
	s_wait_loadcnt 0x0
	v_sub_nc_u32_e32 v28, v28, v8
	v_cmp_gt_i32_e32 vcc_lo, 16, v5
	s_or_b32 s75, vcc_lo, s75
	s_wait_xcnt 0x0
	s_and_not1_b32 exec_lo, exec_lo, s75
	s_cbranch_execnz .LBB6_14605
; %bb.14608:                            ;   in Loop: Header=BB6_14518 Depth=3
	s_or_b32 exec_lo, exec_lo, s75
.LBB6_14609:                            ;   in Loop: Header=BB6_14518 Depth=3
	s_delay_alu instid0(SALU_CYCLE_1) | instskip(SKIP_3) | instid1(VALU_DEP_1)
	s_or_b32 exec_lo, exec_lo, s74
	v_dual_mov_b32 v5, 0 :: v_dual_bitop2_b32 v9, 15, v1 bitop3:0x40
	s_mov_b32 s14, 0
	s_mov_b32 s15, exec_lo
                                        ; implicit-def: $vgpr17
                                        ; implicit-def: $vgpr8
	v_cndmask_b32_e64 v16, v27, v9, s13
	s_delay_alu instid0(VALU_DEP_1)
	v_cmpx_ne_u32_e32 0, v16
	s_cbranch_execz .LBB6_14611
; %bb.14610:                            ;   in Loop: Header=BB6_14518 Depth=3
	scratch_load_b64 v[10:11], off, s33 offset:188 ; 8-byte Folded Reload
	v_cmp_lt_i32_e32 vcc_lo, 0, v28
	s_mov_b32 s14, exec_lo
	v_sub_nc_u32_e32 v8, v27, v9
	s_wait_loadcnt 0x0
	s_delay_alu instid0(VALU_DEP_1) | instskip(NEXT) | instid1(VALU_DEP_1)
	v_dual_cndmask_b32 v8, 0, v8, s13 :: v_dual_cndmask_b32 v5, 0, v10, vcc_lo
	v_sub_nc_u32_e32 v5, v5, v28
	s_delay_alu instid0(VALU_DEP_1) | instskip(NEXT) | instid1(VALU_DEP_1)
	v_lshl_add_u32 v17, v5, 5, v26
	v_ashrrev_i32_e32 v5, 31, v17
	s_delay_alu instid0(VALU_DEP_1) | instskip(NEXT) | instid1(VALU_DEP_1)
	v_lshrrev_b32_e32 v5, 27, v5
	v_add_nc_u32_e32 v9, v17, v5
	v_add3_u32 v5, v25, v24, v8
	s_delay_alu instid0(VALU_DEP_2)
	v_ashrrev_i32_e32 v8, 5, v9
.LBB6_14611:                            ;   in Loop: Header=BB6_14518 Depth=3
	s_wait_xcnt 0x0
	s_or_b32 exec_lo, exec_lo, s15
	s_delay_alu instid0(SALU_CYCLE_1)
	s_and_b32 s13, s14, exec_lo
.LBB6_14612:                            ;   in Loop: Header=BB6_14518 Depth=3
	s_or_b32 exec_lo, exec_lo, s73
	s_wait_loadcnt 0x0
	scratch_load_b64 v[26:27], off, s33 offset:188 ; 8-byte Folded Reload
	s_wait_xcnt 0x0
	s_and_saveexec_b32 s15, s13
	s_cbranch_execz .LBB6_14623
.LBB6_14613:                            ;   in Loop: Header=BB6_14518 Depth=3
	v_ashrrev_i32_e32 v9, 31, v16
	s_mov_b32 s13, exec_lo
	s_delay_alu instid0(VALU_DEP_1) | instskip(NEXT) | instid1(VALU_DEP_1)
	v_lshrrev_b32_e32 v9, 22, v9
	v_add_nc_u32_e32 v9, v16, v9
	s_delay_alu instid0(VALU_DEP_1) | instskip(SKIP_1) | instid1(VALU_DEP_1)
	v_ashrrev_i32_e32 v22, 10, v9
	v_ashrrev_i32_e32 v9, 31, v17
	v_dual_lshrrev_b32 v19, 27, v9 :: v_dual_sub_nc_u32 v18, v22, v8
	s_delay_alu instid0(VALU_DEP_1)
	v_cmpx_lt_i32_e32 0, v18
	s_cbranch_execz .LBB6_14617
; %bb.14614:                            ;   in Loop: Header=BB6_14518 Depth=3
	scratch_load_b64 v[56:57], off, s33 offset:244 ; 8-byte Folded Reload
	v_dual_add_nc_u32 v9, v17, v19 :: v_dual_lshlrev_b32 v8, 10, v8
	s_wait_loadcnt 0x1
	v_mov_b64_e32 v[112:113], v[26:27]
	v_add_nc_u64_e32 v[26:27], 0x3e0, v[2:3]
	s_mov_b32 s14, 0
	v_and_b32_e32 v9, 0xffffffe0, v9
	s_delay_alu instid0(VALU_DEP_1) | instskip(NEXT) | instid1(VALU_DEP_1)
	v_sub_nc_u32_e32 v9, v17, v9
	v_add3_u32 v24, v5, v9, v8
	s_delay_alu instid0(VALU_DEP_1) | instskip(NEXT) | instid1(VALU_DEP_1)
	v_ashrrev_i32_e32 v25, 31, v24
	v_add_nc_u64_e32 v[8:9], v[24:25], v[12:13]
	v_add_nc_u64_e32 v[10:11], v[24:25], v[14:15]
	v_add_nc_u64_e32 v[14:15], v[26:27], v[24:25]
.LBB6_14615:                            ;   Parent Loop BB6_47 Depth=1
                                        ;     Parent Loop BB6_14515 Depth=2
                                        ;       Parent Loop BB6_14518 Depth=3
                                        ; =>      This Inner Loop Header: Depth=4
	s_clause 0x1f
	flat_load_u8 v23, v[14:15] offset:-992 th:TH_LOAD_NT
	flat_load_u8 v24, v[14:15] offset:-960 th:TH_LOAD_NT
	;; [unrolled: 1-line block ×31, first 2 shown]
	flat_load_u8 v70, v[14:15] th:TH_LOAD_NT
	v_sub_nc_u32_e32 v18, v18, v112
	s_wait_loadcnt 0x20
	s_wait_xcnt 0x0
	v_add_nc_u64_e32 v[14:15], v[14:15], v[56:57]
	s_wait_loadcnt_dscnt 0x1f1f
	flat_store_b8 v[8:9], v23 th:TH_STORE_NT
	s_wait_loadcnt_dscnt 0x1e1f
	flat_store_b8 v[8:9], v24 offset:32 th:TH_STORE_NT
	s_wait_loadcnt_dscnt 0x1d1f
	flat_store_b8 v[8:9], v25 offset:64 th:TH_STORE_NT
	;; [unrolled: 2-line block ×31, first 2 shown]
	s_clause 0x1f
	flat_store_b8 v[10:11], v23 th:TH_STORE_NT
	flat_store_b8 v[10:11], v24 offset:32 th:TH_STORE_NT
	flat_store_b8 v[10:11], v25 offset:64 th:TH_STORE_NT
	;; [unrolled: 1-line block ×31, first 2 shown]
	v_cmp_gt_i32_e32 vcc_lo, 1, v18
	s_wait_xcnt 0x20
	v_add_nc_u64_e32 v[8:9], v[8:9], v[56:57]
	s_wait_xcnt 0x0
	v_add_nc_u64_e32 v[10:11], v[10:11], v[56:57]
	s_or_b32 s14, vcc_lo, s14
	s_delay_alu instid0(SALU_CYCLE_1)
	s_and_not1_b32 exec_lo, exec_lo, s14
	s_cbranch_execnz .LBB6_14615
; %bb.14616:                            ;   in Loop: Header=BB6_14518 Depth=3
	s_or_b32 exec_lo, exec_lo, s14
	v_mov_b64_e32 v[26:27], v[112:113]
.LBB6_14617:                            ;   in Loop: Header=BB6_14518 Depth=3
	s_or_b32 exec_lo, exec_lo, s13
	v_lshlrev_b32_e32 v8, 10, v22
	s_delay_alu instid0(VALU_DEP_1)
	v_cmp_ne_u32_e32 vcc_lo, v16, v8
	s_and_b32 exec_lo, exec_lo, vcc_lo
	s_cbranch_execz .LBB6_14623
; %bb.14618:                            ;   in Loop: Header=BB6_14518 Depth=3
	v_dual_add_nc_u32 v9, v17, v19 :: v_dual_lshlrev_b32 v10, 5, v18
	s_delay_alu instid0(VALU_DEP_1) | instskip(NEXT) | instid1(VALU_DEP_1)
	v_and_b32_e32 v9, 0xffffffe0, v9
	v_sub_nc_u32_e32 v9, v17, v9
	s_delay_alu instid0(VALU_DEP_1) | instskip(NEXT) | instid1(VALU_DEP_1)
	v_sub_nc_u32_e32 v9, v9, v10
	v_add_nc_u32_e32 v8, v8, v9
	s_delay_alu instid0(VALU_DEP_1) | instskip(NEXT) | instid1(VALU_DEP_1)
	v_sub_nc_u32_e32 v16, v16, v8
	v_cmp_lt_i32_e32 vcc_lo, 0, v16
	s_and_b32 exec_lo, exec_lo, vcc_lo
	s_cbranch_execz .LBB6_14623
; %bb.14619:                            ;   in Loop: Header=BB6_14518 Depth=3
	s_trap 2
	ds_load_b64 v[10:11], v0
	ds_load_b128 v[22:25], v0
	v_add_nc_u32_e32 v14, v8, v5
	s_mov_b32 s73, 0
	s_delay_alu instid0(VALU_DEP_1) | instskip(SKIP_1) | instid1(VALU_DEP_1)
	v_ashrrev_i32_e32 v15, 31, v14
	s_wait_dscnt 0x1
	v_add_nc_u64_e32 v[8:9], v[10:11], v[14:15]
	s_wait_dscnt 0x0
	v_add_nc_u64_e32 v[10:11], v[22:23], v[14:15]
	v_add_nc_u64_e32 v[14:15], v[24:25], v[14:15]
.LBB6_14620:                            ;   Parent Loop BB6_47 Depth=1
                                        ;     Parent Loop BB6_14515 Depth=2
                                        ;       Parent Loop BB6_14518 Depth=3
                                        ; =>      This Loop Header: Depth=4
                                        ;           Child Loop BB6_14621 Depth 5
	flat_load_u8 v5, v[8:9] th:TH_LOAD_NT
	s_mov_b64 s[42:43], 0
	s_mov_b32 s74, -1
.LBB6_14621:                            ;   Parent Loop BB6_47 Depth=1
                                        ;     Parent Loop BB6_14515 Depth=2
                                        ;       Parent Loop BB6_14518 Depth=3
                                        ;         Parent Loop BB6_14620 Depth=4
                                        ; =>        This Inner Loop Header: Depth=5
	s_cmp_eq_u32 s42, 1
	s_cselect_b32 vcc_lo, -1, 0
	s_cmp_eq_u32 s42, 0
	s_wait_xcnt 0x0
	v_dual_cndmask_b32 v19, v11, v15 :: v_dual_cndmask_b32 v18, v10, v14
	s_cselect_b32 s13, -1, 0
	s_and_b32 s14, exec_lo, s74
	s_mov_b64 s[42:43], 1
	s_mov_b32 s74, 0
	v_add_nc_u64_e32 v[22:23], 32, v[18:19]
	s_wait_loadcnt_dscnt 0x0
	flat_store_b8 v[18:19], v5 th:TH_STORE_NT
	v_dual_cndmask_b32 v15, v15, v23 :: v_dual_cndmask_b32 v14, v14, v22
	v_dual_cndmask_b32 v11, v11, v23, s13 :: v_dual_cndmask_b32 v10, v10, v22, s13
	s_mov_b32 vcc_lo, s14
	s_cbranch_vccnz .LBB6_14621
; %bb.14622:                            ;   in Loop: Header=BB6_14620 Depth=4
	v_sub_nc_u32_e32 v16, v16, v114
	s_delay_alu instid0(VALU_DEP_2)
	v_add_nc_u64_e32 v[10:11], v[10:11], v[60:61]
	v_add_nc_u64_e32 v[14:15], v[14:15], v[60:61]
	s_wait_xcnt 0x1
	v_add_nc_u64_e32 v[8:9], v[74:75], v[8:9]
	v_cmp_gt_i32_e32 vcc_lo, 1, v16
	s_or_b32 s73, vcc_lo, s73
	s_wait_xcnt 0x0
	s_and_not1_b32 exec_lo, exec_lo, s73
	s_cbranch_execnz .LBB6_14620
.LBB6_14623:                            ;   in Loop: Header=BB6_14518 Depth=3
	s_or_b32 exec_lo, exec_lo, s15
	s_mov_b32 s13, 0
.LBB6_14624:                            ;   in Loop: Header=BB6_14518 Depth=3
	s_delay_alu instid0(SALU_CYCLE_1)
	s_and_b32 vcc_lo, exec_lo, s13
	s_cbranch_vccz .LBB6_14653
; %bb.14625:                            ;   in Loop: Header=BB6_14518 Depth=3
	s_mov_b32 s13, -1
	s_and_saveexec_b32 s14, s11
	s_cbranch_execz .LBB6_14627
; %bb.14626:                            ;   in Loop: Header=BB6_14518 Depth=3
	ds_load_b32 v5, v0 offset:720
	s_wait_dscnt 0x0
	v_and_b32_e32 v5, 15, v5
	s_delay_alu instid0(VALU_DEP_1)
	v_cmp_eq_u32_e32 vcc_lo, 0, v5
	s_or_not1_b32 s13, vcc_lo, exec_lo
.LBB6_14627:                            ;   in Loop: Header=BB6_14518 Depth=3
	s_or_b32 exec_lo, exec_lo, s14
	s_and_saveexec_b32 s14, s7
	s_cbranch_execz .LBB6_14629
; %bb.14628:                            ;   in Loop: Header=BB6_14518 Depth=3
	ds_load_b32 v5, v0 offset:784
	s_wait_dscnt 0x0
	v_and_b32_e32 v5, 15, v5
	s_delay_alu instid0(VALU_DEP_1) | instskip(SKIP_3) | instid1(SALU_CYCLE_1)
	v_cmp_eq_u32_e32 vcc_lo, 0, v5
	s_and_b32 s15, s13, vcc_lo
	s_and_not1_b32 s13, s13, exec_lo
	s_and_b32 s15, s15, exec_lo
	s_or_b32 s13, s13, s15
.LBB6_14629:                            ;   in Loop: Header=BB6_14518 Depth=3
	s_or_b32 exec_lo, exec_lo, s14
	s_xor_b32 s13, s13, -1
	v_dual_mov_b32 v5, 0 :: v_dual_mov_b32 v10, v1
	v_cndmask_b32_e64 v8, 0, 1, s13
	v_mov_b32_e32 v11, v80
	s_mov_b32 s15, -1
	s_delay_alu instid0(VALU_DEP_2)
	v_cmp_ne_u32_e32 vcc_lo, 0, v8
	v_mov_b32_e32 v8, v41
	s_cbranch_vccz .LBB6_14631
; %bb.14630:                            ;   in Loop: Header=BB6_14518 Depth=3
	s_and_saveexec_b32 s13, s15
	s_cbranch_execnz .LBB6_14644
	s_branch .LBB6_14652
.LBB6_14631:                            ;   in Loop: Header=BB6_14518 Depth=3
	v_ashrrev_i32_e32 v5, 31, v1
	s_mov_b32 s13, exec_lo
	s_delay_alu instid0(VALU_DEP_1) | instskip(NEXT) | instid1(VALU_DEP_1)
	v_lshrrev_b32_e32 v5, 20, v5
	v_add_nc_u32_e32 v5, v1, v5
	s_delay_alu instid0(VALU_DEP_1) | instskip(NEXT) | instid1(VALU_DEP_1)
	v_ashrrev_i32_e32 v5, 12, v5
	v_sub_nc_u32_e32 v15, v5, v41
	s_delay_alu instid0(VALU_DEP_1)
	v_cmpx_lt_i32_e32 0, v15
	s_cbranch_execz .LBB6_14635
; %bb.14632:                            ;   in Loop: Header=BB6_14518 Depth=3
	v_mov_b64_e32 v[8:9], v[12:13]
	v_mov_b64_e32 v[10:11], v[2:3]
	s_wait_loadcnt 0x0
	v_mov_b64_e32 v[68:69], v[26:27]
	s_mov_b32 s14, 0
.LBB6_14633:                            ;   Parent Loop BB6_47 Depth=1
                                        ;     Parent Loop BB6_14515 Depth=2
                                        ;       Parent Loop BB6_14518 Depth=3
                                        ; =>      This Inner Loop Header: Depth=4
	s_delay_alu instid0(VALU_DEP_2) | instskip(NEXT) | instid1(VALU_DEP_2)
	v_add_nc_u64_e32 v[38:39], v[76:77], v[10:11]
	v_sub_nc_u32_e32 v15, v15, v68
	v_add_nc_u64_e32 v[10:11], v[10:11], v[44:45]
	s_clause 0x7
	global_load_b128 v[16:19], v[38:39], off th:TH_LOAD_NT
	global_load_b128 v[22:25], v[38:39], off offset:512 th:TH_LOAD_NT
	global_load_b128 v[26:29], v[38:39], off offset:1024 th:TH_LOAD_NT
	;; [unrolled: 1-line block ×7, first 2 shown]
	s_wait_xcnt 0x0
	v_add_nc_u64_e32 v[38:39], v[76:77], v[8:9]
	v_add_nc_u64_e32 v[8:9], v[8:9], v[44:45]
	v_cmp_gt_i32_e32 vcc_lo, 1, v15
	s_wait_loadcnt 0x7
	global_store_b128 v[38:39], v[16:19], off th:TH_STORE_NT
	s_wait_loadcnt 0x6
	global_store_b128 v[38:39], v[22:25], off offset:512 th:TH_STORE_NT
	s_wait_loadcnt 0x5
	global_store_b128 v[38:39], v[26:29], off offset:1024 th:TH_STORE_NT
	;; [unrolled: 2-line block ×7, first 2 shown]
	s_or_b32 s14, vcc_lo, s14
	s_wait_xcnt 0x0
	s_and_not1_b32 exec_lo, exec_lo, s14
	s_cbranch_execnz .LBB6_14633
; %bb.14634:                            ;   in Loop: Header=BB6_14518 Depth=3
	s_or_b32 exec_lo, exec_lo, s14
	v_mov_b64_e32 v[26:27], v[68:69]
.LBB6_14635:                            ;   in Loop: Header=BB6_14518 Depth=3
	s_or_b32 exec_lo, exec_lo, s13
	v_dual_mov_b32 v5, 0 :: v_dual_lshlrev_b32 v14, 12, v5
	s_mov_b32 s15, 0
	s_mov_b32 s14, exec_lo
                                        ; implicit-def: $vgpr10
                                        ; implicit-def: $vgpr11
                                        ; implicit-def: $vgpr8
	s_delay_alu instid0(VALU_DEP_1)
	v_cmpx_ne_u32_e64 v1, v14
	s_cbranch_execz .LBB6_14643
; %bb.14636:                            ;   in Loop: Header=BB6_14518 Depth=3
	scratch_load_b32 v8, off, s33 offset:492 ; 4-byte Folded Reload
	v_dual_lshlrev_b32 v5, 5, v15 :: v_dual_sub_nc_u32 v9, v1, v14
	s_mov_b32 s15, exec_lo
	s_wait_loadcnt 0x0
	s_delay_alu instid0(VALU_DEP_1) | instskip(NEXT) | instid1(VALU_DEP_2)
	v_sub_nc_u32_e32 v5, v8, v5
	v_ashrrev_i32_e32 v10, 31, v9
	s_delay_alu instid0(VALU_DEP_1) | instskip(NEXT) | instid1(VALU_DEP_1)
	v_dual_ashrrev_i32 v8, 31, v5 :: v_dual_lshrrev_b32 v10, 23, v10
	v_lshrrev_b32_e32 v8, 27, v8
	s_delay_alu instid0(VALU_DEP_1) | instskip(NEXT) | instid1(VALU_DEP_3)
	v_add_nc_u32_e32 v8, v5, v8
	v_add_nc_u32_e32 v10, v9, v10
	s_delay_alu instid0(VALU_DEP_2) | instskip(NEXT) | instid1(VALU_DEP_1)
	v_and_b32_e32 v11, 0xffffffe0, v8
	v_dual_sub_nc_u32 v16, v5, v11 :: v_dual_ashrrev_i32 v11, 5, v8
	s_delay_alu instid0(VALU_DEP_3) | instskip(NEXT) | instid1(VALU_DEP_2)
	v_and_b32_e32 v15, 0xfffffe00, v10
	v_dual_ashrrev_i32 v10, 9, v10 :: v_dual_lshlrev_b32 v5, 4, v16
	s_delay_alu instid0(VALU_DEP_2) | instskip(NEXT) | instid1(VALU_DEP_2)
	v_sub_nc_u32_e32 v17, v9, v15
	v_lshl_add_u32 v8, v11, 9, v5
	s_delay_alu instid0(VALU_DEP_2) | instskip(NEXT) | instid1(VALU_DEP_4)
	v_cmp_lt_i32_e32 vcc_lo, 15, v17
	v_add_co_ci_u32_e64 v10, null, 0, v10, vcc_lo
	s_delay_alu instid0(VALU_DEP_1) | instskip(SKIP_1) | instid1(VALU_DEP_1)
	v_dual_sub_nc_u32 v5, v9, v8 :: v_dual_sub_nc_u32 v18, v10, v11
	s_wait_xcnt 0x0
	v_cmpx_lt_i32_e32 15, v5
	s_cbranch_execz .LBB6_14640
; %bb.14637:                            ;   in Loop: Header=BB6_14518 Depth=3
	v_add_nc_u32_e32 v8, v8, v14
	s_mov_b32 s42, 0
	s_delay_alu instid0(VALU_DEP_1)
	v_ashrrev_i32_e32 v9, 31, v8
.LBB6_14638:                            ;   Parent Loop BB6_47 Depth=1
                                        ;     Parent Loop BB6_14515 Depth=2
                                        ;       Parent Loop BB6_14518 Depth=3
                                        ; =>      This Inner Loop Header: Depth=4
	s_delay_alu instid0(VALU_DEP_1) | instskip(SKIP_2) | instid1(VALU_DEP_2)
	v_add_nc_u64_e32 v[10:11], v[2:3], v[8:9]
	v_sub_nc_u32_e32 v5, v5, v46
	v_sub_nc_u32_e32 v18, v18, v26
	v_cmp_gt_i32_e64 s13, 16, v5
	global_load_b128 v[22:25], v[10:11], off th:TH_LOAD_NT
	s_wait_xcnt 0x0
	v_add_nc_u64_e32 v[10:11], v[12:13], v[8:9]
	v_add_nc_u64_e32 v[8:9], v[8:9], v[46:47]
	s_or_b32 s42, s13, s42
	s_wait_loadcnt 0x0
	global_store_b128 v[10:11], v[22:25], off th:TH_STORE_NT
	s_wait_xcnt 0x0
	s_and_not1_b32 exec_lo, exec_lo, s42
	s_cbranch_execnz .LBB6_14638
; %bb.14639:                            ;   in Loop: Header=BB6_14518 Depth=3
	s_or_b32 exec_lo, exec_lo, s42
.LBB6_14640:                            ;   in Loop: Header=BB6_14518 Depth=3
	s_delay_alu instid0(SALU_CYCLE_1) | instskip(SKIP_3) | instid1(VALU_DEP_1)
	s_or_b32 exec_lo, exec_lo, s15
	v_dual_mov_b32 v5, 0 :: v_dual_bitop2_b32 v9, 15, v1 bitop3:0x40
	s_mov_b32 s15, 0
	s_mov_b32 s42, exec_lo
                                        ; implicit-def: $vgpr11
                                        ; implicit-def: $vgpr8
	v_cndmask_b32_e32 v10, v17, v9, vcc_lo
	s_delay_alu instid0(VALU_DEP_1)
	v_cmpx_ne_u32_e32 0, v10
	s_cbranch_execz .LBB6_14642
; %bb.14641:                            ;   in Loop: Header=BB6_14518 Depth=3
	v_cmp_lt_i32_e64 s13, 0, v18
	s_mov_b32 s15, exec_lo
	v_dual_sub_nc_u32 v8, v17, v9 :: v_dual_cndmask_b32 v5, 0, v26, s13
	s_delay_alu instid0(VALU_DEP_1) | instskip(NEXT) | instid1(VALU_DEP_1)
	v_dual_cndmask_b32 v8, 0, v8 :: v_dual_sub_nc_u32 v5, v5, v18
	v_lshl_add_u32 v11, v5, 5, v16
	s_delay_alu instid0(VALU_DEP_1) | instskip(NEXT) | instid1(VALU_DEP_1)
	v_ashrrev_i32_e32 v5, 31, v11
	v_lshrrev_b32_e32 v5, 27, v5
	s_delay_alu instid0(VALU_DEP_1) | instskip(SKIP_1) | instid1(VALU_DEP_2)
	v_add_nc_u32_e32 v9, v11, v5
	v_add3_u32 v5, v15, v14, v8
	v_ashrrev_i32_e32 v8, 5, v9
.LBB6_14642:                            ;   in Loop: Header=BB6_14518 Depth=3
	s_or_b32 exec_lo, exec_lo, s42
	s_delay_alu instid0(SALU_CYCLE_1)
	s_and_b32 s15, s15, exec_lo
.LBB6_14643:                            ;   in Loop: Header=BB6_14518 Depth=3
	s_or_b32 exec_lo, exec_lo, s14
	s_and_saveexec_b32 s13, s15
	s_cbranch_execz .LBB6_14652
.LBB6_14644:                            ;   in Loop: Header=BB6_14518 Depth=3
	v_ashrrev_i32_e32 v9, 31, v10
	s_mov_b32 s14, exec_lo
	s_delay_alu instid0(VALU_DEP_1) | instskip(NEXT) | instid1(VALU_DEP_1)
	v_lshrrev_b32_e32 v9, 22, v9
	v_add_nc_u32_e32 v9, v10, v9
	s_delay_alu instid0(VALU_DEP_1) | instskip(NEXT) | instid1(VALU_DEP_1)
	v_ashrrev_i32_e32 v15, 10, v9
	v_sub_nc_u32_e32 v14, v15, v8
	s_delay_alu instid0(VALU_DEP_1)
	v_cmpx_lt_i32_e32 0, v14
	s_cbranch_execz .LBB6_14648
; %bb.14645:                            ;   in Loop: Header=BB6_14518 Depth=3
	scratch_load_b64 v[70:71], off, s33 offset:244 ; 8-byte Folded Reload
	v_dual_ashrrev_i32 v9, 31, v11 :: v_dual_lshlrev_b32 v8, 10, v8
	s_wait_loadcnt 0x1
	v_mov_b64_e32 v[68:69], v[26:27]
	s_mov_b32 s15, 0
	s_delay_alu instid0(VALU_DEP_2) | instskip(NEXT) | instid1(VALU_DEP_1)
	v_lshrrev_b32_e32 v9, 27, v9
	v_add_nc_u32_e32 v9, v11, v9
	s_delay_alu instid0(VALU_DEP_1) | instskip(NEXT) | instid1(VALU_DEP_1)
	v_and_b32_e32 v9, 0xffffffe0, v9
	v_sub_nc_u32_e32 v9, v11, v9
	s_delay_alu instid0(VALU_DEP_1) | instskip(NEXT) | instid1(VALU_DEP_1)
	v_add3_u32 v8, v5, v9, v8
	v_ashrrev_i32_e32 v9, 31, v8
.LBB6_14646:                            ;   Parent Loop BB6_47 Depth=1
                                        ;     Parent Loop BB6_14515 Depth=2
                                        ;       Parent Loop BB6_14518 Depth=3
                                        ; =>      This Inner Loop Header: Depth=4
	s_delay_alu instid0(VALU_DEP_1)
	v_add_nc_u64_e32 v[16:17], v[8:9], v[2:3]
	v_sub_nc_u32_e32 v14, v14, v68
	s_wait_loadcnt 0x0
	v_add_nc_u64_e32 v[2:3], v[2:3], v[70:71]
	s_clause 0x1f
	flat_load_u8 v18, v[16:17] th:TH_LOAD_NT
	flat_load_u8 v19, v[16:17] offset:32 th:TH_LOAD_NT
	flat_load_u8 v22, v[16:17] offset:64 th:TH_LOAD_NT
	;; [unrolled: 1-line block ×31, first 2 shown]
	s_wait_xcnt 0x0
	v_add_nc_u64_e32 v[16:17], v[8:9], v[12:13]
	v_add_nc_u64_e32 v[12:13], v[12:13], v[70:71]
	v_cmp_gt_i32_e32 vcc_lo, 1, v14
	s_wait_loadcnt_dscnt 0x1f1f
	flat_store_b8 v[16:17], v18 th:TH_STORE_NT
	s_wait_loadcnt_dscnt 0x1e1f
	flat_store_b8 v[16:17], v19 offset:32 th:TH_STORE_NT
	s_wait_loadcnt_dscnt 0x1d1f
	flat_store_b8 v[16:17], v22 offset:64 th:TH_STORE_NT
	;; [unrolled: 2-line block ×31, first 2 shown]
	s_or_b32 s15, vcc_lo, s15
	s_wait_xcnt 0x0
	s_and_not1_b32 exec_lo, exec_lo, s15
	s_cbranch_execnz .LBB6_14646
; %bb.14647:                            ;   in Loop: Header=BB6_14518 Depth=3
	s_or_b32 exec_lo, exec_lo, s15
	v_mov_b64_e32 v[26:27], v[68:69]
.LBB6_14648:                            ;   in Loop: Header=BB6_14518 Depth=3
	s_or_b32 exec_lo, exec_lo, s14
	v_lshlrev_b32_e32 v2, 10, v15
	s_delay_alu instid0(VALU_DEP_1)
	v_cmp_ne_u32_e32 vcc_lo, v10, v2
	s_and_b32 exec_lo, exec_lo, vcc_lo
	s_cbranch_execz .LBB6_14652
; %bb.14649:                            ;   in Loop: Header=BB6_14518 Depth=3
	v_dual_ashrrev_i32 v3, 31, v11 :: v_dual_lshlrev_b32 v8, 5, v14
	s_delay_alu instid0(VALU_DEP_1) | instskip(NEXT) | instid1(VALU_DEP_1)
	v_lshrrev_b32_e32 v3, 27, v3
	v_add_nc_u32_e32 v3, v11, v3
	s_delay_alu instid0(VALU_DEP_1) | instskip(NEXT) | instid1(VALU_DEP_1)
	v_and_b32_e32 v3, 0xffffffe0, v3
	v_sub_nc_u32_e32 v3, v11, v3
	s_delay_alu instid0(VALU_DEP_1) | instskip(NEXT) | instid1(VALU_DEP_1)
	v_sub_nc_u32_e32 v3, v3, v8
	v_add_nc_u32_e32 v8, v2, v3
	s_delay_alu instid0(VALU_DEP_1) | instskip(NEXT) | instid1(VALU_DEP_1)
	v_sub_nc_u32_e32 v10, v10, v8
	v_cmp_lt_i32_e32 vcc_lo, 0, v10
	s_and_b32 exec_lo, exec_lo, vcc_lo
	s_cbranch_execz .LBB6_14652
; %bb.14650:                            ;   in Loop: Header=BB6_14518 Depth=3
	s_trap 2
	ds_load_b64 v[2:3], v0
	v_add_nc_u32_e32 v8, v8, v5
	s_mov_b32 s14, 0
	s_delay_alu instid0(VALU_DEP_1)
	v_ashrrev_i32_e32 v9, 31, v8
.LBB6_14651:                            ;   Parent Loop BB6_47 Depth=1
                                        ;     Parent Loop BB6_14515 Depth=2
                                        ;       Parent Loop BB6_14518 Depth=3
                                        ; =>      This Inner Loop Header: Depth=4
	s_wait_dscnt 0x0
	s_delay_alu instid0(VALU_DEP_1) | instskip(SKIP_2) | instid1(VALU_DEP_2)
	v_add_nc_u64_e32 v[12:13], v[2:3], v[8:9]
	v_sub_nc_u32_e32 v10, v10, v114
	v_add_nc_u64_e32 v[8:9], v[8:9], v[114:115]
	v_cmp_gt_i32_e32 vcc_lo, 1, v10
	flat_load_u8 v5, v[12:13] th:TH_LOAD_NT
	s_or_b32 s14, vcc_lo, s14
	s_wait_loadcnt_dscnt 0x0
	flat_store_b8 v[12:13], v5 th:TH_STORE_NT
	s_wait_xcnt 0x0
	s_and_not1_b32 exec_lo, exec_lo, s14
	s_cbranch_execnz .LBB6_14651
.LBB6_14652:                            ;   in Loop: Header=BB6_14518 Depth=3
	s_or_b32 exec_lo, exec_lo, s13
.LBB6_14653:                            ;   in Loop: Header=BB6_14518 Depth=3
	v_cmp_lt_i32_e64 s13, 0, v1
	s_and_saveexec_b32 s14, s2
	s_cbranch_execz .LBB6_14594
.LBB6_14654:                            ;   in Loop: Header=BB6_14518 Depth=3
	s_and_saveexec_b32 s15, s3
	s_delay_alu instid0(SALU_CYCLE_1)
	s_xor_b32 s15, exec_lo, s15
	s_cbranch_execz .LBB6_14669
; %bb.14655:                            ;   in Loop: Header=BB6_14518 Depth=3
	s_and_saveexec_b32 s42, s6
	s_cbranch_execz .LBB6_14668
; %bb.14656:                            ;   in Loop: Header=BB6_14518 Depth=3
	s_mov_b32 s73, exec_lo
	s_mov_b32 s43, exec_lo
	v_mbcnt_lo_u32_b32 v1, s73, 0
	global_wb scope:SCOPE_DEV
	s_wait_storecnt 0x0
	s_wait_loadcnt_dscnt 0x0
	global_inv scope:SCOPE_DEV
	v_cmpx_eq_u32_e32 0, v1
	s_cbranch_execz .LBB6_14658
; %bb.14657:                            ;   in Loop: Header=BB6_14518 Depth=3
	s_bcnt1_i32_b32 s73, s73
	s_delay_alu instid0(SALU_CYCLE_1)
	v_dual_mov_b32 v3, v21 :: v_dual_mov_b32 v2, s73
	s_wait_loadcnt 0x0
	ds_add_u64 v0, v[2:3]
	s_trap 2
.LBB6_14658:                            ;   in Loop: Header=BB6_14518 Depth=3
	s_or_b32 exec_lo, exec_lo, s43
	s_trap 2
	ds_load_b64 v[2:3], v0
	s_wait_dscnt 0x0
	v_add_nc_u64_e32 v[84:85], v[84:85], v[26:27]
	s_mov_b32 s43, exec_lo
	s_delay_alu instid0(VALU_DEP_1)
	v_cmpx_lt_u64_e64 v[2:3], v[84:85]
	s_cbranch_execz .LBB6_14667
; %bb.14659:                            ;   in Loop: Header=BB6_14518 Depth=3
	s_mov_b32 s73, 0
	s_mov_b32 s76, 0
                                        ; implicit-def: $sgpr74
                                        ; implicit-def: $sgpr75
	s_branch .LBB6_14661
.LBB6_14660:                            ;   in Loop: Header=BB6_14661 Depth=4
	s_or_b32 exec_lo, exec_lo, s78
	s_delay_alu instid0(SALU_CYCLE_1) | instskip(NEXT) | instid1(SALU_CYCLE_1)
	s_and_b32 s77, exec_lo, s79
	s_or_b32 s73, s77, s73
	s_and_not1_b32 s74, s74, exec_lo
	s_and_b32 s77, s75, exec_lo
	s_delay_alu instid0(SALU_CYCLE_1)
	s_or_b32 s74, s74, s77
	s_and_not1_b32 exec_lo, exec_lo, s73
	s_cbranch_execz .LBB6_14665
.LBB6_14661:                            ;   Parent Loop BB6_47 Depth=1
                                        ;     Parent Loop BB6_14515 Depth=2
                                        ;       Parent Loop BB6_14518 Depth=3
                                        ; =>      This Inner Loop Header: Depth=4
	s_add_co_i32 s76, s76, 1
	s_delay_alu instid0(SALU_CYCLE_1) | instskip(SKIP_1) | instid1(SALU_CYCLE_1)
	s_cmp_lg_u32 s76, 0x2710
	s_cselect_b32 s77, -1, 0
	s_and_b32 vcc_lo, exec_lo, s77
	s_cbranch_vccz .LBB6_14663
; %bb.14662:                            ;   in Loop: Header=BB6_14661 Depth=4
	s_mov_b32 s79, -1
	s_or_b32 s75, s75, exec_lo
	s_and_saveexec_b32 s78, s77
	s_cbranch_execz .LBB6_14660
	s_branch .LBB6_14664
.LBB6_14663:                            ;   in Loop: Header=BB6_14661 Depth=4
	s_trap 2
	ds_load_b64 v[2:3], v0
	s_and_not1_b32 s77, s77, exec_lo
	s_mov_b32 s76, 0
	s_wait_loadcnt_dscnt 0x0
	flat_load_b32 v1, v[2:3] scope:SCOPE_SYS
	s_wait_loadcnt_dscnt 0x0
	global_inv scope:SCOPE_SYS
	v_cmp_eq_u32_e32 vcc_lo, 0, v1
	s_and_b32 s78, vcc_lo, exec_lo
	s_delay_alu instid0(SALU_CYCLE_1)
	s_or_b32 s77, s77, s78
	s_mov_b32 s79, -1
	s_or_b32 s75, s75, exec_lo
	s_and_saveexec_b32 s78, s77
	s_cbranch_execz .LBB6_14660
.LBB6_14664:                            ;   in Loop: Header=BB6_14661 Depth=4
	s_sleep 1
	s_trap 2
	ds_load_b64 v[2:3], v0
	s_wait_dscnt 0x0
	s_and_not1_b32 s75, s75, exec_lo
	v_cmp_ge_u64_e32 vcc_lo, v[2:3], v[84:85]
	s_or_not1_b32 s79, vcc_lo, exec_lo
	s_branch .LBB6_14660
.LBB6_14665:                            ;   in Loop: Header=BB6_14518 Depth=3
	s_or_b32 exec_lo, exec_lo, s73
	s_and_saveexec_b32 s73, s74
	s_delay_alu instid0(SALU_CYCLE_1)
	s_xor_b32 s73, exec_lo, s73
	s_cbranch_execz .LBB6_14667
; %bb.14666:                            ;   in Loop: Header=BB6_14518 Depth=3
	ds_store_b32 v0, v118
	s_trap 2
.LBB6_14667:                            ;   in Loop: Header=BB6_14518 Depth=3
	s_or_b32 exec_lo, exec_lo, s43
	;;#ASMSTART
	s_wakeup
	;;#ASMEND
.LBB6_14668:                            ;   in Loop: Header=BB6_14518 Depth=3
	s_or_b32 exec_lo, exec_lo, s42
.LBB6_14669:                            ;   in Loop: Header=BB6_14518 Depth=3
	s_and_not1_saveexec_b32 s15, s15
	s_cbranch_execz .LBB6_14671
; %bb.14670:                            ;   in Loop: Header=BB6_14518 Depth=3
	global_wb scope:SCOPE_DEV
	s_wait_storecnt 0x0
	s_wait_loadcnt_dscnt 0x0
	global_inv scope:SCOPE_DEV
	s_barrier_signal -1
	s_barrier_wait -1
.LBB6_14671:                            ;   in Loop: Header=BB6_14518 Depth=3
	s_or_b32 exec_lo, exec_lo, s15
	s_delay_alu instid0(SALU_CYCLE_1) | instskip(SKIP_1) | instid1(SALU_CYCLE_1)
	s_or_b32 exec_lo, exec_lo, s14
                                        ; implicit-def: $vgpr1
	s_and_saveexec_b32 s14, s10
	s_xor_b32 s14, exec_lo, s14
	s_cbranch_execnz .LBB6_14595
.LBB6_14672:                            ;   in Loop: Header=BB6_14518 Depth=3
	s_and_not1_saveexec_b32 s13, s14
	s_cbranch_execz .LBB6_14691
.LBB6_14673:                            ;   in Loop: Header=BB6_14518 Depth=3
	s_and_saveexec_b32 s14, s3
	s_delay_alu instid0(SALU_CYCLE_1)
	s_xor_b32 s14, exec_lo, s14
	s_cbranch_execz .LBB6_14688
; %bb.14674:                            ;   in Loop: Header=BB6_14518 Depth=3
	s_and_saveexec_b32 s15, s6
	s_cbranch_execz .LBB6_14687
; %bb.14675:                            ;   in Loop: Header=BB6_14518 Depth=3
	s_mov_b32 s43, exec_lo
	s_mov_b32 s42, exec_lo
	v_mbcnt_lo_u32_b32 v1, s43, 0
	;;#ASMSTART
	s_waitcnt lgkmcnt(0) vmcnt(0)
	;;#ASMEND
	s_delay_alu instid0(VALU_DEP_1)
	v_cmpx_eq_u32_e32 0, v1
	s_cbranch_execz .LBB6_14677
; %bb.14676:                            ;   in Loop: Header=BB6_14518 Depth=3
	s_bcnt1_i32_b32 s43, s43
	s_delay_alu instid0(SALU_CYCLE_1)
	v_dual_mov_b32 v3, v21 :: v_dual_mov_b32 v2, s43
	s_wait_storecnt 0x0
	s_wait_loadcnt_dscnt 0x0
	ds_add_u64 v0, v[2:3]
	s_trap 2
.LBB6_14677:                            ;   in Loop: Header=BB6_14518 Depth=3
	s_or_b32 exec_lo, exec_lo, s42
	s_trap 2
	ds_load_b64 v[2:3], v0
	s_wait_loadcnt_dscnt 0x0
	v_add_nc_u64_e32 v[84:85], v[84:85], v[26:27]
	s_mov_b32 s42, exec_lo
	s_delay_alu instid0(VALU_DEP_1)
	v_cmpx_lt_u64_e64 v[2:3], v[84:85]
	s_cbranch_execz .LBB6_14686
; %bb.14678:                            ;   in Loop: Header=BB6_14518 Depth=3
	s_mov_b32 s43, 0
	s_mov_b32 s75, 0
                                        ; implicit-def: $sgpr73
                                        ; implicit-def: $sgpr74
	s_branch .LBB6_14680
.LBB6_14679:                            ;   in Loop: Header=BB6_14680 Depth=4
	s_or_b32 exec_lo, exec_lo, s77
	s_delay_alu instid0(SALU_CYCLE_1) | instskip(NEXT) | instid1(SALU_CYCLE_1)
	s_and_b32 s76, exec_lo, s78
	s_or_b32 s43, s76, s43
	s_and_not1_b32 s73, s73, exec_lo
	s_and_b32 s76, s74, exec_lo
	s_delay_alu instid0(SALU_CYCLE_1)
	s_or_b32 s73, s73, s76
	s_and_not1_b32 exec_lo, exec_lo, s43
	s_cbranch_execz .LBB6_14684
.LBB6_14680:                            ;   Parent Loop BB6_47 Depth=1
                                        ;     Parent Loop BB6_14515 Depth=2
                                        ;       Parent Loop BB6_14518 Depth=3
                                        ; =>      This Inner Loop Header: Depth=4
	s_add_co_i32 s75, s75, 1
	s_delay_alu instid0(SALU_CYCLE_1) | instskip(SKIP_1) | instid1(SALU_CYCLE_1)
	s_cmp_lg_u32 s75, 0x2710
	s_cselect_b32 s76, -1, 0
	s_and_b32 vcc_lo, exec_lo, s76
	s_cbranch_vccz .LBB6_14682
; %bb.14681:                            ;   in Loop: Header=BB6_14680 Depth=4
	s_mov_b32 s78, -1
	s_or_b32 s74, s74, exec_lo
	s_and_saveexec_b32 s77, s76
	s_cbranch_execz .LBB6_14679
	s_branch .LBB6_14683
.LBB6_14682:                            ;   in Loop: Header=BB6_14680 Depth=4
	s_trap 2
	ds_load_b64 v[2:3], v0
	s_and_not1_b32 s76, s76, exec_lo
	s_mov_b32 s75, 0
	s_wait_storecnt_dscnt 0x0
	flat_load_b32 v1, v[2:3] scope:SCOPE_SYS
	s_wait_loadcnt_dscnt 0x0
	global_inv scope:SCOPE_SYS
	v_cmp_eq_u32_e32 vcc_lo, 0, v1
	s_and_b32 s77, vcc_lo, exec_lo
	s_delay_alu instid0(SALU_CYCLE_1)
	s_or_b32 s76, s76, s77
	s_mov_b32 s78, -1
	s_or_b32 s74, s74, exec_lo
	s_wait_xcnt 0x0
	s_and_saveexec_b32 s77, s76
	s_cbranch_execz .LBB6_14679
.LBB6_14683:                            ;   in Loop: Header=BB6_14680 Depth=4
	s_sleep 1
	s_trap 2
	ds_load_b64 v[2:3], v0
	s_wait_dscnt 0x0
	s_and_not1_b32 s74, s74, exec_lo
	v_cmp_ge_u64_e32 vcc_lo, v[2:3], v[84:85]
	s_or_not1_b32 s78, vcc_lo, exec_lo
	s_branch .LBB6_14679
.LBB6_14684:                            ;   in Loop: Header=BB6_14518 Depth=3
	s_or_b32 exec_lo, exec_lo, s43
	s_and_saveexec_b32 s43, s73
	s_delay_alu instid0(SALU_CYCLE_1)
	s_xor_b32 s43, exec_lo, s43
	s_cbranch_execz .LBB6_14686
; %bb.14685:                            ;   in Loop: Header=BB6_14518 Depth=3
	ds_store_b32 v0, v118
	s_trap 2
.LBB6_14686:                            ;   in Loop: Header=BB6_14518 Depth=3
	s_or_b32 exec_lo, exec_lo, s42
	;;#ASMSTART
	s_wakeup
	;;#ASMEND
.LBB6_14687:                            ;   in Loop: Header=BB6_14518 Depth=3
	s_or_b32 exec_lo, exec_lo, s15
.LBB6_14688:                            ;   in Loop: Header=BB6_14518 Depth=3
	s_and_not1_saveexec_b32 s14, s14
	s_cbranch_execz .LBB6_14690
; %bb.14689:                            ;   in Loop: Header=BB6_14518 Depth=3
	;;#ASMSTART
	s_waitcnt lgkmcnt(0) vmcnt(0)
	;;#ASMEND
	s_barrier_signal -1
	s_barrier_wait -1
.LBB6_14690:                            ;   in Loop: Header=BB6_14518 Depth=3
	s_or_b32 exec_lo, exec_lo, s14
	v_and_b32_e32 v1, 16, v81
.LBB6_14691:                            ;   in Loop: Header=BB6_14518 Depth=3
	s_or_b32 exec_lo, exec_lo, s13
	s_delay_alu instid0(VALU_DEP_1) | instskip(SKIP_1) | instid1(SALU_CYCLE_1)
	v_cmp_ne_u32_e32 vcc_lo, 0, v1
	s_xor_b32 s13, s4, -1
	s_and_b32 s14, vcc_lo, s13
	s_delay_alu instid0(SALU_CYCLE_1)
	s_and_saveexec_b32 s13, s14
	s_cbranch_execz .LBB6_14693
; %bb.14692:                            ;   in Loop: Header=BB6_14518 Depth=3
	global_wb scope:SCOPE_SYS
	s_wait_storecnt 0x0
	s_wait_loadcnt_dscnt 0x0
	flat_store_b32 v[100:101], v118 scope:SCOPE_SYS
.LBB6_14693:                            ;   in Loop: Header=BB6_14518 Depth=3
	s_wait_xcnt 0x0
	s_or_b32 exec_lo, exec_lo, s13
	v_and_b32_e32 v1, 48, v81
	s_mov_b32 s13, exec_lo
	s_delay_alu instid0(VALU_DEP_1)
	v_cmpx_ne_u32_e32 0, v1
	s_cbranch_execz .LBB6_14517
; %bb.14694:                            ;   in Loop: Header=BB6_14518 Depth=3
	v_add_nc_u64_e32 v[94:95], 2, v[94:95]
	global_wb scope:SCOPE_SYS
	s_wait_storecnt 0x0
	s_wait_loadcnt_dscnt 0x0
	flat_store_b64 v[86:87], v[94:95] scope:SCOPE_SYS
	s_branch .LBB6_14517
.LBB6_14695:                            ;   in Loop: Header=BB6_14515 Depth=2
	s_or_b32 exec_lo, exec_lo, s62
.LBB6_14696:                            ;   in Loop: Header=BB6_14515 Depth=2
	s_delay_alu instid0(SALU_CYCLE_1) | instskip(NEXT) | instid1(SALU_CYCLE_1)
	s_or_b32 exec_lo, exec_lo, s29
	s_mov_b32 s14, exec_lo
	v_cmpx_gt_i32_e32 2, v1
	s_cbranch_execz .LBB6_14772
; %bb.14697:                            ;   in Loop: Header=BB6_14515 Depth=2
	v_cmp_eq_u32_e64 s29, 0, v1
	s_mov_b32 s15, 0
	s_branch .LBB6_14699
.LBB6_14698:                            ;   in Loop: Header=BB6_14699 Depth=3
	s_wait_xcnt 0x0
	s_or_b32 exec_lo, exec_lo, s13
	v_add_nc_u32_e32 v4, v0, v4
	s_mov_b32 s29, 0
	s_and_not1_b32 exec_lo, exec_lo, s15
	s_cbranch_execz .LBB6_14771
.LBB6_14699:                            ;   Parent Loop BB6_47 Depth=1
                                        ;     Parent Loop BB6_14515 Depth=2
                                        ; =>    This Loop Header: Depth=3
                                        ;         Child Loop BB6_14705 Depth 4
                                        ;         Child Loop BB6_14733 Depth 4
	;; [unrolled: 1-line block ×3, first 2 shown]
	s_delay_alu instid0(VALU_DEP_1) | instskip(SKIP_1) | instid1(VALU_DEP_1)
	v_dual_sub_nc_u32 v1, v20, v4 :: v_dual_bitop2_b32 v2, 12, v81 bitop3:0x40
	s_mov_b32 s42, exec_lo
	v_min_i32_e32 v0, v0, v1
	s_delay_alu instid0(VALU_DEP_2)
	v_cmpx_ne_u32_e32 0, v2
	s_cbranch_execz .LBB6_14725
; %bb.14700:                            ;   in Loop: Header=BB6_14699 Depth=3
	v_dual_mov_b32 v7, v21 :: v_dual_bitop2_b32 v6, 8, v81 bitop3:0x40
	v_add_nc_u64_e32 v[2:3], 2, v[94:95]
	s_mov_b32 s43, exec_lo
	s_wait_loadcnt_dscnt 0x1
	s_delay_alu instid0(VALU_DEP_2) | instskip(NEXT) | instid1(VALU_DEP_1)
	v_add_nc_u64_e32 v[8:9], v[102:103], v[6:7]
	v_cmpx_lt_u64_e64 v[8:9], v[2:3]
	s_cbranch_execz .LBB6_14712
; %bb.14701:                            ;   in Loop: Header=BB6_14699 Depth=3
	v_and_b32_e32 v1, 64, v81
	s_mov_b32 s62, 0
	s_mov_b32 s74, 0
                                        ; implicit-def: $sgpr63
                                        ; implicit-def: $sgpr72
                                        ; implicit-def: $sgpr73
	s_delay_alu instid0(VALU_DEP_1)
	v_cmp_eq_u32_e32 vcc_lo, 0, v1
	s_branch .LBB6_14705
.LBB6_14702:                            ;   in Loop: Header=BB6_14705 Depth=4
	s_wait_loadcnt_dscnt 0x0
	v_add_nc_u64_e32 v[8:9], v[102:103], v[6:7]
	s_or_b32 s77, s77, exec_lo
	s_delay_alu instid0(VALU_DEP_1)
	v_cmp_ge_u64_e64 s13, v[8:9], v[2:3]
	s_or_not1_b32 s76, s13, exec_lo
.LBB6_14703:                            ;   in Loop: Header=BB6_14705 Depth=4
	s_or_b32 exec_lo, exec_lo, s79
	s_delay_alu instid0(SALU_CYCLE_1)
	s_and_not1_b32 s13, s73, exec_lo
	s_and_b32 s73, s77, exec_lo
	s_and_not1_b32 s72, s72, exec_lo
	s_and_b32 s76, s76, exec_lo
	s_or_b32 s73, s13, s73
	s_or_b32 s72, s72, s76
.LBB6_14704:                            ;   in Loop: Header=BB6_14705 Depth=4
	s_or_b32 exec_lo, exec_lo, s75
	s_delay_alu instid0(SALU_CYCLE_1) | instskip(NEXT) | instid1(SALU_CYCLE_1)
	s_and_b32 s13, exec_lo, s72
	s_or_b32 s62, s13, s62
	s_and_not1_b32 s13, s63, exec_lo
	s_and_b32 s63, s73, exec_lo
	s_delay_alu instid0(SALU_CYCLE_1)
	s_or_b32 s63, s13, s63
	s_and_not1_b32 exec_lo, exec_lo, s62
	s_cbranch_execz .LBB6_14709
.LBB6_14705:                            ;   Parent Loop BB6_47 Depth=1
                                        ;     Parent Loop BB6_14515 Depth=2
                                        ;       Parent Loop BB6_14699 Depth=3
                                        ; =>      This Inner Loop Header: Depth=4
	s_sleep 1
	s_wait_loadcnt_dscnt 0x0
	flat_load_b64 v[102:103], v[86:87] scope:SCOPE_SYS
	s_or_b32 s73, s73, exec_lo
	s_or_b32 s72, s72, exec_lo
                                        ; implicit-def: $vgpr1
	s_wait_xcnt 0x0
	s_and_saveexec_b32 s75, vcc_lo
	s_cbranch_execz .LBB6_14704
; %bb.14706:                            ;   in Loop: Header=BB6_14705 Depth=4
	s_cmp_lt_i32 s74, 0x270f
	s_mov_b32 s76, -1
	s_cselect_b32 s78, -1, 0
	s_cmp_gt_i32 s74, 0x270e
	s_cbranch_scc0 .LBB6_14708
; %bb.14707:                            ;   in Loop: Header=BB6_14705 Depth=4
	s_trap 2
	ds_load_b64 v[8:9], v0
	s_and_not1_b32 s74, s78, exec_lo
	s_mov_b32 s77, 0
	s_wait_storecnt 0x0
	s_wait_loadcnt_dscnt 0x0
	flat_load_b32 v1, v[8:9] scope:SCOPE_SYS
	s_wait_loadcnt_dscnt 0x0
	global_inv scope:SCOPE_SYS
	v_cmp_eq_u32_e64 s13, 0, v1
	s_and_b32 s13, s13, exec_lo
	s_delay_alu instid0(SALU_CYCLE_1)
	s_or_b32 s78, s74, s13
	s_mov_b32 s74, 0
	s_and_saveexec_b32 s79, s78
	s_cbranch_execz .LBB6_14703
	s_branch .LBB6_14702
.LBB6_14708:                            ;   in Loop: Header=BB6_14705 Depth=4
	s_add_co_i32 s74, s74, 1
	s_mov_b32 s77, -1
                                        ; implicit-def: $vgpr1
	s_and_saveexec_b32 s79, s78
	s_cbranch_execz .LBB6_14703
	s_branch .LBB6_14702
.LBB6_14709:                            ;   in Loop: Header=BB6_14699 Depth=3
	s_or_b32 exec_lo, exec_lo, s62
	s_xor_b32 s13, s63, -1
	s_delay_alu instid0(SALU_CYCLE_1) | instskip(NEXT) | instid1(SALU_CYCLE_1)
	s_and_saveexec_b32 s62, s13
	s_xor_b32 s13, exec_lo, s62
	s_cbranch_execz .LBB6_14711
; %bb.14710:                            ;   in Loop: Header=BB6_14699 Depth=3
	v_or_b32_e32 v81, 64, v81
	s_wait_storecnt 0x0
	s_wait_loadcnt_dscnt 0x0
	ds_store_b32 v0, v1
	s_trap 2
.LBB6_14711:                            ;   in Loop: Header=BB6_14699 Depth=3
	s_or_b32 exec_lo, exec_lo, s13
.LBB6_14712:                            ;   in Loop: Header=BB6_14699 Depth=3
	s_delay_alu instid0(SALU_CYCLE_1) | instskip(SKIP_3) | instid1(VALU_DEP_1)
	s_or_b32 exec_lo, exec_lo, s43
	v_and_b32_e32 v1, 0x108, v81
	s_mov_b32 s13, exec_lo
	;;#ASMSTART
	s_wakeup
	;;#ASMEND
                                        ; implicit-def: $vgpr8_vgpr9
	v_cmpx_ne_u32_e32 0x108, v1
	s_xor_b32 s13, exec_lo, s13
; %bb.14713:                            ;   in Loop: Header=BB6_14699 Depth=3
	v_dual_mov_b32 v9, v21 :: v_dual_bitop2_b32 v8, 7, v94 bitop3:0x40
                                        ; implicit-def: $vgpr94_vgpr95
; %bb.14714:                            ;   in Loop: Header=BB6_14699 Depth=3
	s_and_not1_saveexec_b32 s13, s13
	s_cbranch_execz .LBB6_14716
; %bb.14715:                            ;   in Loop: Header=BB6_14699 Depth=3
	v_dual_ashrrev_i32 v1, 31, v0 :: v_dual_bitop2_b32 v8, 7, v94 bitop3:0x40
	v_mov_b32_e32 v9, v21
	s_delay_alu instid0(VALU_DEP_2)
	v_mad_nc_u64_u32 v[10:11], v8, 24, v[82:83]
	flat_store_b64 v[10:11], v[0:1] offset:8
.LBB6_14716:                            ;   in Loop: Header=BB6_14699 Depth=3
	s_wait_xcnt 0x0
	s_or_b32 exec_lo, exec_lo, s13
	v_and_b32_e32 v1, 0x100, v81
	s_mov_b32 s13, -1
	s_mov_b32 s43, exec_lo
                                        ; implicit-def: $vgpr10_vgpr11
	s_delay_alu instid0(VALU_DEP_1)
	v_cmpx_ne_u32_e32 0, v1
	s_cbranch_execz .LBB6_14720
; %bb.14717:                            ;   in Loop: Header=BB6_14699 Depth=3
	v_mad_nc_u64_u32 v[12:13], v8, 24, v[82:83]
	s_mov_b32 s62, exec_lo
                                        ; implicit-def: $vgpr10_vgpr11
	s_delay_alu instid0(VALU_DEP_1)
	v_mad_u32 v13, v9, 24, v13
	flat_load_b32 v1, v[12:13]
	s_wait_loadcnt_dscnt 0x0
	v_cmp_ne_u32_e32 vcc_lo, 1, v1
	s_wait_xcnt 0x0
	v_cmpx_eq_u32_e32 1, v1
	s_cbranch_execz .LBB6_14719
; %bb.14718:                            ;   in Loop: Header=BB6_14699 Depth=3
	flat_load_b32 v10, v[12:13] offset:4 scope:SCOPE_SYS
	s_wait_loadcnt_dscnt 0x0
	v_ashrrev_i32_e32 v11, 31, v10
.LBB6_14719:                            ;   in Loop: Header=BB6_14699 Depth=3
	s_wait_xcnt 0x0
	s_or_b32 exec_lo, exec_lo, s62
	s_delay_alu instid0(SALU_CYCLE_1)
	s_or_not1_b32 s13, vcc_lo, exec_lo
.LBB6_14720:                            ;   in Loop: Header=BB6_14699 Depth=3
	s_or_b32 exec_lo, exec_lo, s43
	s_and_saveexec_b32 s43, s13
; %bb.14721:                            ;   in Loop: Header=BB6_14699 Depth=3
	v_mul_u64_e32 v[10:11], v[8:9], v[96:97]
; %bb.14722:                            ;   in Loop: Header=BB6_14699 Depth=3
	s_or_b32 exec_lo, exec_lo, s43
	v_cmp_eq_u32_e32 vcc_lo, 0, v6
	s_delay_alu instid0(VALU_DEP_2) | instskip(SKIP_3) | instid1(VALU_DEP_1)
	v_add_nc_u64_e32 v[6:7], v[98:99], v[10:11]
	v_and_b32_e32 v5, 0x2000, v81
	s_mov_b32 s13, exec_lo
	v_cndmask_b32_e32 v1, 0xd0, v40, vcc_lo
	v_add_nc_u32_e32 v1, v0, v1
	ds_store_b64 v1, v[6:7] offset:584
	v_cmpx_ne_u32_e32 0, v5
	s_cbranch_execz .LBB6_14724
; %bb.14723:                            ;   in Loop: Header=BB6_14699 Depth=3
	ds_load_b64 v[6:7], v0 offset:872
	s_wait_dscnt 0x0
	v_add_nc_u64_e32 v[6:7], 1, v[6:7]
	ds_store_b64 v0, v[6:7] offset:872
.LBB6_14724:                            ;   in Loop: Header=BB6_14699 Depth=3
	s_or_b32 exec_lo, exec_lo, s13
	v_mov_b64_e32 v[94:95], v[2:3]
.LBB6_14725:                            ;   in Loop: Header=BB6_14699 Depth=3
	s_or_b32 exec_lo, exec_lo, s42
	s_xor_b32 s13, s29, -1
	s_delay_alu instid0(SALU_CYCLE_1) | instskip(NEXT) | instid1(SALU_CYCLE_1)
	s_and_b32 s13, exec_lo, s13
	s_or_b32 s15, s13, s15
	s_and_saveexec_b32 s13, s2
	s_cbranch_execz .LBB6_14744
; %bb.14726:                            ;   in Loop: Header=BB6_14699 Depth=3
	s_and_saveexec_b32 s29, s3
	s_delay_alu instid0(SALU_CYCLE_1)
	s_xor_b32 s29, exec_lo, s29
	s_cbranch_execz .LBB6_14741
; %bb.14727:                            ;   in Loop: Header=BB6_14699 Depth=3
	s_and_saveexec_b32 s42, s6
	s_cbranch_execz .LBB6_14740
; %bb.14728:                            ;   in Loop: Header=BB6_14699 Depth=3
	s_mov_b32 s62, exec_lo
	s_mov_b32 s43, exec_lo
	v_mbcnt_lo_u32_b32 v1, s62, 0
	global_wb scope:SCOPE_DEV
	s_wait_storecnt 0x0
	s_wait_loadcnt_dscnt 0x0
	global_inv scope:SCOPE_DEV
	v_cmpx_eq_u32_e32 0, v1
	s_cbranch_execz .LBB6_14730
; %bb.14729:                            ;   in Loop: Header=BB6_14699 Depth=3
	s_bcnt1_i32_b32 s62, s62
	s_delay_alu instid0(SALU_CYCLE_1)
	v_dual_mov_b32 v3, v21 :: v_dual_mov_b32 v2, s62
	s_wait_loadcnt 0x0
	ds_add_u64 v0, v[2:3]
	s_trap 2
.LBB6_14730:                            ;   in Loop: Header=BB6_14699 Depth=3
	s_or_b32 exec_lo, exec_lo, s43
	s_trap 2
	ds_load_b64 v[2:3], v0
	s_wait_dscnt 0x0
	v_add_nc_u64_e32 v[84:85], v[84:85], v[26:27]
	s_mov_b32 s43, exec_lo
	s_delay_alu instid0(VALU_DEP_1)
	v_cmpx_lt_u64_e64 v[2:3], v[84:85]
	s_cbranch_execz .LBB6_14739
; %bb.14731:                            ;   in Loop: Header=BB6_14699 Depth=3
	s_mov_b32 s62, 0
	s_mov_b32 s73, 0
                                        ; implicit-def: $sgpr63
                                        ; implicit-def: $sgpr72
	s_branch .LBB6_14733
.LBB6_14732:                            ;   in Loop: Header=BB6_14733 Depth=4
	s_or_b32 exec_lo, exec_lo, s75
	s_delay_alu instid0(SALU_CYCLE_1) | instskip(NEXT) | instid1(SALU_CYCLE_1)
	s_and_b32 s74, exec_lo, s76
	s_or_b32 s62, s74, s62
	s_and_not1_b32 s63, s63, exec_lo
	s_and_b32 s74, s72, exec_lo
	s_delay_alu instid0(SALU_CYCLE_1)
	s_or_b32 s63, s63, s74
	s_and_not1_b32 exec_lo, exec_lo, s62
	s_cbranch_execz .LBB6_14737
.LBB6_14733:                            ;   Parent Loop BB6_47 Depth=1
                                        ;     Parent Loop BB6_14515 Depth=2
                                        ;       Parent Loop BB6_14699 Depth=3
                                        ; =>      This Inner Loop Header: Depth=4
	s_add_co_i32 s73, s73, 1
	s_delay_alu instid0(SALU_CYCLE_1) | instskip(SKIP_1) | instid1(SALU_CYCLE_1)
	s_cmp_lg_u32 s73, 0x2710
	s_cselect_b32 s74, -1, 0
	s_and_b32 vcc_lo, exec_lo, s74
	s_cbranch_vccz .LBB6_14735
; %bb.14734:                            ;   in Loop: Header=BB6_14733 Depth=4
	s_mov_b32 s76, -1
	s_or_b32 s72, s72, exec_lo
	s_and_saveexec_b32 s75, s74
	s_cbranch_execz .LBB6_14732
	s_branch .LBB6_14736
.LBB6_14735:                            ;   in Loop: Header=BB6_14733 Depth=4
	s_trap 2
	ds_load_b64 v[2:3], v0
	s_and_not1_b32 s74, s74, exec_lo
	s_mov_b32 s73, 0
	s_wait_loadcnt_dscnt 0x0
	flat_load_b32 v1, v[2:3] scope:SCOPE_SYS
	s_wait_loadcnt_dscnt 0x0
	global_inv scope:SCOPE_SYS
	v_cmp_eq_u32_e32 vcc_lo, 0, v1
	s_and_b32 s75, vcc_lo, exec_lo
	s_delay_alu instid0(SALU_CYCLE_1)
	s_or_b32 s74, s74, s75
	s_mov_b32 s76, -1
	s_or_b32 s72, s72, exec_lo
	s_and_saveexec_b32 s75, s74
	s_cbranch_execz .LBB6_14732
.LBB6_14736:                            ;   in Loop: Header=BB6_14733 Depth=4
	s_sleep 1
	s_trap 2
	ds_load_b64 v[2:3], v0
	s_wait_dscnt 0x0
	s_and_not1_b32 s72, s72, exec_lo
	v_cmp_ge_u64_e32 vcc_lo, v[2:3], v[84:85]
	s_or_not1_b32 s76, vcc_lo, exec_lo
	s_branch .LBB6_14732
.LBB6_14737:                            ;   in Loop: Header=BB6_14699 Depth=3
	s_or_b32 exec_lo, exec_lo, s62
	s_and_saveexec_b32 s62, s63
	s_delay_alu instid0(SALU_CYCLE_1)
	s_xor_b32 s62, exec_lo, s62
	s_cbranch_execz .LBB6_14739
; %bb.14738:                            ;   in Loop: Header=BB6_14699 Depth=3
	ds_store_b32 v0, v118
	s_trap 2
.LBB6_14739:                            ;   in Loop: Header=BB6_14699 Depth=3
	s_or_b32 exec_lo, exec_lo, s43
	;;#ASMSTART
	s_wakeup
	;;#ASMEND
.LBB6_14740:                            ;   in Loop: Header=BB6_14699 Depth=3
	s_or_b32 exec_lo, exec_lo, s42
.LBB6_14741:                            ;   in Loop: Header=BB6_14699 Depth=3
	s_and_not1_saveexec_b32 s29, s29
	s_cbranch_execz .LBB6_14743
; %bb.14742:                            ;   in Loop: Header=BB6_14699 Depth=3
	global_wb scope:SCOPE_DEV
	s_wait_storecnt 0x0
	s_wait_loadcnt_dscnt 0x0
	global_inv scope:SCOPE_DEV
	s_barrier_signal -1
	s_barrier_wait -1
.LBB6_14743:                            ;   in Loop: Header=BB6_14699 Depth=3
	s_or_b32 exec_lo, exec_lo, s29
.LBB6_14744:                            ;   in Loop: Header=BB6_14699 Depth=3
	s_delay_alu instid0(SALU_CYCLE_1) | instskip(SKIP_1) | instid1(SALU_CYCLE_1)
	s_or_b32 exec_lo, exec_lo, s13
                                        ; implicit-def: $vgpr1
	s_and_saveexec_b32 s13, s10
	s_xor_b32 s29, exec_lo, s13
	s_cbranch_execz .LBB6_14748
; %bb.14745:                            ;   in Loop: Header=BB6_14699 Depth=3
	s_trap 2
	ds_load_b32 v1, v0
	v_cmp_lt_i32_e32 vcc_lo, 0, v0
	s_wait_dscnt 0x0
	v_readfirstlane_b32 s13, v1
	v_and_b32_e32 v1, 16, v81
	s_cmp_eq_u32 s13, 0
	s_delay_alu instid0(VALU_DEP_1) | instskip(SKIP_3) | instid1(SALU_CYCLE_1)
	v_cmp_ne_u32_e64 s13, 0, v1
	s_cselect_b32 s42, -1, 0
	v_and_b32_e32 v1, 16, v81
	s_and_b32 s42, vcc_lo, s42
	s_and_b32 s42, s13, s42
	s_delay_alu instid0(SALU_CYCLE_1)
	s_and_saveexec_b32 s13, s42
	s_cbranch_execz .LBB6_14747
; %bb.14746:                            ;   in Loop: Header=BB6_14699 Depth=3
	v_mov_b32_e32 v1, 1
	global_wb scope:SCOPE_SYS
	s_wait_loadcnt 0x0
	s_wait_storecnt 0x0
	global_inv scope:SCOPE_SYS
.LBB6_14747:                            ;   in Loop: Header=BB6_14699 Depth=3
	s_or_b32 exec_lo, exec_lo, s13
	s_and_not1_saveexec_b32 s13, s29
	s_cbranch_execz .LBB6_14767
	s_branch .LBB6_14749
.LBB6_14748:                            ;   in Loop: Header=BB6_14699 Depth=3
	s_and_not1_saveexec_b32 s13, s29
	s_cbranch_execz .LBB6_14767
.LBB6_14749:                            ;   in Loop: Header=BB6_14699 Depth=3
	s_and_saveexec_b32 s29, s3
	s_delay_alu instid0(SALU_CYCLE_1)
	s_xor_b32 s29, exec_lo, s29
	s_cbranch_execz .LBB6_14764
; %bb.14750:                            ;   in Loop: Header=BB6_14699 Depth=3
	s_and_saveexec_b32 s42, s6
	s_cbranch_execz .LBB6_14763
; %bb.14751:                            ;   in Loop: Header=BB6_14699 Depth=3
	s_mov_b32 s62, exec_lo
	s_mov_b32 s43, exec_lo
	v_mbcnt_lo_u32_b32 v1, s62, 0
	;;#ASMSTART
	s_waitcnt lgkmcnt(0) vmcnt(0)
	;;#ASMEND
	s_delay_alu instid0(VALU_DEP_1)
	v_cmpx_eq_u32_e32 0, v1
	s_cbranch_execz .LBB6_14753
; %bb.14752:                            ;   in Loop: Header=BB6_14699 Depth=3
	s_bcnt1_i32_b32 s62, s62
	s_delay_alu instid0(SALU_CYCLE_1)
	v_dual_mov_b32 v3, v21 :: v_dual_mov_b32 v2, s62
	s_wait_storecnt 0x0
	s_wait_loadcnt_dscnt 0x0
	ds_add_u64 v0, v[2:3]
	s_trap 2
.LBB6_14753:                            ;   in Loop: Header=BB6_14699 Depth=3
	s_or_b32 exec_lo, exec_lo, s43
	s_trap 2
	ds_load_b64 v[2:3], v0
	s_wait_loadcnt_dscnt 0x0
	v_add_nc_u64_e32 v[84:85], v[84:85], v[26:27]
	s_mov_b32 s43, exec_lo
	s_delay_alu instid0(VALU_DEP_1)
	v_cmpx_lt_u64_e64 v[2:3], v[84:85]
	s_cbranch_execz .LBB6_14762
; %bb.14754:                            ;   in Loop: Header=BB6_14699 Depth=3
	s_mov_b32 s62, 0
	s_mov_b32 s73, 0
                                        ; implicit-def: $sgpr63
                                        ; implicit-def: $sgpr72
	s_branch .LBB6_14756
.LBB6_14755:                            ;   in Loop: Header=BB6_14756 Depth=4
	s_or_b32 exec_lo, exec_lo, s75
	s_delay_alu instid0(SALU_CYCLE_1) | instskip(NEXT) | instid1(SALU_CYCLE_1)
	s_and_b32 s74, exec_lo, s76
	s_or_b32 s62, s74, s62
	s_and_not1_b32 s63, s63, exec_lo
	s_and_b32 s74, s72, exec_lo
	s_delay_alu instid0(SALU_CYCLE_1)
	s_or_b32 s63, s63, s74
	s_and_not1_b32 exec_lo, exec_lo, s62
	s_cbranch_execz .LBB6_14760
.LBB6_14756:                            ;   Parent Loop BB6_47 Depth=1
                                        ;     Parent Loop BB6_14515 Depth=2
                                        ;       Parent Loop BB6_14699 Depth=3
                                        ; =>      This Inner Loop Header: Depth=4
	s_add_co_i32 s73, s73, 1
	s_delay_alu instid0(SALU_CYCLE_1) | instskip(SKIP_1) | instid1(SALU_CYCLE_1)
	s_cmp_lg_u32 s73, 0x2710
	s_cselect_b32 s74, -1, 0
	s_and_b32 vcc_lo, exec_lo, s74
	s_cbranch_vccz .LBB6_14758
; %bb.14757:                            ;   in Loop: Header=BB6_14756 Depth=4
	s_mov_b32 s76, -1
	s_or_b32 s72, s72, exec_lo
	s_and_saveexec_b32 s75, s74
	s_cbranch_execz .LBB6_14755
	s_branch .LBB6_14759
.LBB6_14758:                            ;   in Loop: Header=BB6_14756 Depth=4
	s_trap 2
	ds_load_b64 v[2:3], v0
	s_and_not1_b32 s74, s74, exec_lo
	s_mov_b32 s73, 0
	s_wait_storecnt_dscnt 0x0
	flat_load_b32 v1, v[2:3] scope:SCOPE_SYS
	s_wait_loadcnt_dscnt 0x0
	global_inv scope:SCOPE_SYS
	v_cmp_eq_u32_e32 vcc_lo, 0, v1
	s_and_b32 s75, vcc_lo, exec_lo
	s_delay_alu instid0(SALU_CYCLE_1)
	s_or_b32 s74, s74, s75
	s_mov_b32 s76, -1
	s_or_b32 s72, s72, exec_lo
	s_wait_xcnt 0x0
	s_and_saveexec_b32 s75, s74
	s_cbranch_execz .LBB6_14755
.LBB6_14759:                            ;   in Loop: Header=BB6_14756 Depth=4
	s_sleep 1
	s_trap 2
	ds_load_b64 v[2:3], v0
	s_wait_dscnt 0x0
	s_and_not1_b32 s72, s72, exec_lo
	v_cmp_ge_u64_e32 vcc_lo, v[2:3], v[84:85]
	s_or_not1_b32 s76, vcc_lo, exec_lo
	s_branch .LBB6_14755
.LBB6_14760:                            ;   in Loop: Header=BB6_14699 Depth=3
	s_or_b32 exec_lo, exec_lo, s62
	s_and_saveexec_b32 s62, s63
	s_delay_alu instid0(SALU_CYCLE_1)
	s_xor_b32 s62, exec_lo, s62
	s_cbranch_execz .LBB6_14762
; %bb.14761:                            ;   in Loop: Header=BB6_14699 Depth=3
	ds_store_b32 v0, v118
	s_trap 2
.LBB6_14762:                            ;   in Loop: Header=BB6_14699 Depth=3
	s_or_b32 exec_lo, exec_lo, s43
	;;#ASMSTART
	s_wakeup
	;;#ASMEND
.LBB6_14763:                            ;   in Loop: Header=BB6_14699 Depth=3
	s_or_b32 exec_lo, exec_lo, s42
.LBB6_14764:                            ;   in Loop: Header=BB6_14699 Depth=3
	s_and_not1_saveexec_b32 s29, s29
	s_cbranch_execz .LBB6_14766
; %bb.14765:                            ;   in Loop: Header=BB6_14699 Depth=3
	;;#ASMSTART
	s_waitcnt lgkmcnt(0) vmcnt(0)
	;;#ASMEND
	s_barrier_signal -1
	s_barrier_wait -1
.LBB6_14766:                            ;   in Loop: Header=BB6_14699 Depth=3
	s_or_b32 exec_lo, exec_lo, s29
	v_and_b32_e32 v1, 16, v81
.LBB6_14767:                            ;   in Loop: Header=BB6_14699 Depth=3
	s_or_b32 exec_lo, exec_lo, s13
	s_delay_alu instid0(VALU_DEP_1) | instskip(SKIP_1) | instid1(SALU_CYCLE_1)
	v_cmp_ne_u32_e32 vcc_lo, 0, v1
	s_xor_b32 s13, s4, -1
	s_and_b32 s29, vcc_lo, s13
	s_delay_alu instid0(SALU_CYCLE_1)
	s_and_saveexec_b32 s13, s29
	s_cbranch_execz .LBB6_14769
; %bb.14768:                            ;   in Loop: Header=BB6_14699 Depth=3
	global_wb scope:SCOPE_SYS
	s_wait_storecnt 0x0
	s_wait_loadcnt_dscnt 0x0
	flat_store_b32 v[100:101], v118 scope:SCOPE_SYS
.LBB6_14769:                            ;   in Loop: Header=BB6_14699 Depth=3
	s_wait_xcnt 0x0
	s_or_b32 exec_lo, exec_lo, s13
	v_and_b32_e32 v1, 48, v81
	s_mov_b32 s13, exec_lo
	s_delay_alu instid0(VALU_DEP_1)
	v_cmpx_ne_u32_e32 0, v1
	s_cbranch_execz .LBB6_14698
; %bb.14770:                            ;   in Loop: Header=BB6_14699 Depth=3
	v_add_nc_u64_e32 v[94:95], 2, v[94:95]
	global_wb scope:SCOPE_SYS
	s_wait_storecnt 0x0
	s_wait_loadcnt_dscnt 0x0
	flat_store_b64 v[86:87], v[94:95] scope:SCOPE_SYS
	s_branch .LBB6_14698
.LBB6_14771:                            ;   in Loop: Header=BB6_14515 Depth=2
	s_or_b32 exec_lo, exec_lo, s15
.LBB6_14772:                            ;   in Loop: Header=BB6_14515 Depth=2
	s_delay_alu instid0(SALU_CYCLE_1)
	s_or_b32 exec_lo, exec_lo, s14
	s_add_co_i32 s13, s18, 1
	s_cmp_eq_u32 s18, s58
	s_cbranch_scc1 .LBB6_14774
; %bb.14773:                            ;   in Loop: Header=BB6_14515 Depth=2
	s_mov_b32 s18, s13
	s_branch .LBB6_14515
.LBB6_14774:                            ;   in Loop: Header=BB6_47 Depth=1
	s_clause 0x1
	scratch_load_b64 v[4:5], off, s33 offset:504
	scratch_load_b64 v[0:1], off, s33 offset:496 th:TH_LOAD_LU
	s_wait_loadcnt 0x1
	v_mul_u64_e32 v[2:3], s[40:41], v[4:5]
	s_wait_loadcnt 0x0
	s_delay_alu instid0(VALU_DEP_1) | instskip(NEXT) | instid1(VALU_DEP_1)
	v_sub_nc_u64_e32 v[0:1], v[0:1], v[2:3]
	v_min_i64 v[0:1], v[4:5], v[0:1]
	s_delay_alu instid0(VALU_DEP_1) | instskip(SKIP_1) | instid1(VALU_DEP_2)
	v_max_i32_e32 v12, 0, v0
	v_cmp_lt_i32_e32 vcc_lo, 0, v0
	v_dual_mov_b32 v0, 0 :: v_dual_add_nc_u32 v1, 31, v12
	s_and_b32 s13, s59, vcc_lo
	s_delay_alu instid0(VALU_DEP_1) | instskip(NEXT) | instid1(VALU_DEP_1)
	v_lshrrev_b32_e32 v1, 1, v1
	v_and_b32_e32 v4, 0x3ffffff0, v1
	s_delay_alu instid0(VALU_DEP_1)
	v_dual_mov_b32 v1, 0 :: v_dual_max_i32 v13, s47, v4
	s_wait_xcnt 0x0
	s_and_saveexec_b32 s14, s13
	s_cbranch_execz .LBB6_14914
; %bb.14775:                            ;   in Loop: Header=BB6_47 Depth=1
	v_add_nc_u64_e32 v[4:5], v[2:3], v[104:105]
	v_mov_b32_e32 v0, 0
	s_mov_b32 s29, 1
	s_mov_b32 s18, -1
	s_mov_b32 s15, 0
	s_branch .LBB6_14777
.LBB6_14776:                            ;   in Loop: Header=BB6_14777 Depth=2
	s_wait_xcnt 0x0
	s_or_b32 exec_lo, exec_lo, s13
	v_dual_mov_b32 v1, s29 :: v_dual_add_nc_u32 v0, v13, v0
	s_xor_b32 s13, s18, -1
	s_mov_b32 s18, 0
	s_mov_b32 s29, 2
	s_delay_alu instid0(VALU_DEP_1) | instskip(SKIP_1) | instid1(SALU_CYCLE_1)
	v_cmp_ge_i32_e32 vcc_lo, v0, v12
	s_or_b32 s13, s13, vcc_lo
	s_and_b32 s13, exec_lo, s13
	s_delay_alu instid0(SALU_CYCLE_1) | instskip(NEXT) | instid1(SALU_CYCLE_1)
	s_or_b32 s15, s13, s15
	s_and_not1_b32 exec_lo, exec_lo, s15
	s_cbranch_execz .LBB6_14913
.LBB6_14777:                            ;   Parent Loop BB6_47 Depth=1
                                        ; =>  This Loop Header: Depth=2
                                        ;       Child Loop BB6_14785 Depth 3
                                        ;       Child Loop BB6_14809 Depth 3
	;; [unrolled: 1-line block ×9, first 2 shown]
	s_and_saveexec_b32 s13, s0
	s_cbranch_execz .LBB6_14779
; %bb.14778:                            ;   in Loop: Header=BB6_14777 Depth=2
	s_trap 2
	ds_load_b128 v[6:9], v0
	s_wait_dscnt 0x0
	v_add_nc_u64_e32 v[2:3], v[8:9], v[4:5]
	v_cmp_ne_u64_e32 vcc_lo, 0, v[8:9]
	v_ashrrev_i32_e32 v1, 31, v0
	v_add_nc_u64_e32 v[6:7], v[6:7], v[4:5]
	s_delay_alu instid0(VALU_DEP_2) | instskip(NEXT) | instid1(VALU_DEP_1)
	v_add_nc_u64_e32 v[2:3], v[2:3], v[0:1]
	v_cndmask_b32_e32 v3, 0, v3, vcc_lo
	s_delay_alu instid0(VALU_DEP_3) | instskip(NEXT) | instid1(VALU_DEP_3)
	v_add_nc_u64_e32 v[6:7], v[6:7], v[0:1]
	v_cndmask_b32_e32 v2, 0, v2, vcc_lo
	ds_store_b64 v0, v[6:7]
	ds_store_b64 v0, v[2:3]
.LBB6_14779:                            ;   in Loop: Header=BB6_14777 Depth=2
	s_or_b32 exec_lo, exec_lo, s13
	v_and_b32_e32 v1, 4, v81
	s_mov_b32 s42, exec_lo
	s_delay_alu instid0(VALU_DEP_1)
	v_cmpx_ne_u32_e32 0, v1
	s_cbranch_execz .LBB6_14801
; %bb.14780:                            ;   in Loop: Header=BB6_14777 Depth=2
	v_add_nc_u64_e32 v[2:3], 2, v[94:95]
	s_mov_b32 s43, exec_lo
	s_wait_loadcnt_dscnt 0x1
	s_delay_alu instid0(VALU_DEP_1)
	v_cmpx_lt_u64_e64 v[102:103], v[2:3]
	s_cbranch_execz .LBB6_14792
; %bb.14781:                            ;   in Loop: Header=BB6_14777 Depth=2
	v_and_b32_e32 v1, 64, v81
	s_mov_b32 s62, 0
	s_mov_b32 s74, 0
                                        ; implicit-def: $sgpr63
                                        ; implicit-def: $sgpr72
                                        ; implicit-def: $sgpr73
	s_delay_alu instid0(VALU_DEP_1)
	v_cmp_eq_u32_e32 vcc_lo, 0, v1
	s_branch .LBB6_14785
.LBB6_14782:                            ;   in Loop: Header=BB6_14785 Depth=3
	s_wait_loadcnt_dscnt 0x0
	v_cmp_ge_u64_e64 s13, v[102:103], v[2:3]
	s_or_b32 s77, s77, exec_lo
	s_or_not1_b32 s76, s13, exec_lo
.LBB6_14783:                            ;   in Loop: Header=BB6_14785 Depth=3
	s_or_b32 exec_lo, exec_lo, s79
	s_delay_alu instid0(SALU_CYCLE_1)
	s_and_not1_b32 s13, s73, exec_lo
	s_and_b32 s73, s77, exec_lo
	s_and_not1_b32 s72, s72, exec_lo
	s_and_b32 s76, s76, exec_lo
	s_or_b32 s73, s13, s73
	s_or_b32 s72, s72, s76
.LBB6_14784:                            ;   in Loop: Header=BB6_14785 Depth=3
	s_or_b32 exec_lo, exec_lo, s75
	s_delay_alu instid0(SALU_CYCLE_1) | instskip(NEXT) | instid1(SALU_CYCLE_1)
	s_and_b32 s13, exec_lo, s72
	s_or_b32 s62, s13, s62
	s_and_not1_b32 s13, s63, exec_lo
	s_and_b32 s63, s73, exec_lo
	s_delay_alu instid0(SALU_CYCLE_1)
	s_or_b32 s63, s13, s63
	s_and_not1_b32 exec_lo, exec_lo, s62
	s_cbranch_execz .LBB6_14789
.LBB6_14785:                            ;   Parent Loop BB6_47 Depth=1
                                        ;     Parent Loop BB6_14777 Depth=2
                                        ; =>    This Inner Loop Header: Depth=3
	s_sleep 1
	s_wait_loadcnt_dscnt 0x0
	flat_load_b64 v[102:103], v[86:87] scope:SCOPE_SYS
	s_or_b32 s73, s73, exec_lo
	s_or_b32 s72, s72, exec_lo
                                        ; implicit-def: $vgpr1
	s_wait_xcnt 0x0
	s_and_saveexec_b32 s75, vcc_lo
	s_cbranch_execz .LBB6_14784
; %bb.14786:                            ;   in Loop: Header=BB6_14785 Depth=3
	s_cmp_lt_i32 s74, 0x270f
	s_mov_b32 s76, -1
	s_cselect_b32 s78, -1, 0
	s_cmp_gt_i32 s74, 0x270e
	s_cbranch_scc0 .LBB6_14788
; %bb.14787:                            ;   in Loop: Header=BB6_14785 Depth=3
	s_trap 2
	ds_load_b64 v[6:7], v0
	s_and_not1_b32 s74, s78, exec_lo
	s_mov_b32 s77, 0
	s_wait_storecnt 0x0
	s_wait_loadcnt_dscnt 0x0
	flat_load_b32 v1, v[6:7] scope:SCOPE_SYS
	s_wait_loadcnt_dscnt 0x0
	global_inv scope:SCOPE_SYS
	v_cmp_eq_u32_e64 s13, 0, v1
	s_and_b32 s13, s13, exec_lo
	s_delay_alu instid0(SALU_CYCLE_1)
	s_or_b32 s78, s74, s13
	s_mov_b32 s74, 0
	s_and_saveexec_b32 s79, s78
	s_cbranch_execz .LBB6_14783
	s_branch .LBB6_14782
.LBB6_14788:                            ;   in Loop: Header=BB6_14785 Depth=3
	s_add_co_i32 s74, s74, 1
	s_mov_b32 s77, -1
                                        ; implicit-def: $vgpr1
	s_and_saveexec_b32 s79, s78
	s_cbranch_execz .LBB6_14783
	s_branch .LBB6_14782
.LBB6_14789:                            ;   in Loop: Header=BB6_14777 Depth=2
	s_or_b32 exec_lo, exec_lo, s62
	s_xor_b32 s13, s63, -1
	s_delay_alu instid0(SALU_CYCLE_1) | instskip(NEXT) | instid1(SALU_CYCLE_1)
	s_and_saveexec_b32 s62, s13
	s_xor_b32 s13, exec_lo, s62
	s_cbranch_execz .LBB6_14791
; %bb.14790:                            ;   in Loop: Header=BB6_14777 Depth=2
	v_or_b32_e32 v81, 64, v81
	s_wait_storecnt 0x0
	s_wait_loadcnt_dscnt 0x0
	ds_store_b32 v0, v1
	s_trap 2
.LBB6_14791:                            ;   in Loop: Header=BB6_14777 Depth=2
	s_or_b32 exec_lo, exec_lo, s13
.LBB6_14792:                            ;   in Loop: Header=BB6_14777 Depth=2
	s_delay_alu instid0(SALU_CYCLE_1)
	s_or_b32 exec_lo, exec_lo, s43
	v_and_b32_e32 v1, 0x100, v81
	v_dual_mov_b32 v7, v21 :: v_dual_bitop2_b32 v6, 7, v94 bitop3:0x40
	s_mov_b32 s13, -1
	s_mov_b32 s43, exec_lo
	;;#ASMSTART
	s_wakeup
	;;#ASMEND
                                        ; implicit-def: $vgpr8_vgpr9
	v_cmpx_ne_u32_e32 0, v1
	s_cbranch_execz .LBB6_14796
; %bb.14793:                            ;   in Loop: Header=BB6_14777 Depth=2
	v_mad_nc_u64_u32 v[10:11], v6, 24, v[82:83]
	s_mov_b32 s62, exec_lo
                                        ; implicit-def: $vgpr8_vgpr9
	flat_load_b32 v1, v[10:11]
	s_wait_loadcnt_dscnt 0x0
	v_cmp_ne_u32_e32 vcc_lo, 1, v1
	s_wait_xcnt 0x0
	v_cmpx_eq_u32_e32 1, v1
	s_cbranch_execz .LBB6_14795
; %bb.14794:                            ;   in Loop: Header=BB6_14777 Depth=2
	flat_load_b32 v8, v[10:11] offset:4 scope:SCOPE_SYS
	s_wait_loadcnt_dscnt 0x0
	v_ashrrev_i32_e32 v9, 31, v8
.LBB6_14795:                            ;   in Loop: Header=BB6_14777 Depth=2
	s_wait_xcnt 0x0
	s_or_b32 exec_lo, exec_lo, s62
	s_delay_alu instid0(SALU_CYCLE_1)
	s_or_not1_b32 s13, vcc_lo, exec_lo
.LBB6_14796:                            ;   in Loop: Header=BB6_14777 Depth=2
	s_or_b32 exec_lo, exec_lo, s43
	s_and_saveexec_b32 s43, s13
; %bb.14797:                            ;   in Loop: Header=BB6_14777 Depth=2
	v_mul_u64_e32 v[8:9], v[6:7], v[96:97]
; %bb.14798:                            ;   in Loop: Header=BB6_14777 Depth=2
	s_or_b32 exec_lo, exec_lo, s43
	s_delay_alu instid0(VALU_DEP_1)
	v_add_nc_u64_e32 v[6:7], v[98:99], v[8:9]
	v_and_b32_e32 v1, 0x2000, v81
	s_mov_b32 s13, exec_lo
	ds_store_b64 v0, v[6:7] offset:720
	v_cmpx_ne_u32_e32 0, v1
	s_cbranch_execz .LBB6_14800
; %bb.14799:                            ;   in Loop: Header=BB6_14777 Depth=2
	ds_load_b64 v[6:7], v0 offset:872
	s_wait_dscnt 0x0
	v_add_nc_u64_e32 v[6:7], 1, v[6:7]
	ds_store_b64 v0, v[6:7] offset:872
.LBB6_14800:                            ;   in Loop: Header=BB6_14777 Depth=2
	s_or_b32 exec_lo, exec_lo, s13
	v_mov_b64_e32 v[94:95], v[2:3]
.LBB6_14801:                            ;   in Loop: Header=BB6_14777 Depth=2
	s_or_b32 exec_lo, exec_lo, s42
	s_and_saveexec_b32 s13, s2
	s_cbranch_execz .LBB6_14820
; %bb.14802:                            ;   in Loop: Header=BB6_14777 Depth=2
	s_and_saveexec_b32 s42, s3
	s_delay_alu instid0(SALU_CYCLE_1)
	s_xor_b32 s42, exec_lo, s42
	s_cbranch_execz .LBB6_14817
; %bb.14803:                            ;   in Loop: Header=BB6_14777 Depth=2
	s_and_saveexec_b32 s43, s6
	s_cbranch_execz .LBB6_14816
; %bb.14804:                            ;   in Loop: Header=BB6_14777 Depth=2
	s_mov_b32 s63, exec_lo
	s_mov_b32 s62, exec_lo
	v_mbcnt_lo_u32_b32 v1, s63, 0
	global_wb scope:SCOPE_DEV
	s_wait_storecnt 0x0
	s_wait_loadcnt_dscnt 0x0
	global_inv scope:SCOPE_DEV
	v_cmpx_eq_u32_e32 0, v1
	s_cbranch_execz .LBB6_14806
; %bb.14805:                            ;   in Loop: Header=BB6_14777 Depth=2
	s_bcnt1_i32_b32 s63, s63
	s_delay_alu instid0(SALU_CYCLE_1)
	v_dual_mov_b32 v3, v21 :: v_dual_mov_b32 v2, s63
	s_wait_loadcnt 0x0
	ds_add_u64 v0, v[2:3]
	s_trap 2
.LBB6_14806:                            ;   in Loop: Header=BB6_14777 Depth=2
	s_or_b32 exec_lo, exec_lo, s62
	s_trap 2
	ds_load_b64 v[2:3], v0
	s_wait_dscnt 0x0
	v_add_nc_u64_e32 v[84:85], v[84:85], v[26:27]
	s_mov_b32 s62, exec_lo
	s_delay_alu instid0(VALU_DEP_1)
	v_cmpx_lt_u64_e64 v[2:3], v[84:85]
	s_cbranch_execz .LBB6_14815
; %bb.14807:                            ;   in Loop: Header=BB6_14777 Depth=2
	s_mov_b32 s63, 0
	s_mov_b32 s74, 0
                                        ; implicit-def: $sgpr72
                                        ; implicit-def: $sgpr73
	s_branch .LBB6_14809
.LBB6_14808:                            ;   in Loop: Header=BB6_14809 Depth=3
	s_or_b32 exec_lo, exec_lo, s76
	s_delay_alu instid0(SALU_CYCLE_1) | instskip(NEXT) | instid1(SALU_CYCLE_1)
	s_and_b32 s75, exec_lo, s77
	s_or_b32 s63, s75, s63
	s_and_not1_b32 s72, s72, exec_lo
	s_and_b32 s75, s73, exec_lo
	s_delay_alu instid0(SALU_CYCLE_1)
	s_or_b32 s72, s72, s75
	s_and_not1_b32 exec_lo, exec_lo, s63
	s_cbranch_execz .LBB6_14813
.LBB6_14809:                            ;   Parent Loop BB6_47 Depth=1
                                        ;     Parent Loop BB6_14777 Depth=2
                                        ; =>    This Inner Loop Header: Depth=3
	s_add_co_i32 s74, s74, 1
	s_delay_alu instid0(SALU_CYCLE_1) | instskip(SKIP_1) | instid1(SALU_CYCLE_1)
	s_cmp_lg_u32 s74, 0x2710
	s_cselect_b32 s75, -1, 0
	s_and_b32 vcc_lo, exec_lo, s75
	s_cbranch_vccz .LBB6_14811
; %bb.14810:                            ;   in Loop: Header=BB6_14809 Depth=3
	s_mov_b32 s77, -1
	s_or_b32 s73, s73, exec_lo
	s_and_saveexec_b32 s76, s75
	s_cbranch_execz .LBB6_14808
	s_branch .LBB6_14812
.LBB6_14811:                            ;   in Loop: Header=BB6_14809 Depth=3
	s_trap 2
	ds_load_b64 v[2:3], v0
	s_and_not1_b32 s75, s75, exec_lo
	s_mov_b32 s74, 0
	s_wait_loadcnt_dscnt 0x0
	flat_load_b32 v1, v[2:3] scope:SCOPE_SYS
	s_wait_loadcnt_dscnt 0x0
	global_inv scope:SCOPE_SYS
	v_cmp_eq_u32_e32 vcc_lo, 0, v1
	s_and_b32 s76, vcc_lo, exec_lo
	s_delay_alu instid0(SALU_CYCLE_1)
	s_or_b32 s75, s75, s76
	s_mov_b32 s77, -1
	s_or_b32 s73, s73, exec_lo
	s_and_saveexec_b32 s76, s75
	s_cbranch_execz .LBB6_14808
.LBB6_14812:                            ;   in Loop: Header=BB6_14809 Depth=3
	s_sleep 1
	s_trap 2
	ds_load_b64 v[2:3], v0
	s_wait_dscnt 0x0
	s_and_not1_b32 s73, s73, exec_lo
	v_cmp_ge_u64_e32 vcc_lo, v[2:3], v[84:85]
	s_or_not1_b32 s77, vcc_lo, exec_lo
	s_branch .LBB6_14808
.LBB6_14813:                            ;   in Loop: Header=BB6_14777 Depth=2
	s_or_b32 exec_lo, exec_lo, s63
	s_and_saveexec_b32 s63, s72
	s_delay_alu instid0(SALU_CYCLE_1)
	s_xor_b32 s63, exec_lo, s63
	s_cbranch_execz .LBB6_14815
; %bb.14814:                            ;   in Loop: Header=BB6_14777 Depth=2
	ds_store_b32 v0, v118
	s_trap 2
.LBB6_14815:                            ;   in Loop: Header=BB6_14777 Depth=2
	s_or_b32 exec_lo, exec_lo, s62
	;;#ASMSTART
	s_wakeup
	;;#ASMEND
.LBB6_14816:                            ;   in Loop: Header=BB6_14777 Depth=2
	s_or_b32 exec_lo, exec_lo, s43
.LBB6_14817:                            ;   in Loop: Header=BB6_14777 Depth=2
	s_and_not1_saveexec_b32 s42, s42
	s_cbranch_execz .LBB6_14819
; %bb.14818:                            ;   in Loop: Header=BB6_14777 Depth=2
	global_wb scope:SCOPE_DEV
	s_wait_storecnt 0x0
	s_wait_loadcnt_dscnt 0x0
	global_inv scope:SCOPE_DEV
	s_barrier_signal -1
	s_barrier_wait -1
.LBB6_14819:                            ;   in Loop: Header=BB6_14777 Depth=2
	s_or_b32 exec_lo, exec_lo, s42
.LBB6_14820:                            ;   in Loop: Header=BB6_14777 Depth=2
	s_delay_alu instid0(SALU_CYCLE_1) | instskip(SKIP_4) | instid1(VALU_DEP_1)
	s_or_b32 exec_lo, exec_lo, s13
	s_trap 2
	ds_load_b32 v1, v0
	v_and_b32_e32 v2, 0x4000, v81
	s_xor_b32 s13, s1, -1
	v_cmp_ne_u32_e32 vcc_lo, 0, v2
	s_and_b32 s42, s13, vcc_lo
	s_delay_alu instid0(SALU_CYCLE_1)
	s_and_saveexec_b32 s13, s42
	s_cbranch_execz .LBB6_14839
; %bb.14821:                            ;   in Loop: Header=BB6_14777 Depth=2
	s_and_saveexec_b32 s42, s3
	s_delay_alu instid0(SALU_CYCLE_1)
	s_xor_b32 s42, exec_lo, s42
	s_cbranch_execz .LBB6_14836
; %bb.14822:                            ;   in Loop: Header=BB6_14777 Depth=2
	s_and_saveexec_b32 s43, s6
	s_cbranch_execz .LBB6_14835
; %bb.14823:                            ;   in Loop: Header=BB6_14777 Depth=2
	s_mov_b32 s63, exec_lo
	s_mov_b32 s62, exec_lo
	v_mbcnt_lo_u32_b32 v2, s63, 0
	global_wb scope:SCOPE_DEV
	s_wait_storecnt 0x0
	s_wait_loadcnt_dscnt 0x0
	global_inv scope:SCOPE_DEV
	v_cmpx_eq_u32_e32 0, v2
	s_cbranch_execz .LBB6_14825
; %bb.14824:                            ;   in Loop: Header=BB6_14777 Depth=2
	s_bcnt1_i32_b32 s63, s63
	s_delay_alu instid0(SALU_CYCLE_1)
	v_dual_mov_b32 v3, v21 :: v_dual_mov_b32 v2, s63
	s_wait_loadcnt 0x0
	ds_add_u64 v0, v[2:3]
	s_trap 2
.LBB6_14825:                            ;   in Loop: Header=BB6_14777 Depth=2
	s_or_b32 exec_lo, exec_lo, s62
	s_trap 2
	ds_load_b64 v[2:3], v0
	s_wait_dscnt 0x0
	v_add_nc_u64_e32 v[84:85], v[84:85], v[26:27]
	s_mov_b32 s62, exec_lo
	s_delay_alu instid0(VALU_DEP_1)
	v_cmpx_lt_u64_e64 v[2:3], v[84:85]
	s_cbranch_execz .LBB6_14834
; %bb.14826:                            ;   in Loop: Header=BB6_14777 Depth=2
	s_mov_b32 s63, 0
	s_mov_b32 s74, 0
                                        ; implicit-def: $sgpr72
                                        ; implicit-def: $sgpr73
	s_branch .LBB6_14828
.LBB6_14827:                            ;   in Loop: Header=BB6_14828 Depth=3
	s_or_b32 exec_lo, exec_lo, s76
	s_delay_alu instid0(SALU_CYCLE_1) | instskip(NEXT) | instid1(SALU_CYCLE_1)
	s_and_b32 s75, exec_lo, s77
	s_or_b32 s63, s75, s63
	s_and_not1_b32 s72, s72, exec_lo
	s_and_b32 s75, s73, exec_lo
	s_delay_alu instid0(SALU_CYCLE_1)
	s_or_b32 s72, s72, s75
	s_and_not1_b32 exec_lo, exec_lo, s63
	s_cbranch_execz .LBB6_14832
.LBB6_14828:                            ;   Parent Loop BB6_47 Depth=1
                                        ;     Parent Loop BB6_14777 Depth=2
                                        ; =>    This Inner Loop Header: Depth=3
	s_add_co_i32 s74, s74, 1
	s_delay_alu instid0(SALU_CYCLE_1) | instskip(SKIP_1) | instid1(SALU_CYCLE_1)
	s_cmp_lg_u32 s74, 0x2710
	s_cselect_b32 s75, -1, 0
	s_and_b32 vcc_lo, exec_lo, s75
	s_cbranch_vccz .LBB6_14830
; %bb.14829:                            ;   in Loop: Header=BB6_14828 Depth=3
	s_mov_b32 s77, -1
	s_or_b32 s73, s73, exec_lo
	s_and_saveexec_b32 s76, s75
	s_cbranch_execz .LBB6_14827
	s_branch .LBB6_14831
.LBB6_14830:                            ;   in Loop: Header=BB6_14828 Depth=3
	s_trap 2
	ds_load_b64 v[2:3], v0
	s_and_not1_b32 s75, s75, exec_lo
	s_mov_b32 s74, 0
	s_wait_loadcnt_dscnt 0x0
	flat_load_b32 v2, v[2:3] scope:SCOPE_SYS
	s_wait_loadcnt_dscnt 0x0
	global_inv scope:SCOPE_SYS
	v_cmp_eq_u32_e32 vcc_lo, 0, v2
	s_and_b32 s76, vcc_lo, exec_lo
	s_delay_alu instid0(SALU_CYCLE_1)
	s_or_b32 s75, s75, s76
	s_mov_b32 s77, -1
	s_or_b32 s73, s73, exec_lo
	s_and_saveexec_b32 s76, s75
	s_cbranch_execz .LBB6_14827
.LBB6_14831:                            ;   in Loop: Header=BB6_14828 Depth=3
	s_sleep 1
	s_trap 2
	ds_load_b64 v[2:3], v0
	s_wait_dscnt 0x0
	s_and_not1_b32 s73, s73, exec_lo
	v_cmp_ge_u64_e32 vcc_lo, v[2:3], v[84:85]
	s_or_not1_b32 s77, vcc_lo, exec_lo
	s_branch .LBB6_14827
.LBB6_14832:                            ;   in Loop: Header=BB6_14777 Depth=2
	s_or_b32 exec_lo, exec_lo, s63
	s_and_saveexec_b32 s63, s72
	s_delay_alu instid0(SALU_CYCLE_1)
	s_xor_b32 s63, exec_lo, s63
	s_cbranch_execz .LBB6_14834
; %bb.14833:                            ;   in Loop: Header=BB6_14777 Depth=2
	ds_store_b32 v0, v118
	s_trap 2
.LBB6_14834:                            ;   in Loop: Header=BB6_14777 Depth=2
	s_or_b32 exec_lo, exec_lo, s62
	;;#ASMSTART
	s_wakeup
	;;#ASMEND
.LBB6_14835:                            ;   in Loop: Header=BB6_14777 Depth=2
	s_or_b32 exec_lo, exec_lo, s43
.LBB6_14836:                            ;   in Loop: Header=BB6_14777 Depth=2
	s_and_not1_saveexec_b32 s42, s42
	s_cbranch_execz .LBB6_14838
; %bb.14837:                            ;   in Loop: Header=BB6_14777 Depth=2
	global_wb scope:SCOPE_DEV
	s_wait_storecnt 0x0
	s_wait_loadcnt_dscnt 0x0
	global_inv scope:SCOPE_DEV
	s_barrier_signal -1
	s_barrier_wait -1
.LBB6_14838:                            ;   in Loop: Header=BB6_14777 Depth=2
	s_or_b32 exec_lo, exec_lo, s42
.LBB6_14839:                            ;   in Loop: Header=BB6_14777 Depth=2
	s_delay_alu instid0(SALU_CYCLE_1) | instskip(SKIP_3) | instid1(VALU_DEP_1)
	s_or_b32 exec_lo, exec_lo, s13
	s_trap 2
	ds_load_b64 v[2:3], v0
	v_sub_nc_u32_e32 v6, v12, v0
	v_min_i32_e32 v13, v13, v6
	s_wait_dscnt 0x0
	v_cmp_eq_u64_e32 vcc_lo, 0, v[2:3]
	s_cbranch_vccnz .LBB6_14847
; %bb.14840:                            ;   in Loop: Header=BB6_14777 Depth=2
	s_trap 2
	ds_load_b64 v[6:7], v0
	s_wait_dscnt 0x0
	v_cmp_eq_u64_e32 vcc_lo, 0, v[6:7]
	s_cbranch_vccnz .LBB6_14847
; %bb.14841:                            ;   in Loop: Header=BB6_14777 Depth=2
	s_mov_b32 s13, -1
	s_and_saveexec_b32 s42, s11
	s_cbranch_execz .LBB6_14843
; %bb.14842:                            ;   in Loop: Header=BB6_14777 Depth=2
	ds_load_b32 v8, v0 offset:720
	s_wait_dscnt 0x0
	v_and_b32_e32 v8, 15, v8
	s_delay_alu instid0(VALU_DEP_1)
	v_cmp_eq_u32_e32 vcc_lo, 0, v8
	s_or_not1_b32 s13, vcc_lo, exec_lo
.LBB6_14843:                            ;   in Loop: Header=BB6_14777 Depth=2
	s_or_b32 exec_lo, exec_lo, s42
	s_and_saveexec_b32 s42, s7
	s_cbranch_execz .LBB6_14845
; %bb.14844:                            ;   in Loop: Header=BB6_14777 Depth=2
	ds_load_b32 v8, v0 offset:784
	s_wait_dscnt 0x0
	v_and_b32_e32 v8, 15, v8
	s_delay_alu instid0(VALU_DEP_1) | instskip(SKIP_3) | instid1(SALU_CYCLE_1)
	v_cmp_eq_u32_e32 vcc_lo, 0, v8
	s_and_b32 s43, s13, vcc_lo
	s_and_not1_b32 s13, s13, exec_lo
	s_and_b32 s43, s43, exec_lo
	s_or_b32 s13, s13, s43
.LBB6_14845:                            ;   in Loop: Header=BB6_14777 Depth=2
	s_or_b32 exec_lo, exec_lo, s42
	v_cmp_eq_u32_e32 vcc_lo, 0, v1
	s_xor_b32 s13, s13, -1
	s_mov_b32 s43, -1
	v_cndmask_b32_e64 v8, 0, 1, s13
	v_dual_mov_b32 v10, 0 :: v_dual_cndmask_b32 v1, 0, v13
	v_mov_b32_e32 v14, v80
	s_delay_alu instid0(VALU_DEP_3) | instskip(NEXT) | instid1(VALU_DEP_3)
	v_cmp_ne_u32_e32 vcc_lo, 0, v8
	v_dual_mov_b32 v8, v41 :: v_dual_mov_b32 v11, v1
	s_cbranch_vccz .LBB6_14852
; %bb.14846:                            ;   in Loop: Header=BB6_14777 Depth=2
	s_and_saveexec_b32 s13, s43
	s_cbranch_execnz .LBB6_14865
	s_branch .LBB6_14873
.LBB6_14847:                            ;   in Loop: Header=BB6_14777 Depth=2
	s_mov_b32 s13, 0
	s_and_saveexec_b32 s42, s2
	s_cbranch_execnz .LBB6_14874
.LBB6_14848:                            ;   in Loop: Header=BB6_14777 Depth=2
	s_or_b32 exec_lo, exec_lo, s42
	s_and_saveexec_b32 s42, s10
	s_delay_alu instid0(SALU_CYCLE_1)
	s_xor_b32 s42, exec_lo, s42
	s_cbranch_execz .LBB6_14892
.LBB6_14849:                            ;   in Loop: Header=BB6_14777 Depth=2
	v_and_b32_e32 v1, 16, v81
	s_delay_alu instid0(VALU_DEP_1) | instskip(SKIP_1) | instid1(SALU_CYCLE_1)
	v_cmp_ne_u32_e32 vcc_lo, 0, v1
	s_and_b32 s43, vcc_lo, s13
	s_and_saveexec_b32 s13, s43
	s_cbranch_execz .LBB6_14851
; %bb.14850:                            ;   in Loop: Header=BB6_14777 Depth=2
	global_wb scope:SCOPE_SYS
	s_wait_storecnt 0x0
	s_wait_loadcnt_dscnt 0x0
	global_inv scope:SCOPE_SYS
.LBB6_14851:                            ;   in Loop: Header=BB6_14777 Depth=2
	s_or_b32 exec_lo, exec_lo, s13
	s_and_not1_saveexec_b32 s13, s42
	s_cbranch_execz .LBB6_14911
	s_branch .LBB6_14893
.LBB6_14852:                            ;   in Loop: Header=BB6_14777 Depth=2
	v_ashrrev_i32_e32 v8, 31, v1
	s_mov_b32 s13, exec_lo
	s_delay_alu instid0(VALU_DEP_1) | instskip(NEXT) | instid1(VALU_DEP_1)
	v_lshrrev_b32_e32 v8, 20, v8
	v_add_nc_u32_e32 v8, v1, v8
	s_delay_alu instid0(VALU_DEP_1) | instskip(NEXT) | instid1(VALU_DEP_1)
	v_ashrrev_i32_e32 v14, 12, v8
	v_sub_nc_u32_e32 v16, v14, v41
	s_delay_alu instid0(VALU_DEP_1)
	v_cmpx_lt_i32_e32 0, v16
	s_cbranch_execz .LBB6_14856
; %bb.14853:                            ;   in Loop: Header=BB6_14777 Depth=2
	v_mov_b64_e32 v[8:9], v[6:7]
	v_mov_b64_e32 v[10:11], v[2:3]
	;; [unrolled: 1-line block ×3, first 2 shown]
	s_mov_b32 s42, 0
.LBB6_14854:                            ;   Parent Loop BB6_47 Depth=1
                                        ;     Parent Loop BB6_14777 Depth=2
                                        ; =>    This Inner Loop Header: Depth=3
	s_delay_alu instid0(VALU_DEP_2) | instskip(NEXT) | instid1(VALU_DEP_2)
	v_add_nc_u64_e32 v[18:19], v[76:77], v[10:11]
	v_sub_nc_u32_e32 v16, v16, v38
	v_add_nc_u64_e32 v[10:11], v[10:11], v[44:45]
	s_clause 0x7
	global_load_b128 v[22:25], v[18:19], off th:TH_LOAD_NT
	global_load_b128 v[26:29], v[18:19], off offset:512 th:TH_LOAD_NT
	global_load_b128 v[30:33], v[18:19], off offset:1024 th:TH_LOAD_NT
	;; [unrolled: 1-line block ×7, first 2 shown]
	s_wait_xcnt 0x0
	v_add_nc_u64_e32 v[18:19], v[76:77], v[8:9]
	v_add_nc_u64_e32 v[8:9], v[8:9], v[44:45]
	v_cmp_gt_i32_e32 vcc_lo, 1, v16
	s_wait_loadcnt 0x7
	global_store_b128 v[18:19], v[22:25], off th:TH_STORE_NT
	s_wait_loadcnt 0x6
	global_store_b128 v[18:19], v[26:29], off offset:512 th:TH_STORE_NT
	s_wait_loadcnt 0x5
	global_store_b128 v[18:19], v[30:33], off offset:1024 th:TH_STORE_NT
	;; [unrolled: 2-line block ×7, first 2 shown]
	s_or_b32 s42, vcc_lo, s42
	s_wait_xcnt 0x0
	s_and_not1_b32 exec_lo, exec_lo, s42
	s_cbranch_execnz .LBB6_14854
; %bb.14855:                            ;   in Loop: Header=BB6_14777 Depth=2
	s_or_b32 exec_lo, exec_lo, s42
	v_mov_b64_e32 v[26:27], v[38:39]
.LBB6_14856:                            ;   in Loop: Header=BB6_14777 Depth=2
	s_or_b32 exec_lo, exec_lo, s13
	v_dual_mov_b32 v10, 0 :: v_dual_lshlrev_b32 v15, 12, v14
	s_mov_b32 s43, 0
	s_mov_b32 s42, exec_lo
                                        ; implicit-def: $vgpr11
                                        ; implicit-def: $vgpr14
                                        ; implicit-def: $vgpr8
	s_delay_alu instid0(VALU_DEP_1)
	v_cmpx_ne_u32_e64 v1, v15
	s_cbranch_execz .LBB6_14864
; %bb.14857:                            ;   in Loop: Header=BB6_14777 Depth=2
	scratch_load_b32 v9, off, s33 offset:492 ; 4-byte Folded Reload
	v_dual_lshlrev_b32 v8, 5, v16 :: v_dual_sub_nc_u32 v10, v1, v15
	s_mov_b32 s43, exec_lo
	s_delay_alu instid0(VALU_DEP_1) | instskip(SKIP_1) | instid1(VALU_DEP_1)
	v_ashrrev_i32_e32 v11, 31, v10
	s_wait_loadcnt 0x0
	v_dual_lshrrev_b32 v11, 23, v11 :: v_dual_sub_nc_u32 v8, v9, v8
	s_delay_alu instid0(VALU_DEP_1) | instskip(NEXT) | instid1(VALU_DEP_1)
	v_ashrrev_i32_e32 v9, 31, v8
	v_lshrrev_b32_e32 v9, 27, v9
	s_delay_alu instid0(VALU_DEP_1) | instskip(NEXT) | instid1(VALU_DEP_1)
	v_add_nc_u32_e32 v9, v8, v9
	v_and_b32_e32 v14, 0xffffffe0, v9
	s_delay_alu instid0(VALU_DEP_1) | instskip(NEXT) | instid1(VALU_DEP_1)
	v_dual_add_nc_u32 v11, v10, v11 :: v_dual_sub_nc_u32 v17, v8, v14
	v_and_b32_e32 v16, 0xfffffe00, v11
	v_dual_ashrrev_i32 v9, 5, v9 :: v_dual_ashrrev_i32 v11, 9, v11
	s_delay_alu instid0(VALU_DEP_2) | instskip(NEXT) | instid1(VALU_DEP_1)
	v_dual_lshlrev_b32 v8, 4, v17 :: v_dual_sub_nc_u32 v18, v10, v16
	v_lshl_add_u32 v8, v9, 9, v8
	s_delay_alu instid0(VALU_DEP_2) | instskip(NEXT) | instid1(VALU_DEP_4)
	v_cmp_lt_i32_e32 vcc_lo, 15, v18
	v_add_co_ci_u32_e64 v11, null, 0, v11, vcc_lo
	s_delay_alu instid0(VALU_DEP_1) | instskip(SKIP_1) | instid1(VALU_DEP_1)
	v_dual_sub_nc_u32 v10, v10, v8 :: v_dual_sub_nc_u32 v19, v11, v9
	s_wait_xcnt 0x0
	v_cmpx_lt_i32_e32 15, v10
	s_cbranch_execz .LBB6_14861
; %bb.14858:                            ;   in Loop: Header=BB6_14777 Depth=2
	v_add_nc_u32_e32 v8, v8, v15
	v_mov_b64_e32 v[28:29], v[26:27]
	s_mov_b32 s62, 0
	s_delay_alu instid0(VALU_DEP_2)
	v_ashrrev_i32_e32 v9, 31, v8
.LBB6_14859:                            ;   Parent Loop BB6_47 Depth=1
                                        ;     Parent Loop BB6_14777 Depth=2
                                        ; =>    This Inner Loop Header: Depth=3
	s_delay_alu instid0(VALU_DEP_1) | instskip(NEXT) | instid1(VALU_DEP_3)
	v_add_nc_u64_e32 v[22:23], v[2:3], v[8:9]
	v_dual_sub_nc_u32 v10, v10, v46 :: v_dual_sub_nc_u32 v19, v19, v28
	v_add_nc_u64_e32 v[26:27], v[6:7], v[8:9]
	v_add_nc_u64_e32 v[8:9], v[8:9], v[46:47]
	s_delay_alu instid0(VALU_DEP_3)
	v_cmp_gt_i32_e64 s13, 16, v10
	global_load_b128 v[22:25], v[22:23], off th:TH_LOAD_NT
	s_or_b32 s62, s13, s62
	s_wait_loadcnt 0x0
	global_store_b128 v[26:27], v[22:25], off th:TH_STORE_NT
	s_wait_xcnt 0x0
	s_and_not1_b32 exec_lo, exec_lo, s62
	s_cbranch_execnz .LBB6_14859
; %bb.14860:                            ;   in Loop: Header=BB6_14777 Depth=2
	s_or_b32 exec_lo, exec_lo, s62
	v_mov_b64_e32 v[26:27], v[28:29]
.LBB6_14861:                            ;   in Loop: Header=BB6_14777 Depth=2
	s_or_b32 exec_lo, exec_lo, s43
	v_dual_mov_b32 v10, 0 :: v_dual_bitop2_b32 v9, 15, v1 bitop3:0x40
	s_mov_b32 s43, 0
	s_mov_b32 s62, exec_lo
                                        ; implicit-def: $vgpr14
                                        ; implicit-def: $vgpr8
	s_delay_alu instid0(VALU_DEP_1) | instskip(NEXT) | instid1(VALU_DEP_1)
	v_cndmask_b32_e32 v11, v18, v9, vcc_lo
	v_cmpx_ne_u32_e32 0, v11
	s_cbranch_execz .LBB6_14863
; %bb.14862:                            ;   in Loop: Header=BB6_14777 Depth=2
	v_cmp_lt_i32_e64 s13, 0, v19
	s_mov_b32 s43, exec_lo
	v_dual_sub_nc_u32 v9, v18, v9 :: v_dual_cndmask_b32 v8, 0, v26, s13
	s_delay_alu instid0(VALU_DEP_1) | instskip(NEXT) | instid1(VALU_DEP_1)
	v_dual_cndmask_b32 v9, 0, v9 :: v_dual_sub_nc_u32 v8, v8, v19
	v_add3_u32 v10, v16, v15, v9
	s_delay_alu instid0(VALU_DEP_2) | instskip(NEXT) | instid1(VALU_DEP_1)
	v_lshl_add_u32 v14, v8, 5, v17
	v_ashrrev_i32_e32 v8, 31, v14
	s_delay_alu instid0(VALU_DEP_1) | instskip(NEXT) | instid1(VALU_DEP_1)
	v_lshrrev_b32_e32 v8, 27, v8
	v_add_nc_u32_e32 v8, v14, v8
	s_delay_alu instid0(VALU_DEP_1)
	v_ashrrev_i32_e32 v8, 5, v8
.LBB6_14863:                            ;   in Loop: Header=BB6_14777 Depth=2
	s_or_b32 exec_lo, exec_lo, s62
	s_delay_alu instid0(SALU_CYCLE_1)
	s_and_b32 s43, s43, exec_lo
.LBB6_14864:                            ;   in Loop: Header=BB6_14777 Depth=2
	s_or_b32 exec_lo, exec_lo, s42
	s_and_saveexec_b32 s13, s43
	s_cbranch_execz .LBB6_14873
.LBB6_14865:                            ;   in Loop: Header=BB6_14777 Depth=2
	v_ashrrev_i32_e32 v9, 31, v11
	s_mov_b32 s42, exec_lo
	s_delay_alu instid0(VALU_DEP_1) | instskip(NEXT) | instid1(VALU_DEP_1)
	v_lshrrev_b32_e32 v9, 22, v9
	v_add_nc_u32_e32 v9, v11, v9
	s_delay_alu instid0(VALU_DEP_1) | instskip(NEXT) | instid1(VALU_DEP_1)
	v_dual_ashrrev_i32 v17, 10, v9 :: v_dual_ashrrev_i32 v9, 31, v14
	v_dual_sub_nc_u32 v15, v17, v8 :: v_dual_lshrrev_b32 v16, 27, v9
	s_delay_alu instid0(VALU_DEP_1)
	v_cmpx_lt_i32_e32 0, v15
	s_cbranch_execz .LBB6_14869
; %bb.14866:                            ;   in Loop: Header=BB6_14777 Depth=2
	scratch_load_b64 v[112:113], off, s33 offset:244 ; 8-byte Folded Reload
	v_add_nc_u32_e32 v9, v14, v16
	v_mov_b64_e32 v[70:71], v[26:27]
	s_mov_b32 s43, 0
	v_lshlrev_b32_e32 v8, 10, v8
	s_delay_alu instid0(VALU_DEP_3) | instskip(NEXT) | instid1(VALU_DEP_1)
	v_and_b32_e32 v9, 0xffffffe0, v9
	v_sub_nc_u32_e32 v9, v14, v9
	s_delay_alu instid0(VALU_DEP_1) | instskip(NEXT) | instid1(VALU_DEP_1)
	v_add3_u32 v8, v10, v9, v8
	v_ashrrev_i32_e32 v9, 31, v8
.LBB6_14867:                            ;   Parent Loop BB6_47 Depth=1
                                        ;     Parent Loop BB6_14777 Depth=2
                                        ; =>    This Inner Loop Header: Depth=3
	s_delay_alu instid0(VALU_DEP_1)
	v_add_nc_u64_e32 v[18:19], v[8:9], v[2:3]
	v_sub_nc_u32_e32 v15, v15, v70
	s_wait_loadcnt 0x0
	v_add_nc_u64_e32 v[2:3], v[2:3], v[112:113]
	s_clause 0x1f
	flat_load_u8 v20, v[18:19] th:TH_LOAD_NT
	flat_load_u8 v22, v[18:19] offset:32 th:TH_LOAD_NT
	flat_load_u8 v23, v[18:19] offset:64 th:TH_LOAD_NT
	;; [unrolled: 1-line block ×31, first 2 shown]
	s_wait_xcnt 0x0
	v_add_nc_u64_e32 v[18:19], v[8:9], v[6:7]
	v_add_nc_u64_e32 v[6:7], v[6:7], v[112:113]
	v_cmp_gt_i32_e32 vcc_lo, 1, v15
	s_wait_loadcnt_dscnt 0x1f1f
	flat_store_b8 v[18:19], v20 th:TH_STORE_NT
	s_wait_loadcnt_dscnt 0x1e1f
	flat_store_b8 v[18:19], v22 offset:32 th:TH_STORE_NT
	s_wait_loadcnt_dscnt 0x1d1f
	flat_store_b8 v[18:19], v23 offset:64 th:TH_STORE_NT
	;; [unrolled: 2-line block ×31, first 2 shown]
	s_or_b32 s43, vcc_lo, s43
	s_wait_xcnt 0x0
	s_and_not1_b32 exec_lo, exec_lo, s43
	s_cbranch_execnz .LBB6_14867
; %bb.14868:                            ;   in Loop: Header=BB6_14777 Depth=2
	s_or_b32 exec_lo, exec_lo, s43
	v_mov_b64_e32 v[26:27], v[70:71]
.LBB6_14869:                            ;   in Loop: Header=BB6_14777 Depth=2
	s_or_b32 exec_lo, exec_lo, s42
	v_lshlrev_b32_e32 v2, 10, v17
	s_delay_alu instid0(VALU_DEP_1)
	v_cmp_ne_u32_e32 vcc_lo, v11, v2
	s_and_b32 exec_lo, exec_lo, vcc_lo
	s_cbranch_execz .LBB6_14873
; %bb.14870:                            ;   in Loop: Header=BB6_14777 Depth=2
	v_dual_add_nc_u32 v3, v14, v16 :: v_dual_lshlrev_b32 v6, 5, v15
	s_delay_alu instid0(VALU_DEP_1) | instskip(NEXT) | instid1(VALU_DEP_1)
	v_and_b32_e32 v3, 0xffffffe0, v3
	v_sub_nc_u32_e32 v3, v14, v3
	s_delay_alu instid0(VALU_DEP_1) | instskip(NEXT) | instid1(VALU_DEP_1)
	v_sub_nc_u32_e32 v3, v3, v6
	v_add_nc_u32_e32 v6, v2, v3
	s_delay_alu instid0(VALU_DEP_1) | instskip(NEXT) | instid1(VALU_DEP_1)
	v_sub_nc_u32_e32 v8, v11, v6
	v_cmp_lt_i32_e32 vcc_lo, 0, v8
	s_and_b32 exec_lo, exec_lo, vcc_lo
	s_cbranch_execz .LBB6_14873
; %bb.14871:                            ;   in Loop: Header=BB6_14777 Depth=2
	s_trap 2
	ds_load_b64 v[2:3], v0
	v_add_nc_u32_e32 v6, v6, v10
	s_mov_b32 s42, 0
	s_delay_alu instid0(VALU_DEP_1)
	v_ashrrev_i32_e32 v7, 31, v6
.LBB6_14872:                            ;   Parent Loop BB6_47 Depth=1
                                        ;     Parent Loop BB6_14777 Depth=2
                                        ; =>    This Inner Loop Header: Depth=3
	s_wait_dscnt 0x0
	s_delay_alu instid0(VALU_DEP_1) | instskip(SKIP_2) | instid1(VALU_DEP_2)
	v_add_nc_u64_e32 v[10:11], v[2:3], v[6:7]
	v_sub_nc_u32_e32 v8, v8, v114
	v_add_nc_u64_e32 v[6:7], v[6:7], v[114:115]
	v_cmp_gt_i32_e32 vcc_lo, 1, v8
	flat_load_u8 v9, v[10:11] th:TH_LOAD_NT
	s_or_b32 s42, vcc_lo, s42
	s_wait_loadcnt_dscnt 0x0
	flat_store_b8 v[10:11], v9 th:TH_STORE_NT
	s_wait_xcnt 0x0
	s_and_not1_b32 exec_lo, exec_lo, s42
	s_cbranch_execnz .LBB6_14872
.LBB6_14873:                            ;   in Loop: Header=BB6_14777 Depth=2
	s_or_b32 exec_lo, exec_lo, s13
	v_cmp_lt_i32_e64 s13, 0, v1
	s_and_saveexec_b32 s42, s2
	s_cbranch_execz .LBB6_14848
.LBB6_14874:                            ;   in Loop: Header=BB6_14777 Depth=2
	s_and_saveexec_b32 s43, s3
	s_delay_alu instid0(SALU_CYCLE_1)
	s_xor_b32 s43, exec_lo, s43
	s_cbranch_execz .LBB6_14889
; %bb.14875:                            ;   in Loop: Header=BB6_14777 Depth=2
	s_and_saveexec_b32 s62, s6
	s_cbranch_execz .LBB6_14888
; %bb.14876:                            ;   in Loop: Header=BB6_14777 Depth=2
	s_mov_b32 s72, exec_lo
	s_mov_b32 s63, exec_lo
	v_mbcnt_lo_u32_b32 v1, s72, 0
	global_wb scope:SCOPE_DEV
	s_wait_storecnt 0x0
	s_wait_loadcnt_dscnt 0x0
	global_inv scope:SCOPE_DEV
	v_cmpx_eq_u32_e32 0, v1
	s_cbranch_execz .LBB6_14878
; %bb.14877:                            ;   in Loop: Header=BB6_14777 Depth=2
	s_bcnt1_i32_b32 s72, s72
	s_delay_alu instid0(SALU_CYCLE_1)
	v_dual_mov_b32 v3, v21 :: v_dual_mov_b32 v2, s72
	s_wait_loadcnt 0x0
	ds_add_u64 v0, v[2:3]
	s_trap 2
.LBB6_14878:                            ;   in Loop: Header=BB6_14777 Depth=2
	s_or_b32 exec_lo, exec_lo, s63
	s_trap 2
	ds_load_b64 v[2:3], v0
	s_wait_dscnt 0x0
	v_add_nc_u64_e32 v[84:85], v[84:85], v[26:27]
	s_mov_b32 s63, exec_lo
	s_delay_alu instid0(VALU_DEP_1)
	v_cmpx_lt_u64_e64 v[2:3], v[84:85]
	s_cbranch_execz .LBB6_14887
; %bb.14879:                            ;   in Loop: Header=BB6_14777 Depth=2
	s_mov_b32 s72, 0
	s_mov_b32 s75, 0
                                        ; implicit-def: $sgpr73
                                        ; implicit-def: $sgpr74
	s_branch .LBB6_14881
.LBB6_14880:                            ;   in Loop: Header=BB6_14881 Depth=3
	s_or_b32 exec_lo, exec_lo, s77
	s_delay_alu instid0(SALU_CYCLE_1) | instskip(NEXT) | instid1(SALU_CYCLE_1)
	s_and_b32 s76, exec_lo, s78
	s_or_b32 s72, s76, s72
	s_and_not1_b32 s73, s73, exec_lo
	s_and_b32 s76, s74, exec_lo
	s_delay_alu instid0(SALU_CYCLE_1)
	s_or_b32 s73, s73, s76
	s_and_not1_b32 exec_lo, exec_lo, s72
	s_cbranch_execz .LBB6_14885
.LBB6_14881:                            ;   Parent Loop BB6_47 Depth=1
                                        ;     Parent Loop BB6_14777 Depth=2
                                        ; =>    This Inner Loop Header: Depth=3
	s_add_co_i32 s75, s75, 1
	s_delay_alu instid0(SALU_CYCLE_1) | instskip(SKIP_1) | instid1(SALU_CYCLE_1)
	s_cmp_lg_u32 s75, 0x2710
	s_cselect_b32 s76, -1, 0
	s_and_b32 vcc_lo, exec_lo, s76
	s_cbranch_vccz .LBB6_14883
; %bb.14882:                            ;   in Loop: Header=BB6_14881 Depth=3
	s_mov_b32 s78, -1
	s_or_b32 s74, s74, exec_lo
	s_and_saveexec_b32 s77, s76
	s_cbranch_execz .LBB6_14880
	s_branch .LBB6_14884
.LBB6_14883:                            ;   in Loop: Header=BB6_14881 Depth=3
	s_trap 2
	ds_load_b64 v[2:3], v0
	s_and_not1_b32 s76, s76, exec_lo
	s_mov_b32 s75, 0
	s_wait_loadcnt_dscnt 0x0
	flat_load_b32 v1, v[2:3] scope:SCOPE_SYS
	s_wait_loadcnt_dscnt 0x0
	global_inv scope:SCOPE_SYS
	v_cmp_eq_u32_e32 vcc_lo, 0, v1
	s_and_b32 s77, vcc_lo, exec_lo
	s_delay_alu instid0(SALU_CYCLE_1)
	s_or_b32 s76, s76, s77
	s_mov_b32 s78, -1
	s_or_b32 s74, s74, exec_lo
	s_and_saveexec_b32 s77, s76
	s_cbranch_execz .LBB6_14880
.LBB6_14884:                            ;   in Loop: Header=BB6_14881 Depth=3
	s_sleep 1
	s_trap 2
	ds_load_b64 v[2:3], v0
	s_wait_dscnt 0x0
	s_and_not1_b32 s74, s74, exec_lo
	v_cmp_ge_u64_e32 vcc_lo, v[2:3], v[84:85]
	s_or_not1_b32 s78, vcc_lo, exec_lo
	s_branch .LBB6_14880
.LBB6_14885:                            ;   in Loop: Header=BB6_14777 Depth=2
	s_or_b32 exec_lo, exec_lo, s72
	s_and_saveexec_b32 s72, s73
	s_delay_alu instid0(SALU_CYCLE_1)
	s_xor_b32 s72, exec_lo, s72
	s_cbranch_execz .LBB6_14887
; %bb.14886:                            ;   in Loop: Header=BB6_14777 Depth=2
	ds_store_b32 v0, v118
	s_trap 2
.LBB6_14887:                            ;   in Loop: Header=BB6_14777 Depth=2
	s_or_b32 exec_lo, exec_lo, s63
	;;#ASMSTART
	s_wakeup
	;;#ASMEND
.LBB6_14888:                            ;   in Loop: Header=BB6_14777 Depth=2
	s_or_b32 exec_lo, exec_lo, s62
.LBB6_14889:                            ;   in Loop: Header=BB6_14777 Depth=2
	s_and_not1_saveexec_b32 s43, s43
	s_cbranch_execz .LBB6_14891
; %bb.14890:                            ;   in Loop: Header=BB6_14777 Depth=2
	global_wb scope:SCOPE_DEV
	s_wait_storecnt 0x0
	s_wait_loadcnt_dscnt 0x0
	global_inv scope:SCOPE_DEV
	s_barrier_signal -1
	s_barrier_wait -1
.LBB6_14891:                            ;   in Loop: Header=BB6_14777 Depth=2
	s_or_b32 exec_lo, exec_lo, s43
	s_delay_alu instid0(SALU_CYCLE_1) | instskip(SKIP_1) | instid1(SALU_CYCLE_1)
	s_or_b32 exec_lo, exec_lo, s42
	s_and_saveexec_b32 s42, s10
	s_xor_b32 s42, exec_lo, s42
	s_cbranch_execnz .LBB6_14849
.LBB6_14892:                            ;   in Loop: Header=BB6_14777 Depth=2
	s_and_not1_saveexec_b32 s13, s42
	s_cbranch_execz .LBB6_14911
.LBB6_14893:                            ;   in Loop: Header=BB6_14777 Depth=2
	s_and_saveexec_b32 s42, s3
	s_delay_alu instid0(SALU_CYCLE_1)
	s_xor_b32 s42, exec_lo, s42
	s_cbranch_execz .LBB6_14908
; %bb.14894:                            ;   in Loop: Header=BB6_14777 Depth=2
	s_and_saveexec_b32 s43, s6
	s_cbranch_execz .LBB6_14907
; %bb.14895:                            ;   in Loop: Header=BB6_14777 Depth=2
	s_mov_b32 s63, exec_lo
	s_mov_b32 s62, exec_lo
	v_mbcnt_lo_u32_b32 v1, s63, 0
	;;#ASMSTART
	s_waitcnt lgkmcnt(0) vmcnt(0)
	;;#ASMEND
	s_delay_alu instid0(VALU_DEP_1)
	v_cmpx_eq_u32_e32 0, v1
	s_cbranch_execz .LBB6_14897
; %bb.14896:                            ;   in Loop: Header=BB6_14777 Depth=2
	s_bcnt1_i32_b32 s63, s63
	s_delay_alu instid0(SALU_CYCLE_1)
	v_dual_mov_b32 v3, v21 :: v_dual_mov_b32 v2, s63
	s_wait_storecnt 0x0
	s_wait_loadcnt_dscnt 0x0
	ds_add_u64 v0, v[2:3]
	s_trap 2
.LBB6_14897:                            ;   in Loop: Header=BB6_14777 Depth=2
	s_or_b32 exec_lo, exec_lo, s62
	s_trap 2
	ds_load_b64 v[2:3], v0
	s_wait_dscnt 0x0
	v_add_nc_u64_e32 v[84:85], v[84:85], v[26:27]
	s_mov_b32 s62, exec_lo
	s_delay_alu instid0(VALU_DEP_1)
	v_cmpx_lt_u64_e64 v[2:3], v[84:85]
	s_cbranch_execz .LBB6_14906
; %bb.14898:                            ;   in Loop: Header=BB6_14777 Depth=2
	s_mov_b32 s63, 0
	s_mov_b32 s74, 0
                                        ; implicit-def: $sgpr72
                                        ; implicit-def: $sgpr73
	s_branch .LBB6_14900
.LBB6_14899:                            ;   in Loop: Header=BB6_14900 Depth=3
	s_or_b32 exec_lo, exec_lo, s76
	s_delay_alu instid0(SALU_CYCLE_1) | instskip(NEXT) | instid1(SALU_CYCLE_1)
	s_and_b32 s75, exec_lo, s77
	s_or_b32 s63, s75, s63
	s_and_not1_b32 s72, s72, exec_lo
	s_and_b32 s75, s73, exec_lo
	s_delay_alu instid0(SALU_CYCLE_1)
	s_or_b32 s72, s72, s75
	s_and_not1_b32 exec_lo, exec_lo, s63
	s_cbranch_execz .LBB6_14904
.LBB6_14900:                            ;   Parent Loop BB6_47 Depth=1
                                        ;     Parent Loop BB6_14777 Depth=2
                                        ; =>    This Inner Loop Header: Depth=3
	s_add_co_i32 s74, s74, 1
	s_delay_alu instid0(SALU_CYCLE_1) | instskip(SKIP_1) | instid1(SALU_CYCLE_1)
	s_cmp_lg_u32 s74, 0x2710
	s_cselect_b32 s75, -1, 0
	s_and_b32 vcc_lo, exec_lo, s75
	s_cbranch_vccz .LBB6_14902
; %bb.14901:                            ;   in Loop: Header=BB6_14900 Depth=3
	s_mov_b32 s77, -1
	s_or_b32 s73, s73, exec_lo
	s_and_saveexec_b32 s76, s75
	s_cbranch_execz .LBB6_14899
	s_branch .LBB6_14903
.LBB6_14902:                            ;   in Loop: Header=BB6_14900 Depth=3
	s_trap 2
	ds_load_b64 v[2:3], v0
	s_and_not1_b32 s75, s75, exec_lo
	s_mov_b32 s74, 0
	s_wait_storecnt 0x0
	s_wait_loadcnt_dscnt 0x0
	flat_load_b32 v1, v[2:3] scope:SCOPE_SYS
	s_wait_loadcnt_dscnt 0x0
	global_inv scope:SCOPE_SYS
	v_cmp_eq_u32_e32 vcc_lo, 0, v1
	s_and_b32 s76, vcc_lo, exec_lo
	s_delay_alu instid0(SALU_CYCLE_1)
	s_or_b32 s75, s75, s76
	s_mov_b32 s77, -1
	s_or_b32 s73, s73, exec_lo
	s_and_saveexec_b32 s76, s75
	s_cbranch_execz .LBB6_14899
.LBB6_14903:                            ;   in Loop: Header=BB6_14900 Depth=3
	s_sleep 1
	s_trap 2
	ds_load_b64 v[2:3], v0
	s_wait_dscnt 0x0
	s_and_not1_b32 s73, s73, exec_lo
	v_cmp_ge_u64_e32 vcc_lo, v[2:3], v[84:85]
	s_or_not1_b32 s77, vcc_lo, exec_lo
	s_branch .LBB6_14899
.LBB6_14904:                            ;   in Loop: Header=BB6_14777 Depth=2
	s_or_b32 exec_lo, exec_lo, s63
	s_and_saveexec_b32 s63, s72
	s_delay_alu instid0(SALU_CYCLE_1)
	s_xor_b32 s63, exec_lo, s63
	s_cbranch_execz .LBB6_14906
; %bb.14905:                            ;   in Loop: Header=BB6_14777 Depth=2
	ds_store_b32 v0, v118
	s_trap 2
.LBB6_14906:                            ;   in Loop: Header=BB6_14777 Depth=2
	s_or_b32 exec_lo, exec_lo, s62
	;;#ASMSTART
	s_wakeup
	;;#ASMEND
.LBB6_14907:                            ;   in Loop: Header=BB6_14777 Depth=2
	s_or_b32 exec_lo, exec_lo, s43
.LBB6_14908:                            ;   in Loop: Header=BB6_14777 Depth=2
	s_and_not1_saveexec_b32 s42, s42
	s_cbranch_execz .LBB6_14910
; %bb.14909:                            ;   in Loop: Header=BB6_14777 Depth=2
	;;#ASMSTART
	s_waitcnt lgkmcnt(0) vmcnt(0)
	;;#ASMEND
	s_barrier_signal -1
	s_barrier_wait -1
.LBB6_14910:                            ;   in Loop: Header=BB6_14777 Depth=2
	s_or_b32 exec_lo, exec_lo, s42
.LBB6_14911:                            ;   in Loop: Header=BB6_14777 Depth=2
	s_delay_alu instid0(SALU_CYCLE_1) | instskip(SKIP_2) | instid1(VALU_DEP_1)
	s_or_b32 exec_lo, exec_lo, s13
	v_and_b32_e32 v1, 32, v81
	s_mov_b32 s13, exec_lo
	v_cmpx_ne_u32_e32 0, v1
	s_cbranch_execz .LBB6_14776
; %bb.14912:                            ;   in Loop: Header=BB6_14777 Depth=2
	v_add_nc_u64_e32 v[94:95], 2, v[94:95]
	global_wb scope:SCOPE_SYS
	s_wait_storecnt 0x0
	s_wait_loadcnt_dscnt 0x0
	flat_store_b64 v[86:87], v[94:95] scope:SCOPE_SYS
	s_branch .LBB6_14776
.LBB6_14913:                            ;   in Loop: Header=BB6_47 Depth=1
	s_or_b32 exec_lo, exec_lo, s15
.LBB6_14914:                            ;   in Loop: Header=BB6_47 Depth=1
	s_delay_alu instid0(SALU_CYCLE_1) | instskip(NEXT) | instid1(SALU_CYCLE_1)
	s_or_b32 exec_lo, exec_lo, s14
	s_mov_b32 s14, exec_lo
	v_cmpx_gt_i32_e32 2, v1
	s_cbranch_execnz .LBB6_14915
; %bb.15085:                            ;   in Loop: Header=BB6_47 Depth=1
	s_add_pc_i64 .LBB6_46-.Lpost_addpc52
.Lpost_addpc52:
.LBB6_14915:                            ;   in Loop: Header=BB6_47 Depth=1
	v_cmp_eq_u32_e64 s18, 0, v1
	s_mov_b32 s15, 0
	s_branch .LBB6_14917
.LBB6_14916:                            ;   in Loop: Header=BB6_14917 Depth=2
	s_wait_xcnt 0x0
	s_or_b32 exec_lo, exec_lo, s13
	v_add_nc_u32_e32 v0, v13, v0
	s_mov_b32 s18, 0
	s_and_not1_b32 exec_lo, exec_lo, s15
	s_cbranch_execnz .LBB6_14917
; %bb.15087:                            ;   in Loop: Header=BB6_47 Depth=1
	s_add_pc_i64 .LBB6_45-.Lpost_addpc53
.Lpost_addpc53:
.LBB6_14917:                            ;   Parent Loop BB6_47 Depth=1
                                        ; =>  This Loop Header: Depth=2
                                        ;       Child Loop BB6_14923 Depth 3
                                        ;       Child Loop BB6_14947 Depth 3
	;; [unrolled: 1-line block ×3, first 2 shown]
	v_and_b32_e32 v1, 4, v81
	s_mov_b32 s29, exec_lo
	s_delay_alu instid0(VALU_DEP_1)
	v_cmpx_ne_u32_e32 0, v1
	s_cbranch_execz .LBB6_14939
; %bb.14918:                            ;   in Loop: Header=BB6_14917 Depth=2
	v_add_nc_u64_e32 v[2:3], 2, v[94:95]
	s_mov_b32 s42, exec_lo
	s_wait_loadcnt_dscnt 0x1
	s_delay_alu instid0(VALU_DEP_1)
	v_cmpx_lt_u64_e64 v[102:103], v[2:3]
	s_cbranch_execz .LBB6_14930
; %bb.14919:                            ;   in Loop: Header=BB6_14917 Depth=2
	v_and_b32_e32 v1, 64, v81
	s_mov_b32 s43, 0
	s_mov_b32 s73, 0
                                        ; implicit-def: $sgpr62
                                        ; implicit-def: $sgpr63
                                        ; implicit-def: $sgpr72
	s_delay_alu instid0(VALU_DEP_1)
	v_cmp_eq_u32_e32 vcc_lo, 0, v1
	s_branch .LBB6_14923
.LBB6_14920:                            ;   in Loop: Header=BB6_14923 Depth=3
	s_wait_loadcnt_dscnt 0x0
	v_cmp_ge_u64_e64 s13, v[102:103], v[2:3]
	s_or_b32 s76, s76, exec_lo
	s_or_not1_b32 s75, s13, exec_lo
.LBB6_14921:                            ;   in Loop: Header=BB6_14923 Depth=3
	s_or_b32 exec_lo, exec_lo, s78
	s_delay_alu instid0(SALU_CYCLE_1)
	s_and_not1_b32 s13, s72, exec_lo
	s_and_b32 s72, s76, exec_lo
	s_and_not1_b32 s63, s63, exec_lo
	s_and_b32 s75, s75, exec_lo
	s_or_b32 s72, s13, s72
	s_or_b32 s63, s63, s75
.LBB6_14922:                            ;   in Loop: Header=BB6_14923 Depth=3
	s_or_b32 exec_lo, exec_lo, s74
	s_delay_alu instid0(SALU_CYCLE_1) | instskip(NEXT) | instid1(SALU_CYCLE_1)
	s_and_b32 s13, exec_lo, s63
	s_or_b32 s43, s13, s43
	s_and_not1_b32 s13, s62, exec_lo
	s_and_b32 s62, s72, exec_lo
	s_delay_alu instid0(SALU_CYCLE_1)
	s_or_b32 s62, s13, s62
	s_and_not1_b32 exec_lo, exec_lo, s43
	s_cbranch_execz .LBB6_14927
.LBB6_14923:                            ;   Parent Loop BB6_47 Depth=1
                                        ;     Parent Loop BB6_14917 Depth=2
                                        ; =>    This Inner Loop Header: Depth=3
	s_sleep 1
	s_wait_loadcnt_dscnt 0x0
	flat_load_b64 v[102:103], v[86:87] scope:SCOPE_SYS
	s_or_b32 s72, s72, exec_lo
	s_or_b32 s63, s63, exec_lo
                                        ; implicit-def: $vgpr1
	s_wait_xcnt 0x0
	s_and_saveexec_b32 s74, vcc_lo
	s_cbranch_execz .LBB6_14922
; %bb.14924:                            ;   in Loop: Header=BB6_14923 Depth=3
	s_cmp_lt_i32 s73, 0x270f
	s_mov_b32 s75, -1
	s_cselect_b32 s77, -1, 0
	s_cmp_gt_i32 s73, 0x270e
	s_cbranch_scc0 .LBB6_14926
; %bb.14925:                            ;   in Loop: Header=BB6_14923 Depth=3
	s_trap 2
	ds_load_b64 v[4:5], v0
	s_and_not1_b32 s73, s77, exec_lo
	s_mov_b32 s76, 0
	s_wait_storecnt 0x0
	s_wait_loadcnt_dscnt 0x0
	flat_load_b32 v1, v[4:5] scope:SCOPE_SYS
	s_wait_loadcnt_dscnt 0x0
	global_inv scope:SCOPE_SYS
	v_cmp_eq_u32_e64 s13, 0, v1
	s_and_b32 s13, s13, exec_lo
	s_delay_alu instid0(SALU_CYCLE_1)
	s_or_b32 s77, s73, s13
	s_mov_b32 s73, 0
	s_and_saveexec_b32 s78, s77
	s_cbranch_execz .LBB6_14921
	s_branch .LBB6_14920
.LBB6_14926:                            ;   in Loop: Header=BB6_14923 Depth=3
	s_add_co_i32 s73, s73, 1
	s_mov_b32 s76, -1
                                        ; implicit-def: $vgpr1
	s_and_saveexec_b32 s78, s77
	s_cbranch_execz .LBB6_14921
	s_branch .LBB6_14920
.LBB6_14927:                            ;   in Loop: Header=BB6_14917 Depth=2
	s_or_b32 exec_lo, exec_lo, s43
	s_xor_b32 s13, s62, -1
	s_delay_alu instid0(SALU_CYCLE_1) | instskip(NEXT) | instid1(SALU_CYCLE_1)
	s_and_saveexec_b32 s43, s13
	s_xor_b32 s13, exec_lo, s43
	s_cbranch_execz .LBB6_14929
; %bb.14928:                            ;   in Loop: Header=BB6_14917 Depth=2
	v_or_b32_e32 v81, 64, v81
	s_wait_storecnt 0x0
	s_wait_loadcnt_dscnt 0x0
	ds_store_b32 v0, v1
	s_trap 2
.LBB6_14929:                            ;   in Loop: Header=BB6_14917 Depth=2
	s_or_b32 exec_lo, exec_lo, s13
.LBB6_14930:                            ;   in Loop: Header=BB6_14917 Depth=2
	s_delay_alu instid0(SALU_CYCLE_1)
	s_or_b32 exec_lo, exec_lo, s42
	v_and_b32_e32 v1, 0x100, v81
	v_dual_mov_b32 v5, v21 :: v_dual_bitop2_b32 v4, 7, v94 bitop3:0x40
	s_mov_b32 s13, -1
	s_mov_b32 s42, exec_lo
	;;#ASMSTART
	s_wakeup
	;;#ASMEND
                                        ; implicit-def: $vgpr6_vgpr7
	v_cmpx_ne_u32_e32 0, v1
	s_cbranch_execz .LBB6_14934
; %bb.14931:                            ;   in Loop: Header=BB6_14917 Depth=2
	v_mad_nc_u64_u32 v[8:9], v4, 24, v[82:83]
	s_mov_b32 s43, exec_lo
                                        ; implicit-def: $vgpr6_vgpr7
	flat_load_b32 v1, v[8:9]
	s_wait_loadcnt_dscnt 0x0
	v_cmp_ne_u32_e32 vcc_lo, 1, v1
	s_wait_xcnt 0x0
	v_cmpx_eq_u32_e32 1, v1
	s_cbranch_execz .LBB6_14933
; %bb.14932:                            ;   in Loop: Header=BB6_14917 Depth=2
	flat_load_b32 v6, v[8:9] offset:4 scope:SCOPE_SYS
	s_wait_loadcnt_dscnt 0x0
	v_ashrrev_i32_e32 v7, 31, v6
.LBB6_14933:                            ;   in Loop: Header=BB6_14917 Depth=2
	s_wait_xcnt 0x0
	s_or_b32 exec_lo, exec_lo, s43
	s_delay_alu instid0(SALU_CYCLE_1)
	s_or_not1_b32 s13, vcc_lo, exec_lo
.LBB6_14934:                            ;   in Loop: Header=BB6_14917 Depth=2
	s_or_b32 exec_lo, exec_lo, s42
	s_and_saveexec_b32 s42, s13
; %bb.14935:                            ;   in Loop: Header=BB6_14917 Depth=2
	v_mul_u64_e32 v[6:7], v[4:5], v[96:97]
; %bb.14936:                            ;   in Loop: Header=BB6_14917 Depth=2
	s_or_b32 exec_lo, exec_lo, s42
	s_delay_alu instid0(VALU_DEP_1)
	v_add_nc_u64_e32 v[4:5], v[98:99], v[6:7]
	v_and_b32_e32 v1, 0x2000, v81
	s_mov_b32 s13, exec_lo
	ds_store_b64 v0, v[4:5] offset:720
	v_cmpx_ne_u32_e32 0, v1
	s_cbranch_execz .LBB6_14938
; %bb.14937:                            ;   in Loop: Header=BB6_14917 Depth=2
	ds_load_b64 v[4:5], v0 offset:872
	s_wait_dscnt 0x0
	v_add_nc_u64_e32 v[4:5], 1, v[4:5]
	ds_store_b64 v0, v[4:5] offset:872
.LBB6_14938:                            ;   in Loop: Header=BB6_14917 Depth=2
	s_or_b32 exec_lo, exec_lo, s13
	v_mov_b64_e32 v[94:95], v[2:3]
.LBB6_14939:                            ;   in Loop: Header=BB6_14917 Depth=2
	s_or_b32 exec_lo, exec_lo, s29
	s_xor_b32 s13, s18, -1
	s_delay_alu instid0(SALU_CYCLE_1) | instskip(NEXT) | instid1(SALU_CYCLE_1)
	s_and_b32 s13, exec_lo, s13
	s_or_b32 s15, s13, s15
	s_and_saveexec_b32 s13, s2
	s_cbranch_execz .LBB6_14958
; %bb.14940:                            ;   in Loop: Header=BB6_14917 Depth=2
	s_and_saveexec_b32 s18, s3
	s_delay_alu instid0(SALU_CYCLE_1)
	s_xor_b32 s18, exec_lo, s18
	s_cbranch_execz .LBB6_14955
; %bb.14941:                            ;   in Loop: Header=BB6_14917 Depth=2
	s_and_saveexec_b32 s29, s6
	s_cbranch_execz .LBB6_14954
; %bb.14942:                            ;   in Loop: Header=BB6_14917 Depth=2
	s_mov_b32 s43, exec_lo
	s_mov_b32 s42, exec_lo
	v_mbcnt_lo_u32_b32 v1, s43, 0
	global_wb scope:SCOPE_DEV
	s_wait_storecnt 0x0
	s_wait_loadcnt_dscnt 0x0
	global_inv scope:SCOPE_DEV
	v_cmpx_eq_u32_e32 0, v1
	s_cbranch_execz .LBB6_14944
; %bb.14943:                            ;   in Loop: Header=BB6_14917 Depth=2
	s_bcnt1_i32_b32 s43, s43
	s_delay_alu instid0(SALU_CYCLE_1)
	v_dual_mov_b32 v3, v21 :: v_dual_mov_b32 v2, s43
	s_wait_loadcnt 0x0
	ds_add_u64 v0, v[2:3]
	s_trap 2
.LBB6_14944:                            ;   in Loop: Header=BB6_14917 Depth=2
	s_or_b32 exec_lo, exec_lo, s42
	s_trap 2
	ds_load_b64 v[2:3], v0
	s_wait_dscnt 0x0
	v_add_nc_u64_e32 v[84:85], v[84:85], v[26:27]
	s_mov_b32 s42, exec_lo
	s_delay_alu instid0(VALU_DEP_1)
	v_cmpx_lt_u64_e64 v[2:3], v[84:85]
	s_cbranch_execz .LBB6_14953
; %bb.14945:                            ;   in Loop: Header=BB6_14917 Depth=2
	s_mov_b32 s43, 0
	s_mov_b32 s72, 0
                                        ; implicit-def: $sgpr62
                                        ; implicit-def: $sgpr63
	s_branch .LBB6_14947
.LBB6_14946:                            ;   in Loop: Header=BB6_14947 Depth=3
	s_or_b32 exec_lo, exec_lo, s74
	s_delay_alu instid0(SALU_CYCLE_1) | instskip(NEXT) | instid1(SALU_CYCLE_1)
	s_and_b32 s73, exec_lo, s75
	s_or_b32 s43, s73, s43
	s_and_not1_b32 s62, s62, exec_lo
	s_and_b32 s73, s63, exec_lo
	s_delay_alu instid0(SALU_CYCLE_1)
	s_or_b32 s62, s62, s73
	s_and_not1_b32 exec_lo, exec_lo, s43
	s_cbranch_execz .LBB6_14951
.LBB6_14947:                            ;   Parent Loop BB6_47 Depth=1
                                        ;     Parent Loop BB6_14917 Depth=2
                                        ; =>    This Inner Loop Header: Depth=3
	s_add_co_i32 s72, s72, 1
	s_delay_alu instid0(SALU_CYCLE_1) | instskip(SKIP_1) | instid1(SALU_CYCLE_1)
	s_cmp_lg_u32 s72, 0x2710
	s_cselect_b32 s73, -1, 0
	s_and_b32 vcc_lo, exec_lo, s73
	s_cbranch_vccz .LBB6_14949
; %bb.14948:                            ;   in Loop: Header=BB6_14947 Depth=3
	s_mov_b32 s75, -1
	s_or_b32 s63, s63, exec_lo
	s_and_saveexec_b32 s74, s73
	s_cbranch_execz .LBB6_14946
	s_branch .LBB6_14950
.LBB6_14949:                            ;   in Loop: Header=BB6_14947 Depth=3
	s_trap 2
	ds_load_b64 v[2:3], v0
	s_and_not1_b32 s73, s73, exec_lo
	s_mov_b32 s72, 0
	s_wait_loadcnt_dscnt 0x0
	flat_load_b32 v1, v[2:3] scope:SCOPE_SYS
	s_wait_loadcnt_dscnt 0x0
	global_inv scope:SCOPE_SYS
	v_cmp_eq_u32_e32 vcc_lo, 0, v1
	s_and_b32 s74, vcc_lo, exec_lo
	s_delay_alu instid0(SALU_CYCLE_1)
	s_or_b32 s73, s73, s74
	s_mov_b32 s75, -1
	s_or_b32 s63, s63, exec_lo
	s_and_saveexec_b32 s74, s73
	s_cbranch_execz .LBB6_14946
.LBB6_14950:                            ;   in Loop: Header=BB6_14947 Depth=3
	s_sleep 1
	s_trap 2
	ds_load_b64 v[2:3], v0
	s_wait_dscnt 0x0
	s_and_not1_b32 s63, s63, exec_lo
	v_cmp_ge_u64_e32 vcc_lo, v[2:3], v[84:85]
	s_or_not1_b32 s75, vcc_lo, exec_lo
	s_branch .LBB6_14946
.LBB6_14951:                            ;   in Loop: Header=BB6_14917 Depth=2
	s_or_b32 exec_lo, exec_lo, s43
	s_and_saveexec_b32 s43, s62
	s_delay_alu instid0(SALU_CYCLE_1)
	s_xor_b32 s43, exec_lo, s43
	s_cbranch_execz .LBB6_14953
; %bb.14952:                            ;   in Loop: Header=BB6_14917 Depth=2
	ds_store_b32 v0, v118
	s_trap 2
.LBB6_14953:                            ;   in Loop: Header=BB6_14917 Depth=2
	s_or_b32 exec_lo, exec_lo, s42
	;;#ASMSTART
	s_wakeup
	;;#ASMEND
.LBB6_14954:                            ;   in Loop: Header=BB6_14917 Depth=2
	s_or_b32 exec_lo, exec_lo, s29
.LBB6_14955:                            ;   in Loop: Header=BB6_14917 Depth=2
	s_and_not1_saveexec_b32 s18, s18
	s_cbranch_execz .LBB6_14957
; %bb.14956:                            ;   in Loop: Header=BB6_14917 Depth=2
	global_wb scope:SCOPE_DEV
	s_wait_storecnt 0x0
	s_wait_loadcnt_dscnt 0x0
	global_inv scope:SCOPE_DEV
	s_barrier_signal -1
	s_barrier_wait -1
.LBB6_14957:                            ;   in Loop: Header=BB6_14917 Depth=2
	s_or_b32 exec_lo, exec_lo, s18
.LBB6_14958:                            ;   in Loop: Header=BB6_14917 Depth=2
	s_delay_alu instid0(SALU_CYCLE_1) | instskip(SKIP_1) | instid1(VALU_DEP_1)
	s_or_b32 exec_lo, exec_lo, s13
	v_sub_nc_u32_e32 v1, v12, v0
	v_min_i32_e32 v13, v13, v1
	s_and_saveexec_b32 s13, s10
	s_delay_alu instid0(SALU_CYCLE_1)
	s_xor_b32 s18, exec_lo, s13
	s_cbranch_execz .LBB6_14962
; %bb.14959:                            ;   in Loop: Header=BB6_14917 Depth=2
	s_trap 2
	ds_load_b32 v1, v0
	v_cmp_lt_i32_e32 vcc_lo, 0, v13
	s_wait_dscnt 0x0
	v_readfirstlane_b32 s13, v1
	v_and_b32_e32 v1, 16, v81
	s_cmp_eq_u32 s13, 0
	s_delay_alu instid0(VALU_DEP_1) | instskip(SKIP_1) | instid1(SALU_CYCLE_1)
	v_cmp_ne_u32_e64 s13, 0, v1
	s_cselect_b32 s29, -1, 0
	s_and_b32 s29, vcc_lo, s29
	s_delay_alu instid0(SALU_CYCLE_1) | instskip(NEXT) | instid1(SALU_CYCLE_1)
	s_and_b32 s29, s13, s29
	s_and_saveexec_b32 s13, s29
	s_cbranch_execz .LBB6_14961
; %bb.14960:                            ;   in Loop: Header=BB6_14917 Depth=2
	global_wb scope:SCOPE_SYS
	s_wait_loadcnt 0x0
	s_wait_storecnt 0x0
	global_inv scope:SCOPE_SYS
.LBB6_14961:                            ;   in Loop: Header=BB6_14917 Depth=2
	s_or_b32 exec_lo, exec_lo, s13
.LBB6_14962:                            ;   in Loop: Header=BB6_14917 Depth=2
	s_and_not1_saveexec_b32 s13, s18
	s_cbranch_execz .LBB6_14981
; %bb.14963:                            ;   in Loop: Header=BB6_14917 Depth=2
	s_and_saveexec_b32 s18, s3
	s_delay_alu instid0(SALU_CYCLE_1)
	s_xor_b32 s18, exec_lo, s18
	s_cbranch_execz .LBB6_14978
; %bb.14964:                            ;   in Loop: Header=BB6_14917 Depth=2
	s_and_saveexec_b32 s29, s6
	s_cbranch_execz .LBB6_14977
; %bb.14965:                            ;   in Loop: Header=BB6_14917 Depth=2
	s_mov_b32 s43, exec_lo
	s_mov_b32 s42, exec_lo
	v_mbcnt_lo_u32_b32 v1, s43, 0
	;;#ASMSTART
	s_waitcnt lgkmcnt(0) vmcnt(0)
	;;#ASMEND
	s_delay_alu instid0(VALU_DEP_1)
	v_cmpx_eq_u32_e32 0, v1
	s_cbranch_execz .LBB6_14967
; %bb.14966:                            ;   in Loop: Header=BB6_14917 Depth=2
	s_bcnt1_i32_b32 s43, s43
	s_delay_alu instid0(SALU_CYCLE_1)
	v_dual_mov_b32 v3, v21 :: v_dual_mov_b32 v2, s43
	s_wait_storecnt 0x0
	s_wait_loadcnt_dscnt 0x0
	ds_add_u64 v0, v[2:3]
	s_trap 2
.LBB6_14967:                            ;   in Loop: Header=BB6_14917 Depth=2
	s_or_b32 exec_lo, exec_lo, s42
	s_trap 2
	ds_load_b64 v[2:3], v0
	s_wait_dscnt 0x0
	v_add_nc_u64_e32 v[84:85], v[84:85], v[26:27]
	s_mov_b32 s42, exec_lo
	s_delay_alu instid0(VALU_DEP_1)
	v_cmpx_lt_u64_e64 v[2:3], v[84:85]
	s_cbranch_execz .LBB6_14976
; %bb.14968:                            ;   in Loop: Header=BB6_14917 Depth=2
	s_mov_b32 s43, 0
	s_mov_b32 s72, 0
                                        ; implicit-def: $sgpr62
                                        ; implicit-def: $sgpr63
	s_branch .LBB6_14970
.LBB6_14969:                            ;   in Loop: Header=BB6_14970 Depth=3
	s_or_b32 exec_lo, exec_lo, s74
	s_delay_alu instid0(SALU_CYCLE_1) | instskip(NEXT) | instid1(SALU_CYCLE_1)
	s_and_b32 s73, exec_lo, s75
	s_or_b32 s43, s73, s43
	s_and_not1_b32 s62, s62, exec_lo
	s_and_b32 s73, s63, exec_lo
	s_delay_alu instid0(SALU_CYCLE_1)
	s_or_b32 s62, s62, s73
	s_and_not1_b32 exec_lo, exec_lo, s43
	s_cbranch_execz .LBB6_14974
.LBB6_14970:                            ;   Parent Loop BB6_47 Depth=1
                                        ;     Parent Loop BB6_14917 Depth=2
                                        ; =>    This Inner Loop Header: Depth=3
	s_add_co_i32 s72, s72, 1
	s_delay_alu instid0(SALU_CYCLE_1) | instskip(SKIP_1) | instid1(SALU_CYCLE_1)
	s_cmp_lg_u32 s72, 0x2710
	s_cselect_b32 s73, -1, 0
	s_and_b32 vcc_lo, exec_lo, s73
	s_cbranch_vccz .LBB6_14972
; %bb.14971:                            ;   in Loop: Header=BB6_14970 Depth=3
	s_mov_b32 s75, -1
	s_or_b32 s63, s63, exec_lo
	s_and_saveexec_b32 s74, s73
	s_cbranch_execz .LBB6_14969
	s_branch .LBB6_14973
.LBB6_14972:                            ;   in Loop: Header=BB6_14970 Depth=3
	s_trap 2
	ds_load_b64 v[2:3], v0
	s_and_not1_b32 s73, s73, exec_lo
	s_mov_b32 s72, 0
	s_wait_storecnt 0x0
	s_wait_loadcnt_dscnt 0x0
	flat_load_b32 v1, v[2:3] scope:SCOPE_SYS
	s_wait_loadcnt_dscnt 0x0
	global_inv scope:SCOPE_SYS
	v_cmp_eq_u32_e32 vcc_lo, 0, v1
	s_and_b32 s74, vcc_lo, exec_lo
	s_delay_alu instid0(SALU_CYCLE_1)
	s_or_b32 s73, s73, s74
	s_mov_b32 s75, -1
	s_or_b32 s63, s63, exec_lo
	s_and_saveexec_b32 s74, s73
	s_cbranch_execz .LBB6_14969
.LBB6_14973:                            ;   in Loop: Header=BB6_14970 Depth=3
	s_sleep 1
	s_trap 2
	ds_load_b64 v[2:3], v0
	s_wait_dscnt 0x0
	s_and_not1_b32 s63, s63, exec_lo
	v_cmp_ge_u64_e32 vcc_lo, v[2:3], v[84:85]
	s_or_not1_b32 s75, vcc_lo, exec_lo
	s_branch .LBB6_14969
.LBB6_14974:                            ;   in Loop: Header=BB6_14917 Depth=2
	s_or_b32 exec_lo, exec_lo, s43
	s_and_saveexec_b32 s43, s62
	s_delay_alu instid0(SALU_CYCLE_1)
	s_xor_b32 s43, exec_lo, s43
	s_cbranch_execz .LBB6_14976
; %bb.14975:                            ;   in Loop: Header=BB6_14917 Depth=2
	ds_store_b32 v0, v118
	s_trap 2
.LBB6_14976:                            ;   in Loop: Header=BB6_14917 Depth=2
	s_or_b32 exec_lo, exec_lo, s42
	;;#ASMSTART
	s_wakeup
	;;#ASMEND
.LBB6_14977:                            ;   in Loop: Header=BB6_14917 Depth=2
	s_or_b32 exec_lo, exec_lo, s29
.LBB6_14978:                            ;   in Loop: Header=BB6_14917 Depth=2
	s_and_not1_saveexec_b32 s18, s18
	s_cbranch_execz .LBB6_14980
; %bb.14979:                            ;   in Loop: Header=BB6_14917 Depth=2
	;;#ASMSTART
	s_waitcnt lgkmcnt(0) vmcnt(0)
	;;#ASMEND
	s_barrier_signal -1
	s_barrier_wait -1
.LBB6_14980:                            ;   in Loop: Header=BB6_14917 Depth=2
	s_or_b32 exec_lo, exec_lo, s18
.LBB6_14981:                            ;   in Loop: Header=BB6_14917 Depth=2
	s_delay_alu instid0(SALU_CYCLE_1) | instskip(SKIP_2) | instid1(VALU_DEP_1)
	s_or_b32 exec_lo, exec_lo, s13
	v_and_b32_e32 v1, 32, v81
	s_mov_b32 s13, exec_lo
	v_cmpx_ne_u32_e32 0, v1
	s_cbranch_execz .LBB6_14916
; %bb.14982:                            ;   in Loop: Header=BB6_14917 Depth=2
	v_add_nc_u64_e32 v[94:95], 2, v[94:95]
	global_wb scope:SCOPE_SYS
	s_wait_storecnt 0x0
	s_wait_loadcnt_dscnt 0x0
	flat_store_b64 v[86:87], v[94:95] scope:SCOPE_SYS
	s_branch .LBB6_14916
.LBB6_14983:
	s_or_b32 exec_lo, exec_lo, s61
	s_clause 0x2
	scratch_load_b32 v1, off, s33 offset:568
	scratch_load_b32 v31, off, s33 offset:572
	scratch_load_b64 v[16:17], off, s33 offset:576
.LBB6_14984:
	s_wait_xcnt 0x0
	s_or_b32 exec_lo, exec_lo, s45
	v_and_b32_e32 v0, 0x800, v81
	s_mov_b32 s1, exec_lo
	s_delay_alu instid0(VALU_DEP_1)
	v_cmpx_eq_u32_e32 0, v0
	s_cbranch_execz .LBB6_15017
; %bb.14985:
	v_and_b32_e32 v0, 48, v81
	s_mov_b32 s0, exec_lo
	s_delay_alu instid0(VALU_DEP_1)
	v_cmpx_ne_u32_e32 0, v0
	s_cbranch_execz .LBB6_14987
; %bb.14986:
	s_wait_loadcnt 0x0
	flat_store_b64 v[16:17], v[94:95] offset:104
.LBB6_14987:
	s_wait_xcnt 0x0
	s_or_b32 exec_lo, exec_lo, s0
	v_and_b32_e32 v0, 0x88, v81
	s_mov_b32 s2, exec_lo
	s_delay_alu instid0(VALU_DEP_1)
	v_cmpx_eq_u32_e32 0x88, v0
	s_cbranch_execz .LBB6_14997
; %bb.14988:
	v_dual_add_nc_u32 v0, 6, v94 :: v_dual_bitop2_b32 v4, 64, v81 bitop3:0x40
	s_mov_b32 s3, 0
	s_delay_alu instid0(VALU_DEP_1) | instskip(NEXT) | instid1(VALU_DEP_2)
	v_and_b32_e32 v0, 7, v0
	v_cmp_eq_u32_e64 s0, 0, v4
	s_delay_alu instid0(VALU_DEP_2)
	v_mad_nc_u64_u32 v[6:7], v0, 24, v[82:83]
	flat_load_b64 v[2:3], v[6:7] offset:8 scope:SCOPE_SYS
	s_wait_loadcnt_dscnt 0x0
	v_cmp_ne_u64_e32 vcc_lo, -1, v[2:3]
	s_and_b32 s0, vcc_lo, s0
	s_wait_xcnt 0x0
	s_and_b32 exec_lo, exec_lo, s0
	s_cbranch_execz .LBB6_14997
; %bb.14989:
	s_mov_b32 s5, 0
                                        ; implicit-def: $sgpr0
                                        ; implicit-def: $sgpr4
	s_branch .LBB6_14992
.LBB6_14990:                            ;   in Loop: Header=BB6_14992 Depth=1
	flat_load_b64 v[4:5], v[6:7] offset:8 scope:SCOPE_SYS
	s_wait_loadcnt 0x0
	s_and_not1_b32 s4, s4, exec_lo
	s_wait_dscnt 0x0
	v_cmp_eq_u64_e32 vcc_lo, -1, v[4:5]
	s_or_not1_b32 s7, vcc_lo, exec_lo
.LBB6_14991:                            ;   in Loop: Header=BB6_14992 Depth=1
	s_wait_xcnt 0x0
	s_or_b32 exec_lo, exec_lo, s10
	s_delay_alu instid0(SALU_CYCLE_1) | instskip(NEXT) | instid1(SALU_CYCLE_1)
	s_and_b32 s6, exec_lo, s7
	s_or_b32 s3, s6, s3
	s_and_not1_b32 s0, s0, exec_lo
	s_and_b32 s6, s4, exec_lo
	s_delay_alu instid0(SALU_CYCLE_1)
	s_or_b32 s0, s0, s6
	s_and_not1_b32 exec_lo, exec_lo, s3
	s_cbranch_execz .LBB6_14995
.LBB6_14992:                            ; =>This Inner Loop Header: Depth=1
	s_cmp_lt_i32 s5, 0x270f
	s_cselect_b32 s6, -1, 0
	s_delay_alu instid0(SALU_CYCLE_1)
	s_and_b32 vcc_lo, exec_lo, s6
	s_cbranch_vccnz .LBB6_14994
; %bb.14993:                            ;   in Loop: Header=BB6_14992 Depth=1
	s_trap 2
	ds_load_b64 v[2:3], v0
	s_and_not1_b32 s6, s6, exec_lo
	s_mov_b32 s5, 0
	s_wait_storecnt_dscnt 0x0
	flat_load_b32 v2, v[2:3] scope:SCOPE_SYS
	s_wait_loadcnt_dscnt 0x0
	global_inv scope:SCOPE_SYS
	v_cmp_eq_u32_e32 vcc_lo, 0, v2
	s_and_b32 s7, vcc_lo, exec_lo
	s_delay_alu instid0(SALU_CYCLE_1)
	s_or_b32 s6, s6, s7
	s_mov_b32 s7, -1
	s_or_b32 s4, s4, exec_lo
	s_wait_xcnt 0x0
	s_and_saveexec_b32 s10, s6
	s_cbranch_execz .LBB6_14991
	s_branch .LBB6_14990
.LBB6_14994:                            ;   in Loop: Header=BB6_14992 Depth=1
	s_add_co_i32 s5, s5, 1
                                        ; implicit-def: $vgpr2
	s_mov_b32 s7, -1
	s_or_b32 s4, s4, exec_lo
	s_and_saveexec_b32 s10, s6
	s_cbranch_execz .LBB6_14991
	s_branch .LBB6_14990
.LBB6_14995:
	s_or_b32 exec_lo, exec_lo, s3
	s_and_saveexec_b32 s3, s0
	s_delay_alu instid0(SALU_CYCLE_1)
	s_xor_b32 s3, exec_lo, s3
	s_cbranch_execz .LBB6_14997
; %bb.14996:
	s_wait_loadcnt 0x0
	s_wait_storecnt 0x0
	ds_store_b32 v0, v2
	s_trap 2
.LBB6_14997:
	s_or_b32 exec_lo, exec_lo, s2
	v_and_b32_e32 v0, 0x2000, v81
	s_mov_b32 s0, exec_lo
	s_delay_alu instid0(VALU_DEP_1)
	v_cmpx_ne_u32_e32 0, v0
	s_cbranch_execz .LBB6_14999
; %bb.14998:
	s_trap 2
	scratch_load_b64 v[4:5], off, s33 offset:584 th:TH_LOAD_LU ; 8-byte Folded Reload
	ds_load_b64 v[2:3], v0
	s_wait_loadcnt_dscnt 0x0
	flat_store_b64 v[4:5], v[2:3] offset:16
.LBB6_14999:
	s_wait_xcnt 0x0
	s_or_b32 exec_lo, exec_lo, s0
	s_wait_loadcnt 0x2
	v_cmp_ne_u32_e32 vcc_lo, 32, v1
	s_and_b32 exec_lo, exec_lo, vcc_lo
	s_cbranch_execz .LBB6_15017
; %bb.15000:
	scratch_load_b32 v0, off, s33 offset:564 th:TH_LOAD_LU ; 4-byte Folded Reload
	s_mov_b32 s0, exec_lo
	s_wait_loadcnt 0x0
	v_cmpx_ne_u32_e64 v1, v0
	s_xor_b32 s0, exec_lo, s0
	s_cbranch_execz .LBB6_15015
; %bb.15001:
	v_and_b32_e32 v0, 31, v31
	s_mov_b32 s2, exec_lo
	s_delay_alu instid0(VALU_DEP_1)
	v_cmpx_eq_u32_e32 0, v0
	s_cbranch_execz .LBB6_15014
; %bb.15002:
	s_mov_b32 s4, exec_lo
	s_mov_b32 s3, exec_lo
	v_mbcnt_lo_u32_b32 v0, s4, 0
	global_wb scope:SCOPE_DEV
	s_wait_storecnt_dscnt 0x0
	global_inv scope:SCOPE_DEV
	v_cmpx_eq_u32_e32 0, v0
	s_cbranch_execz .LBB6_15004
; %bb.15003:
	s_bcnt1_i32_b32 s4, s4
	s_delay_alu instid0(SALU_CYCLE_1)
	v_dual_mov_b32 v3, 0 :: v_dual_mov_b32 v2, s4
	s_wait_loadcnt 0x0
	ds_add_u64 v0, v[2:3]
	s_trap 2
.LBB6_15004:
	s_or_b32 exec_lo, exec_lo, s3
	s_trap 2
	ds_load_b64 v[2:3], v0
	s_wait_dscnt 0x0
	v_dual_mov_b32 v1, 0 :: v_dual_lshrrev_b32 v0, 5, v1
	s_mov_b32 s3, exec_lo
	s_delay_alu instid0(VALU_DEP_1) | instskip(NEXT) | instid1(VALU_DEP_1)
	v_add_nc_u64_e32 v[0:1], v[84:85], v[0:1]
	v_cmpx_lt_u64_e64 v[2:3], v[0:1]
	s_cbranch_execz .LBB6_15013
; %bb.15005:
	s_mov_b32 s4, 0
	s_mov_b32 s7, 0
                                        ; implicit-def: $sgpr5
                                        ; implicit-def: $sgpr6
	s_branch .LBB6_15007
.LBB6_15006:                            ;   in Loop: Header=BB6_15007 Depth=1
	s_or_b32 exec_lo, exec_lo, s11
	s_delay_alu instid0(SALU_CYCLE_1) | instskip(NEXT) | instid1(SALU_CYCLE_1)
	s_and_b32 s10, exec_lo, s12
	s_or_b32 s4, s10, s4
	s_and_not1_b32 s5, s5, exec_lo
	s_and_b32 s10, s6, exec_lo
	s_delay_alu instid0(SALU_CYCLE_1)
	s_or_b32 s5, s5, s10
	s_and_not1_b32 exec_lo, exec_lo, s4
	s_cbranch_execz .LBB6_15011
.LBB6_15007:                            ; =>This Inner Loop Header: Depth=1
	s_add_co_i32 s7, s7, 1
	s_delay_alu instid0(SALU_CYCLE_1) | instskip(SKIP_1) | instid1(SALU_CYCLE_1)
	s_cmp_lg_u32 s7, 0x2710
	s_cselect_b32 s10, -1, 0
	s_and_b32 vcc_lo, exec_lo, s10
	s_cbranch_vccz .LBB6_15009
; %bb.15008:                            ;   in Loop: Header=BB6_15007 Depth=1
	s_mov_b32 s12, -1
	s_or_b32 s6, s6, exec_lo
	s_and_saveexec_b32 s11, s10
	s_cbranch_execz .LBB6_15006
	s_branch .LBB6_15010
.LBB6_15009:                            ;   in Loop: Header=BB6_15007 Depth=1
	s_trap 2
	ds_load_b64 v[2:3], v0
	s_and_not1_b32 s10, s10, exec_lo
	s_mov_b32 s7, 0
	s_wait_loadcnt_dscnt 0x0
	flat_load_b32 v2, v[2:3] scope:SCOPE_SYS
	s_wait_loadcnt_dscnt 0x0
	global_inv scope:SCOPE_SYS
	v_cmp_eq_u32_e32 vcc_lo, 0, v2
	s_and_b32 s11, vcc_lo, exec_lo
	s_delay_alu instid0(SALU_CYCLE_1)
	s_or_b32 s10, s10, s11
	s_mov_b32 s12, -1
	s_or_b32 s6, s6, exec_lo
	s_and_saveexec_b32 s11, s10
	s_cbranch_execz .LBB6_15006
.LBB6_15010:                            ;   in Loop: Header=BB6_15007 Depth=1
	s_sleep 1
	s_trap 2
	ds_load_b64 v[2:3], v0
	s_wait_dscnt 0x0
	s_and_not1_b32 s6, s6, exec_lo
	v_cmp_ge_u64_e32 vcc_lo, v[2:3], v[0:1]
	s_or_not1_b32 s12, vcc_lo, exec_lo
	s_branch .LBB6_15006
.LBB6_15011:
	s_or_b32 exec_lo, exec_lo, s4
	s_and_saveexec_b32 s4, s5
	s_delay_alu instid0(SALU_CYCLE_1)
	s_xor_b32 s4, exec_lo, s4
	s_cbranch_execz .LBB6_15013
; %bb.15012:
	v_mov_b32_e32 v0, 1
	ds_store_b32 v0, v0
	s_trap 2
.LBB6_15013:
	s_or_b32 exec_lo, exec_lo, s3
	;;#ASMSTART
	s_wakeup
	;;#ASMEND
.LBB6_15014:
	s_or_b32 exec_lo, exec_lo, s2
.LBB6_15015:
	s_and_not1_saveexec_b32 s0, s0
	s_cbranch_execz .LBB6_15017
; %bb.15016:
	global_wb scope:SCOPE_DEV
	s_wait_storecnt 0x0
	s_wait_loadcnt_dscnt 0x0
	global_inv scope:SCOPE_DEV
	s_barrier_signal -1
	s_barrier_wait -1
.LBB6_15017:
	s_or_b32 exec_lo, exec_lo, s1
.LBB6_15018:
	s_and_not1_saveexec_b32 s21, s44
	s_cbranch_execz .LBB6_15020
; %bb.15019:
	s_get_pc_i64 s[0:1]
	s_add_nc_u64 s[0:1], s[0:1], __PRETTY_FUNCTION__._ZN10PrimitivesI14__hip_fp8_e5m28FuncProdIS0_E12FanSymmetricILi1EELi0E11ProtoSimpleILi2ELi2ELi0ELi4ELi0ELi0EELi0ELb0ELi0ELi0ELi0EEC2EiiPKiS9_PKvPvmhhhP15ncclDevWorkCollP14ncclDevWorkP2pii@rel64+4
	s_get_pc_i64 s[2:3]
	s_add_nc_u64 s[2:3], s[2:3], __assert_fail@rel64+4
	s_wait_loadcnt 0x2
	v_dual_mov_b32 v0, s0 :: v_dual_mov_b32 v1, s1
	s_swap_pc_i64 s[30:31], s[2:3]
	; divergent unreachable
.LBB6_15020:
	s_or_b32 exec_lo, exec_lo, s21
	s_clause 0x2e
	scratch_load_b32 v126, off, s33
	scratch_load_b32 v125, off, s33 offset:4
	scratch_load_b32 v124, off, s33 offset:8
	;; [unrolled: 1-line block ×46, first 2 shown]
	v_readlane_b32 s30, v127, 0
	v_readlane_b32 s31, v127, 1
	s_mov_b32 s32, s33
	s_wait_xcnt 0x0
	s_or_saveexec_b32 s0, -1
	scratch_load_b32 v127, off, s33 offset:592 ; 4-byte Folded Reload
	s_wait_xcnt 0x0
	s_mov_b32 exec_lo, s0
	s_mov_b32 s33, s89
	s_wait_loadcnt_dscnt 0x0
	s_set_pc_i64 s[30:31]
.Lfunc_end6:
	.size	_ZN12_GLOBAL__N_17runRingI14__hip_fp8_e5m28FuncProdIS1_E11ProtoSimpleILi2ELi2ELi0ELi4ELi0ELi0EELi0ELi0ELi4ELi0EEEviiP15ncclDevWorkColl, .Lfunc_end6-_ZN12_GLOBAL__N_17runRingI14__hip_fp8_e5m28FuncProdIS1_E11ProtoSimpleILi2ELi2ELi0ELi4ELi0ELi0EELi0ELi0ELi4ELi0EEEviiP15ncclDevWorkColl
                                        ; -- End function
	.set .L_ZN12_GLOBAL__N_17runRingI14__hip_fp8_e5m28FuncProdIS1_E11ProtoSimpleILi2ELi2ELi0ELi4ELi0ELi0EELi0ELi0ELi4ELi0EEEviiP15ncclDevWorkColl.num_vgpr, max(128, .L__assert_fail.num_vgpr)
	.set .L_ZN12_GLOBAL__N_17runRingI14__hip_fp8_e5m28FuncProdIS1_E11ProtoSimpleILi2ELi2ELi0ELi4ELi0ELi0EELi0ELi0ELi4ELi0EEEviiP15ncclDevWorkColl.num_agpr, max(0, .L__assert_fail.num_agpr)
	.set .L_ZN12_GLOBAL__N_17runRingI14__hip_fp8_e5m28FuncProdIS1_E11ProtoSimpleILi2ELi2ELi0ELi4ELi0ELi0EELi0ELi0ELi4ELi0EEEviiP15ncclDevWorkColl.numbered_sgpr, max(90, .L__assert_fail.numbered_sgpr)
	.set .L_ZN12_GLOBAL__N_17runRingI14__hip_fp8_e5m28FuncProdIS1_E11ProtoSimpleILi2ELi2ELi0ELi4ELi0ELi0EELi0ELi0ELi4ELi0EEEviiP15ncclDevWorkColl.num_named_barrier, max(0, .L__assert_fail.num_named_barrier)
	.set .L_ZN12_GLOBAL__N_17runRingI14__hip_fp8_e5m28FuncProdIS1_E11ProtoSimpleILi2ELi2ELi0ELi4ELi0ELi0EELi0ELi0ELi4ELi0EEEviiP15ncclDevWorkColl.private_seg_size, 608+max(.L__assert_fail.private_seg_size)
	.set .L_ZN12_GLOBAL__N_17runRingI14__hip_fp8_e5m28FuncProdIS1_E11ProtoSimpleILi2ELi2ELi0ELi4ELi0ELi0EELi0ELi0ELi4ELi0EEEviiP15ncclDevWorkColl.uses_vcc, or(1, .L__assert_fail.uses_vcc)
	.set .L_ZN12_GLOBAL__N_17runRingI14__hip_fp8_e5m28FuncProdIS1_E11ProtoSimpleILi2ELi2ELi0ELi4ELi0ELi0EELi0ELi0ELi4ELi0EEEviiP15ncclDevWorkColl.uses_flat_scratch, or(1, .L__assert_fail.uses_flat_scratch)
	.set .L_ZN12_GLOBAL__N_17runRingI14__hip_fp8_e5m28FuncProdIS1_E11ProtoSimpleILi2ELi2ELi0ELi4ELi0ELi0EELi0ELi0ELi4ELi0EEEviiP15ncclDevWorkColl.has_dyn_sized_stack, or(0, .L__assert_fail.has_dyn_sized_stack)
	.set .L_ZN12_GLOBAL__N_17runRingI14__hip_fp8_e5m28FuncProdIS1_E11ProtoSimpleILi2ELi2ELi0ELi4ELi0ELi0EELi0ELi0ELi4ELi0EEEviiP15ncclDevWorkColl.has_recursion, or(1, .L__assert_fail.has_recursion)
	.set .L_ZN12_GLOBAL__N_17runRingI14__hip_fp8_e5m28FuncProdIS1_E11ProtoSimpleILi2ELi2ELi0ELi4ELi0ELi0EELi0ELi0ELi4ELi0EEEviiP15ncclDevWorkColl.has_indirect_call, or(0, .L__assert_fail.has_indirect_call)
	.section	.AMDGPU.csdata,"",@progbits
; Function info:
; codeLenInByte = 451492
; TotalNumSgprs: 92
; NumVgprs: 128
; ScratchSize: 672
; MemoryBound: 1
	.text
	.p2align	2                               ; -- Begin function _Z51ncclDevFunc_AllReduce_RING_SIMPLE_Prod_f8e5m2_0_0_4v
	.type	_Z51ncclDevFunc_AllReduce_RING_SIMPLE_Prod_f8e5m2_0_0_4v,@function
_Z51ncclDevFunc_AllReduce_RING_SIMPLE_Prod_f8e5m2_0_0_4v: ; @_Z51ncclDevFunc_AllReduce_RING_SIMPLE_Prod_f8e5m2_0_0_4v
; %bb.0:
	s_wait_loadcnt_dscnt 0x0
	s_wait_kmcnt 0x0
	s_mov_b32 s0, s33
	s_mov_b32 s33, s32
	s_or_saveexec_b32 s1, -1
	scratch_store_b32 off, v42, s33 offset:12 ; 4-byte Folded Spill
	s_wait_xcnt 0x0
	s_mov_b32 exec_lo, s1
	v_writelane_b32 v42, s0, 2
	s_add_co_i32 s32, s32, 32
	s_clause 0x2
	scratch_store_b32 off, v40, s33 offset:8
	; meta instruction
	scratch_store_b32 off, v41, s33 offset:4
	; meta instruction
	scratch_store_b32 off, v127, s33
	v_writelane_b32 v42, s30, 0
	v_writelane_b32 v42, s31, 1
	s_trap 2
	ds_load_b32 v0, v0
	s_wait_xcnt 0x2
	v_mov_b32_e32 v40, v31
	s_wait_dscnt 0x0
	v_cmp_gt_i32_e32 vcc_lo, 1, v0
	s_cbranch_vccnz .LBB7_8
; %bb.1:
	s_wait_xcnt 0x1
	v_and_b32_e32 v41, 0x3ff, v40
	s_mov_b32 s92, s12
	s_mov_b64 s[90:91], s[8:9]
	s_mov_b32 s93, 0
	s_get_pc_i64 s[94:95]
	s_add_nc_u64 s[94:95], s[94:95], _ZN12_GLOBAL__N_17runRingI14__hip_fp8_e5m28FuncProdIS1_E11ProtoSimpleILi2ELi2ELi0ELi4ELi0ELi0EELi0ELi0ELi4ELi0EEEviiP15ncclDevWorkColl@rel64+4
	s_branch .LBB7_3
.LBB7_2:                                ;   in Loop: Header=BB7_3 Depth=1
	s_or_b32 exec_lo, exec_lo, vcc_hi
	s_trap 2
	ds_load_b32 v0, v0
	s_add_co_i32 s93, s93, 1
	s_wait_dscnt 0x0
	v_cmp_lt_i32_e32 vcc_lo, s93, v0
	s_cbranch_vccz .LBB7_8
.LBB7_3:                                ; =>This Inner Loop Header: Depth=1
	s_trap 2
	ds_load_b32 v0, v0
	s_cmp_eq_u32 s93, 0
	s_cbranch_scc1 .LBB7_6
; %bb.4:                                ;   in Loop: Header=BB7_3 Depth=1
	s_trap 2
	s_wait_dscnt 0x0
	ds_load_b32 v1, v0
	s_wait_dscnt 0x0
	v_xor_b32_e32 v1, v1, v0
	s_delay_alu instid0(VALU_DEP_1) | instskip(NEXT) | instid1(VALU_DEP_1)
	v_and_b32_e32 v1, 0xff0000, v1
	v_cmp_eq_u32_e32 vcc_lo, 0, v1
	s_cbranch_vccnz .LBB7_6
; %bb.5:                                ;   in Loop: Header=BB7_3 Depth=1
	s_wait_storecnt 0x0
	s_barrier_signal -1
	s_barrier_wait -1
	ds_load_b32 v0, v0
.LBB7_6:                                ;   in Loop: Header=BB7_3 Depth=1
	s_wait_dscnt 0x0
	v_lshrrev_b32_e32 v0, 11, v0
	s_mov_b32 vcc_hi, exec_lo
	s_delay_alu instid0(VALU_DEP_1) | instskip(SKIP_1) | instid1(VALU_DEP_1)
	v_and_b32_e32 v1, 0x1fe0, v0
	s_wait_xcnt 0x0
	v_cmpx_lt_u32_e64 v41, v1
	s_cbranch_execz .LBB7_2
; %bb.7:                                ;   in Loop: Header=BB7_3 Depth=1
	s_mov_b64 s[0:1], src_shared_base
	v_dual_mov_b32 v31, v40 :: v_dual_mov_b32 v0, v41
	v_mov_b32_e32 v3, s1
	s_mov_b64 s[8:9], s[90:91]
	s_mov_b32 s12, s92
	s_swap_pc_i64 s[30:31], s[94:95]
	s_branch .LBB7_2
.LBB7_8:
	s_clause 0x2
	scratch_load_b32 v127, off, s33
	scratch_load_b32 v41, off, s33 offset:4
	scratch_load_b32 v40, off, s33 offset:8
	v_readlane_b32 s30, v42, 0
	v_readlane_b32 s31, v42, 1
	s_mov_b32 s32, s33
	v_readlane_b32 s0, v42, 2
	s_wait_xcnt 0x0
	s_or_saveexec_b32 s1, -1
	scratch_load_b32 v42, off, s33 offset:12 ; 4-byte Folded Reload
	s_wait_xcnt 0x0
	s_mov_b32 exec_lo, s1
	s_mov_b32 s33, s0
	s_wait_loadcnt 0x0
	s_set_pc_i64 s[30:31]
.Lfunc_end7:
	.size	_Z51ncclDevFunc_AllReduce_RING_SIMPLE_Prod_f8e5m2_0_0_4v, .Lfunc_end7-_Z51ncclDevFunc_AllReduce_RING_SIMPLE_Prod_f8e5m2_0_0_4v
                                        ; -- End function
	.set .L_Z51ncclDevFunc_AllReduce_RING_SIMPLE_Prod_f8e5m2_0_0_4v.num_vgpr, max(128, .L_ZN12_GLOBAL__N_17runRingI14__hip_fp8_e5m28FuncProdIS1_E11ProtoSimpleILi2ELi2ELi0ELi4ELi0ELi0EELi0ELi0ELi4ELi0EEEviiP15ncclDevWorkColl.num_vgpr)
	.set .L_Z51ncclDevFunc_AllReduce_RING_SIMPLE_Prod_f8e5m2_0_0_4v.num_agpr, max(0, .L_ZN12_GLOBAL__N_17runRingI14__hip_fp8_e5m28FuncProdIS1_E11ProtoSimpleILi2ELi2ELi0ELi4ELi0ELi0EELi0ELi0ELi4ELi0EEEviiP15ncclDevWorkColl.num_agpr)
	.set .L_Z51ncclDevFunc_AllReduce_RING_SIMPLE_Prod_f8e5m2_0_0_4v.numbered_sgpr, max(96, .L_ZN12_GLOBAL__N_17runRingI14__hip_fp8_e5m28FuncProdIS1_E11ProtoSimpleILi2ELi2ELi0ELi4ELi0ELi0EELi0ELi0ELi4ELi0EEEviiP15ncclDevWorkColl.numbered_sgpr)
	.set .L_Z51ncclDevFunc_AllReduce_RING_SIMPLE_Prod_f8e5m2_0_0_4v.num_named_barrier, max(0, .L_ZN12_GLOBAL__N_17runRingI14__hip_fp8_e5m28FuncProdIS1_E11ProtoSimpleILi2ELi2ELi0ELi4ELi0ELi0EELi0ELi0ELi4ELi0EEEviiP15ncclDevWorkColl.num_named_barrier)
	.set .L_Z51ncclDevFunc_AllReduce_RING_SIMPLE_Prod_f8e5m2_0_0_4v.private_seg_size, 32+max(.L_ZN12_GLOBAL__N_17runRingI14__hip_fp8_e5m28FuncProdIS1_E11ProtoSimpleILi2ELi2ELi0ELi4ELi0ELi0EELi0ELi0ELi4ELi0EEEviiP15ncclDevWorkColl.private_seg_size)
	.set .L_Z51ncclDevFunc_AllReduce_RING_SIMPLE_Prod_f8e5m2_0_0_4v.uses_vcc, or(1, .L_ZN12_GLOBAL__N_17runRingI14__hip_fp8_e5m28FuncProdIS1_E11ProtoSimpleILi2ELi2ELi0ELi4ELi0ELi0EELi0ELi0ELi4ELi0EEEviiP15ncclDevWorkColl.uses_vcc)
	.set .L_Z51ncclDevFunc_AllReduce_RING_SIMPLE_Prod_f8e5m2_0_0_4v.uses_flat_scratch, or(1, .L_ZN12_GLOBAL__N_17runRingI14__hip_fp8_e5m28FuncProdIS1_E11ProtoSimpleILi2ELi2ELi0ELi4ELi0ELi0EELi0ELi0ELi4ELi0EEEviiP15ncclDevWorkColl.uses_flat_scratch)
	.set .L_Z51ncclDevFunc_AllReduce_RING_SIMPLE_Prod_f8e5m2_0_0_4v.has_dyn_sized_stack, or(0, .L_ZN12_GLOBAL__N_17runRingI14__hip_fp8_e5m28FuncProdIS1_E11ProtoSimpleILi2ELi2ELi0ELi4ELi0ELi0EELi0ELi0ELi4ELi0EEEviiP15ncclDevWorkColl.has_dyn_sized_stack)
	.set .L_Z51ncclDevFunc_AllReduce_RING_SIMPLE_Prod_f8e5m2_0_0_4v.has_recursion, or(1, .L_ZN12_GLOBAL__N_17runRingI14__hip_fp8_e5m28FuncProdIS1_E11ProtoSimpleILi2ELi2ELi0ELi4ELi0ELi0EELi0ELi0ELi4ELi0EEEviiP15ncclDevWorkColl.has_recursion)
	.set .L_Z51ncclDevFunc_AllReduce_RING_SIMPLE_Prod_f8e5m2_0_0_4v.has_indirect_call, or(0, .L_ZN12_GLOBAL__N_17runRingI14__hip_fp8_e5m28FuncProdIS1_E11ProtoSimpleILi2ELi2ELi0ELi4ELi0ELi0EELi0ELi0ELi4ELi0EEEviiP15ncclDevWorkColl.has_indirect_call)
	.section	.AMDGPU.csdata,"",@progbits
; Function info:
; codeLenInByte = 480
; TotalNumSgprs: 98
; NumVgprs: 128
; ScratchSize: 704
; MemoryBound: 0
	.text
	.p2alignl 7, 3214868480
	.fill 96, 4, 3214868480
	.section	.AMDGPU.gpr_maximums,"",@progbits
	.set amdgpu.max_num_vgpr, 128
	.set amdgpu.max_num_agpr, 0
	.set amdgpu.max_num_sgpr, 96
	.text
	.type	__const.__assert_fail.fmt,@object ; @__const.__assert_fail.fmt
	.section	.rodata.str1.16,"aMS",@progbits,1
	.p2align	4, 0x0
__const.__assert_fail.fmt:
	.asciz	"%s:%u: %s: Device-side assertion `%s' failed.\n"
	.size	__const.__assert_fail.fmt, 47

	.type	.str.3,@object                  ; @.str.3
	.section	.rodata.str1.1,"aMS",@progbits,1
.str.3:
	.asciz	"2*(nrecv+nsend) <= nthreads"
	.size	.str.3, 28

	.type	.str.4,@object                  ; @.str.4
.str.4:
	.asciz	"/root/src/amdgpu-assembly/repos/ROCm__rccl/hipify/src/device/prims_simple.h"
	.size	.str.4, 76

	.type	__PRETTY_FUNCTION__._ZN10PrimitivesI14__hip_fp8_e5m28FuncProdIS0_E12FanSymmetricILi1EELi0E11ProtoSimpleILi2ELi2ELi0ELi1ELi0ELi0EELi0ELb0ELi0ELi0ELi0EEC2EiiPKiS9_PKvPvmhhhP15ncclDevWorkCollP14ncclDevWorkP2pii,@object ; @__PRETTY_FUNCTION__._ZN10PrimitivesI14__hip_fp8_e5m28FuncProdIS0_E12FanSymmetricILi1EELi0E11ProtoSimpleILi2ELi2ELi0ELi1ELi0ELi0EELi0ELb0ELi0ELi0ELi0EEC2EiiPKiS9_PKvPvmhhhP15ncclDevWorkCollP14ncclDevWorkP2pii
__PRETTY_FUNCTION__._ZN10PrimitivesI14__hip_fp8_e5m28FuncProdIS0_E12FanSymmetricILi1EELi0E11ProtoSimpleILi2ELi2ELi0ELi1ELi0ELi0EELi0ELb0ELi0ELi0ELi0EEC2EiiPKiS9_PKvPvmhhhP15ncclDevWorkCollP14ncclDevWorkP2pii:
	.asciz	"Primitives<__hip_fp8_e5m2, FuncProd<__hip_fp8_e5m2>, FanSymmetric<1>, 0, ProtoSimple<2, 2, 0, 1>, 0>::Primitives(int, int, const int *, const int *, const void *, void *, uint64_t, uint8_t, uint8_t, uint8_t, struct ncclDevWorkColl *, struct ncclDevWorkP2p *, int, int) [T = __hip_fp8_e5m2, RedOp = FuncProd<__hip_fp8_e5m2>, Fan = FanSymmetric<1>, Direct = 0, Proto = ProtoSimple<2, 2, 0, 1>, P2p = 0, isNetOffload = false, Metadata = 0, Pipeline = 0, useAcc = 0]"
	.size	__PRETTY_FUNCTION__._ZN10PrimitivesI14__hip_fp8_e5m28FuncProdIS0_E12FanSymmetricILi1EELi0E11ProtoSimpleILi2ELi2ELi0ELi1ELi0ELi0EELi0ELb0ELi0ELi0ELi0EEC2EiiPKiS9_PKvPvmhhhP15ncclDevWorkCollP14ncclDevWorkP2pii, 463

	.type	__PRETTY_FUNCTION__._ZN10PrimitivesI14__hip_fp8_e5m28FuncProdIS0_E12FanSymmetricILi1EELi0E11ProtoSimpleILi2ELi2ELi0ELi2ELi0ELi0EELi0ELb0ELi0ELi0ELi0EEC2EiiPKiS9_PKvPvmhhhP15ncclDevWorkCollP14ncclDevWorkP2pii,@object ; @__PRETTY_FUNCTION__._ZN10PrimitivesI14__hip_fp8_e5m28FuncProdIS0_E12FanSymmetricILi1EELi0E11ProtoSimpleILi2ELi2ELi0ELi2ELi0ELi0EELi0ELb0ELi0ELi0ELi0EEC2EiiPKiS9_PKvPvmhhhP15ncclDevWorkCollP14ncclDevWorkP2pii
__PRETTY_FUNCTION__._ZN10PrimitivesI14__hip_fp8_e5m28FuncProdIS0_E12FanSymmetricILi1EELi0E11ProtoSimpleILi2ELi2ELi0ELi2ELi0ELi0EELi0ELb0ELi0ELi0ELi0EEC2EiiPKiS9_PKvPvmhhhP15ncclDevWorkCollP14ncclDevWorkP2pii:
	.asciz	"Primitives<__hip_fp8_e5m2, FuncProd<__hip_fp8_e5m2>, FanSymmetric<1>, 0, ProtoSimple<2, 2, 0, 2>, 0>::Primitives(int, int, const int *, const int *, const void *, void *, uint64_t, uint8_t, uint8_t, uint8_t, struct ncclDevWorkColl *, struct ncclDevWorkP2p *, int, int) [T = __hip_fp8_e5m2, RedOp = FuncProd<__hip_fp8_e5m2>, Fan = FanSymmetric<1>, Direct = 0, Proto = ProtoSimple<2, 2, 0, 2>, P2p = 0, isNetOffload = false, Metadata = 0, Pipeline = 0, useAcc = 0]"
	.size	__PRETTY_FUNCTION__._ZN10PrimitivesI14__hip_fp8_e5m28FuncProdIS0_E12FanSymmetricILi1EELi0E11ProtoSimpleILi2ELi2ELi0ELi2ELi0ELi0EELi0ELb0ELi0ELi0ELi0EEC2EiiPKiS9_PKvPvmhhhP15ncclDevWorkCollP14ncclDevWorkP2pii, 463

	.type	__PRETTY_FUNCTION__._ZN10PrimitivesI14__hip_fp8_e5m28FuncProdIS0_E12FanSymmetricILi1EELi0E11ProtoSimpleILi2ELi2ELi0ELi4ELi0ELi0EELi0ELb0ELi0ELi0ELi0EEC2EiiPKiS9_PKvPvmhhhP15ncclDevWorkCollP14ncclDevWorkP2pii,@object ; @__PRETTY_FUNCTION__._ZN10PrimitivesI14__hip_fp8_e5m28FuncProdIS0_E12FanSymmetricILi1EELi0E11ProtoSimpleILi2ELi2ELi0ELi4ELi0ELi0EELi0ELb0ELi0ELi0ELi0EEC2EiiPKiS9_PKvPvmhhhP15ncclDevWorkCollP14ncclDevWorkP2pii
__PRETTY_FUNCTION__._ZN10PrimitivesI14__hip_fp8_e5m28FuncProdIS0_E12FanSymmetricILi1EELi0E11ProtoSimpleILi2ELi2ELi0ELi4ELi0ELi0EELi0ELb0ELi0ELi0ELi0EEC2EiiPKiS9_PKvPvmhhhP15ncclDevWorkCollP14ncclDevWorkP2pii:
	.asciz	"Primitives<__hip_fp8_e5m2, FuncProd<__hip_fp8_e5m2>, FanSymmetric<1>, 0, ProtoSimple<2, 2, 0, 4>, 0>::Primitives(int, int, const int *, const int *, const void *, void *, uint64_t, uint8_t, uint8_t, uint8_t, struct ncclDevWorkColl *, struct ncclDevWorkP2p *, int, int) [T = __hip_fp8_e5m2, RedOp = FuncProd<__hip_fp8_e5m2>, Fan = FanSymmetric<1>, Direct = 0, Proto = ProtoSimple<2, 2, 0, 4>, P2p = 0, isNetOffload = false, Metadata = 0, Pipeline = 0, useAcc = 0]"
	.size	__PRETTY_FUNCTION__._ZN10PrimitivesI14__hip_fp8_e5m28FuncProdIS0_E12FanSymmetricILi1EELi0E11ProtoSimpleILi2ELi2ELi0ELi4ELi0ELi0EELi0ELb0ELi0ELi0ELi0EEC2EiiPKiS9_PKvPvmhhhP15ncclDevWorkCollP14ncclDevWorkP2pii, 463

	.type	__hip_cuid_7031b833ed4830c1,@object ; @__hip_cuid_7031b833ed4830c1
	.section	.bss,"aw",@nobits
	.globl	__hip_cuid_7031b833ed4830c1
__hip_cuid_7031b833ed4830c1:
	.byte	0                               ; 0x0
	.size	__hip_cuid_7031b833ed4830c1, 1

	.ident	"AMD clang version 22.0.0git (https://github.com/RadeonOpenCompute/llvm-project roc-7.2.4 26084 f58b06dce1f9c15707c5f808fd002e18c2accf7e)"
	.section	".note.GNU-stack","",@progbits
	.addrsig
	.addrsig_sym _Z51ncclDevFunc_AllReduce_RING_SIMPLE_Prod_f8e5m2_0_0_1v
	.addrsig_sym _Z51ncclDevFunc_AllReduce_RING_SIMPLE_Prod_f8e5m2_0_0_2v
	.addrsig_sym _Z51ncclDevFunc_AllReduce_RING_SIMPLE_Prod_f8e5m2_0_0_4v
	.addrsig_sym ncclShmem
	.addrsig_sym __hip_cuid_7031b833ed4830c1
	.amdgpu_metadata
---
amdhsa.kernels:  []
amdhsa.target:   amdgcn-amd-amdhsa--gfx1250
amdhsa.version:
  - 1
  - 2
...

	.end_amdgpu_metadata
